;; amdgpu-corpus repo=pytorch/pytorch kind=compiled arch=gfx1030 opt=O3
	.amdgcn_target "amdgcn-amd-amdhsa--gfx1030"
	.amdhsa_code_object_version 6
	.text
	.protected	_ZN2at6native28amp_update_scale_cuda_kernelEPfPiPKfddi ; -- Begin function _ZN2at6native28amp_update_scale_cuda_kernelEPfPiPKfddi
	.globl	_ZN2at6native28amp_update_scale_cuda_kernelEPfPiPKfddi
	.p2align	8
	.type	_ZN2at6native28amp_update_scale_cuda_kernelEPfPiPKfddi,@function
_ZN2at6native28amp_update_scale_cuda_kernelEPfPiPKfddi: ; @_ZN2at6native28amp_update_scale_cuda_kernelEPfPiPKfddi
; %bb.0:
	s_load_dwordx8 s[8:15], s[4:5], 0x0
	s_mov_b32 s3, 0
	s_waitcnt lgkmcnt(0)
	s_load_dword s2, s[12:13], 0x0
	s_load_dwordx2 s[0:1], s[4:5], 0x20
	s_waitcnt lgkmcnt(0)
	v_cmp_eq_f32_e64 s2, s2, 0
	s_and_b32 vcc_lo, exec_lo, s2
	s_cbranch_vccz .LBB0_3
; %bb.1:
	s_load_dword s2, s[10:11], 0x0
	s_load_dword s3, s[4:5], 0x28
	s_mov_b32 s4, 0
	s_waitcnt lgkmcnt(0)
	s_add_i32 s2, s2, 1
	s_cmp_eq_u32 s2, s3
	s_cbranch_scc0 .LBB0_8
; %bb.2:
	s_load_dword s2, s[8:9], 0x0
	s_waitcnt lgkmcnt(0)
	v_cvt_f64_f32_e32 v[0:1], s2
	s_mov_b32 s2, 0
	v_mul_f64 v[0:1], s[14:15], v[0:1]
	v_cvt_f32_f64_e32 v0, v[0:1]
	v_cmp_class_f32_e64 s3, v0, 0x1f8
	s_and_b32 vcc_lo, exec_lo, s4
	s_cbranch_vccnz .LBB0_4
	s_branch .LBB0_5
.LBB0_3:
                                        ; implicit-def: $vgpr0
                                        ; implicit-def: $sgpr2
	s_cbranch_execz .LBB0_5
.LBB0_4:
	s_load_dword s3, s[8:9], 0x0
	s_waitcnt lgkmcnt(0)
	v_cvt_f64_f32_e32 v[0:1], s3
	s_mov_b32 s3, -1
	v_mul_f64 v[0:1], s[0:1], v[0:1]
	v_cvt_f32_f64_e32 v0, v[0:1]
.LBB0_5:
	s_andn2_b32 vcc_lo, exec_lo, s3
	s_cbranch_vccz .LBB0_7
; %bb.6:
	v_mov_b32_e32 v0, 0
	v_mov_b32_e32 v1, s2
	global_store_dword v0, v1, s[10:11]
	s_endpgm
.LBB0_7:
	v_mov_b32_e32 v1, 0
	s_mov_b32 s2, 0
	global_store_dword v1, v0, s[8:9]
	v_mov_b32_e32 v0, 0
	v_mov_b32_e32 v1, s2
	global_store_dword v0, v1, s[10:11]
	s_endpgm
.LBB0_8:
	s_mov_b32 s3, 0
                                        ; implicit-def: $vgpr0
	s_and_b32 vcc_lo, exec_lo, s4
	s_cbranch_vccnz .LBB0_4
	s_branch .LBB0_5
	.section	.rodata,"a",@progbits
	.p2align	6, 0x0
	.amdhsa_kernel _ZN2at6native28amp_update_scale_cuda_kernelEPfPiPKfddi
		.amdhsa_group_segment_fixed_size 0
		.amdhsa_private_segment_fixed_size 0
		.amdhsa_kernarg_size 44
		.amdhsa_user_sgpr_count 6
		.amdhsa_user_sgpr_private_segment_buffer 1
		.amdhsa_user_sgpr_dispatch_ptr 0
		.amdhsa_user_sgpr_queue_ptr 0
		.amdhsa_user_sgpr_kernarg_segment_ptr 1
		.amdhsa_user_sgpr_dispatch_id 0
		.amdhsa_user_sgpr_flat_scratch_init 0
		.amdhsa_user_sgpr_private_segment_size 0
		.amdhsa_wavefront_size32 1
		.amdhsa_uses_dynamic_stack 0
		.amdhsa_system_sgpr_private_segment_wavefront_offset 0
		.amdhsa_system_sgpr_workgroup_id_x 1
		.amdhsa_system_sgpr_workgroup_id_y 0
		.amdhsa_system_sgpr_workgroup_id_z 0
		.amdhsa_system_sgpr_workgroup_info 0
		.amdhsa_system_vgpr_workitem_id 0
		.amdhsa_next_free_vgpr 2
		.amdhsa_next_free_sgpr 16
		.amdhsa_reserve_vcc 1
		.amdhsa_reserve_flat_scratch 0
		.amdhsa_float_round_mode_32 0
		.amdhsa_float_round_mode_16_64 0
		.amdhsa_float_denorm_mode_32 3
		.amdhsa_float_denorm_mode_16_64 3
		.amdhsa_dx10_clamp 1
		.amdhsa_ieee_mode 1
		.amdhsa_fp16_overflow 0
		.amdhsa_workgroup_processor_mode 1
		.amdhsa_memory_ordered 1
		.amdhsa_forward_progress 1
		.amdhsa_shared_vgpr_count 0
		.amdhsa_exception_fp_ieee_invalid_op 0
		.amdhsa_exception_fp_denorm_src 0
		.amdhsa_exception_fp_ieee_div_zero 0
		.amdhsa_exception_fp_ieee_overflow 0
		.amdhsa_exception_fp_ieee_underflow 0
		.amdhsa_exception_fp_ieee_inexact 0
		.amdhsa_exception_int_div_zero 0
	.end_amdhsa_kernel
	.text
.Lfunc_end0:
	.size	_ZN2at6native28amp_update_scale_cuda_kernelEPfPiPKfddi, .Lfunc_end0-_ZN2at6native28amp_update_scale_cuda_kernelEPfPiPKfddi
                                        ; -- End function
	.set _ZN2at6native28amp_update_scale_cuda_kernelEPfPiPKfddi.num_vgpr, 2
	.set _ZN2at6native28amp_update_scale_cuda_kernelEPfPiPKfddi.num_agpr, 0
	.set _ZN2at6native28amp_update_scale_cuda_kernelEPfPiPKfddi.numbered_sgpr, 16
	.set _ZN2at6native28amp_update_scale_cuda_kernelEPfPiPKfddi.num_named_barrier, 0
	.set _ZN2at6native28amp_update_scale_cuda_kernelEPfPiPKfddi.private_seg_size, 0
	.set _ZN2at6native28amp_update_scale_cuda_kernelEPfPiPKfddi.uses_vcc, 1
	.set _ZN2at6native28amp_update_scale_cuda_kernelEPfPiPKfddi.uses_flat_scratch, 0
	.set _ZN2at6native28amp_update_scale_cuda_kernelEPfPiPKfddi.has_dyn_sized_stack, 0
	.set _ZN2at6native28amp_update_scale_cuda_kernelEPfPiPKfddi.has_recursion, 0
	.set _ZN2at6native28amp_update_scale_cuda_kernelEPfPiPKfddi.has_indirect_call, 0
	.section	.AMDGPU.csdata,"",@progbits
; Kernel info:
; codeLenInByte = 260
; TotalNumSgprs: 18
; NumVgprs: 2
; ScratchSize: 0
; MemoryBound: 0
; FloatMode: 240
; IeeeMode: 1
; LDSByteSize: 0 bytes/workgroup (compile time only)
; SGPRBlocks: 0
; VGPRBlocks: 0
; NumSGPRsForWavesPerEU: 18
; NumVGPRsForWavesPerEU: 2
; Occupancy: 16
; WaveLimiterHint : 0
; COMPUTE_PGM_RSRC2:SCRATCH_EN: 0
; COMPUTE_PGM_RSRC2:USER_SGPR: 6
; COMPUTE_PGM_RSRC2:TRAP_HANDLER: 0
; COMPUTE_PGM_RSRC2:TGID_X_EN: 1
; COMPUTE_PGM_RSRC2:TGID_Y_EN: 0
; COMPUTE_PGM_RSRC2:TGID_Z_EN: 0
; COMPUTE_PGM_RSRC2:TIDIG_COMP_CNT: 0
	.section	.text._ZN2at6native29vectorized_elementwise_kernelILi16EZZZNS0_12_GLOBAL__N_139_amp_non_finite_check_and_unscale_cuda_ERNS_6TensorES4_RKS3_ENKUlvE_clEvENKUlvE_clEvEUldE_St5arrayIPcLm2EEEEviT0_T1_,"axG",@progbits,_ZN2at6native29vectorized_elementwise_kernelILi16EZZZNS0_12_GLOBAL__N_139_amp_non_finite_check_and_unscale_cuda_ERNS_6TensorES4_RKS3_ENKUlvE_clEvENKUlvE_clEvEUldE_St5arrayIPcLm2EEEEviT0_T1_,comdat
	.globl	_ZN2at6native29vectorized_elementwise_kernelILi16EZZZNS0_12_GLOBAL__N_139_amp_non_finite_check_and_unscale_cuda_ERNS_6TensorES4_RKS3_ENKUlvE_clEvENKUlvE_clEvEUldE_St5arrayIPcLm2EEEEviT0_T1_ ; -- Begin function _ZN2at6native29vectorized_elementwise_kernelILi16EZZZNS0_12_GLOBAL__N_139_amp_non_finite_check_and_unscale_cuda_ERNS_6TensorES4_RKS3_ENKUlvE_clEvENKUlvE_clEvEUldE_St5arrayIPcLm2EEEEviT0_T1_
	.p2align	8
	.type	_ZN2at6native29vectorized_elementwise_kernelILi16EZZZNS0_12_GLOBAL__N_139_amp_non_finite_check_and_unscale_cuda_ERNS_6TensorES4_RKS3_ENKUlvE_clEvENKUlvE_clEvEUldE_St5arrayIPcLm2EEEEviT0_T1_,@function
_ZN2at6native29vectorized_elementwise_kernelILi16EZZZNS0_12_GLOBAL__N_139_amp_non_finite_check_and_unscale_cuda_ERNS_6TensorES4_RKS3_ENKUlvE_clEvENKUlvE_clEvEUldE_St5arrayIPcLm2EEEEviT0_T1_: ; @_ZN2at6native29vectorized_elementwise_kernelILi16EZZZNS0_12_GLOBAL__N_139_amp_non_finite_check_and_unscale_cuda_ERNS_6TensorES4_RKS3_ENKUlvE_clEvENKUlvE_clEvEUldE_St5arrayIPcLm2EEEEviT0_T1_
; %bb.0:
	s_clause 0x1
	s_load_dword s0, s[4:5], 0x0
	s_load_dwordx8 s[8:15], s[4:5], 0x8
	s_lshl_b32 s4, s6, 10
	s_waitcnt lgkmcnt(0)
	s_sub_i32 s3, s0, s4
	s_mov_b32 s0, -1
	s_cmpk_gt_i32 s3, 0x3ff
	s_cbranch_scc0 .LBB1_10
; %bb.1:
	s_ashr_i32 s5, s4, 31
	v_lshlrev_b32_e32 v17, 5, v0
	s_lshl_b64 s[6:7], s[4:5], 3
	v_mov_b32_e32 v9, 0
	s_add_u32 s0, s14, s6
	s_addc_u32 s1, s15, s7
	s_clause 0x1
	global_load_dwordx4 v[5:8], v17, s[0:1]
	global_load_dwordx4 v[1:4], v17, s[0:1] offset:16
	s_mov_b32 s0, exec_lo
	s_waitcnt vmcnt(1)
	v_cvt_f32_f64_e32 v10, v[5:6]
	v_cmpx_nlg_f32_e64 0x7f800000, |v10|
	s_cbranch_execz .LBB1_3
; %bb.2:
	v_mov_b32_e32 v10, 1.0
	global_store_dword v9, v10, s[8:9]
.LBB1_3:
	s_or_b32 exec_lo, exec_lo, s0
	global_load_dword v18, v9, s[10:11]
	v_cvt_f32_f64_e32 v11, v[7:8]
	v_cmp_nlg_f32_e64 s1, 0x7f800000, |v11|
	s_waitcnt vmcnt(0)
	v_cvt_f64_f32_e32 v[9:10], v18
	v_mov_b32_e32 v19, v18
	v_mov_b32_e32 v12, v10
	;; [unrolled: 1-line block ×3, first 2 shown]
	s_and_saveexec_b32 s0, s1
	s_cbranch_execz .LBB1_5
; %bb.4:
	v_mov_b32_e32 v11, 0
	v_mov_b32_e32 v12, 1.0
	global_store_dword v11, v12, s[8:9]
	global_load_dword v19, v11, s[10:11]
	s_waitcnt vmcnt(0)
	v_cvt_f64_f32_e32 v[11:12], v19
.LBB1_5:
	s_or_b32 exec_lo, exec_lo, s0
	v_cvt_f32_f64_e32 v15, v[1:2]
	v_mov_b32_e32 v14, v12
	v_mov_b32_e32 v13, v11
	;; [unrolled: 1-line block ×3, first 2 shown]
	s_mov_b32 s0, exec_lo
	v_cmpx_nlg_f32_e64 0x7f800000, |v15|
	s_cbranch_execz .LBB1_7
; %bb.6:
	v_mov_b32_e32 v13, 0
	v_mov_b32_e32 v14, 1.0
	global_store_dword v13, v14, s[8:9]
	global_load_dword v20, v13, s[10:11]
	s_waitcnt vmcnt(0)
	v_cvt_f64_f32_e32 v[13:14], v20
.LBB1_7:
	s_or_b32 exec_lo, exec_lo, s0
	v_cvt_f32_f64_e32 v21, v[3:4]
	v_mov_b32_e32 v16, v14
	v_mov_b32_e32 v15, v13
	v_cmp_nlg_f32_e64 s1, 0x7f800000, |v21|
	v_mov_b32_e32 v21, v20
	s_and_saveexec_b32 s0, s1
	s_cbranch_execz .LBB1_9
; %bb.8:
	v_mov_b32_e32 v15, 0
	v_mov_b32_e32 v16, 1.0
	global_store_dword v15, v16, s[8:9]
	global_load_dword v21, v15, s[10:11]
	s_waitcnt vmcnt(0)
	v_cvt_f64_f32_e32 v[15:16], v21
.LBB1_9:
	s_or_b32 exec_lo, exec_lo, s0
	v_mul_f64 v[11:12], v[7:8], v[11:12]
	v_mul_f64 v[9:10], v[5:6], v[9:10]
	;; [unrolled: 1-line block ×4, first 2 shown]
	v_cmp_eq_f32_e64 s0, 1.0, v19
	v_cmp_eq_f32_e64 s1, 1.0, v18
	v_cmp_eq_f32_e32 vcc_lo, 1.0, v20
	v_cmp_eq_f32_e64 s2, 1.0, v21
	s_add_u32 s6, s12, s6
	s_addc_u32 s7, s13, s7
	v_cndmask_b32_e64 v8, v12, v8, s0
	v_cndmask_b32_e64 v7, v11, v7, s0
	;; [unrolled: 1-line block ×4, first 2 shown]
	v_cndmask_b32_e32 v2, v14, v2, vcc_lo
	v_cndmask_b32_e32 v1, v13, v1, vcc_lo
	v_cndmask_b32_e64 v4, v16, v4, s2
	v_cndmask_b32_e64 v3, v15, v3, s2
	s_mov_b32 s0, 0
	global_store_dwordx4 v17, v[5:8], s[6:7]
	global_store_dwordx4 v17, v[1:4], s[6:7] offset:16
.LBB1_10:
	s_and_b32 vcc_lo, exec_lo, s0
	s_cbranch_vccz .LBB1_37
; %bb.11:
	v_mov_b32_e32 v11, 0
	v_mov_b32_e32 v17, 0
	v_cmp_gt_i32_e32 vcc_lo, s3, v0
	v_mov_b32_e32 v12, 0
	v_or_b32_e32 v1, s4, v0
	v_or_b32_e32 v19, 0x100, v0
	v_mov_b32_e32 v18, 0
	v_mov_b32_e32 v2, v0
	s_and_saveexec_b32 s1, vcc_lo
	s_cbranch_execz .LBB1_13
; %bb.12:
	v_mov_b32_e32 v2, 0
	v_lshlrev_b64 v[2:3], 3, v[1:2]
	v_add_co_u32 v2, s0, s14, v2
	v_add_co_ci_u32_e64 v3, null, s15, v3, s0
	global_load_dwordx2 v[17:18], v[2:3], off
	v_or_b32_e32 v2, 0x100, v0
.LBB1_13:
	s_or_b32 exec_lo, exec_lo, s1
	s_mov_b32 s1, exec_lo
	v_cmpx_gt_i32_e64 s3, v2
	s_cbranch_execz .LBB1_15
; %bb.14:
	v_add_nc_u32_e32 v3, s4, v2
	v_mov_b32_e32 v4, 0
	v_add_nc_u32_e32 v2, 0x100, v2
	v_lshlrev_b64 v[3:4], 3, v[3:4]
	v_add_co_u32 v3, s0, s14, v3
	v_add_co_ci_u32_e64 v4, null, s15, v4, s0
	global_load_dwordx2 v[11:12], v[3:4], off
.LBB1_15:
	s_or_b32 exec_lo, exec_lo, s1
	v_mov_b32_e32 v5, 0
	v_mov_b32_e32 v15, 0
	;; [unrolled: 1-line block ×4, first 2 shown]
	s_mov_b32 s1, exec_lo
	v_cmpx_gt_i32_e64 s3, v2
	s_cbranch_execz .LBB1_17
; %bb.16:
	v_add_nc_u32_e32 v3, s4, v2
	v_mov_b32_e32 v4, 0
	v_add_nc_u32_e32 v2, 0x100, v2
	v_lshlrev_b64 v[3:4], 3, v[3:4]
	v_add_co_u32 v3, s0, s14, v3
	v_add_co_ci_u32_e64 v4, null, s15, v4, s0
	global_load_dwordx2 v[15:16], v[3:4], off
.LBB1_17:
	s_or_b32 exec_lo, exec_lo, s1
	s_mov_b32 s1, exec_lo
	v_cmpx_gt_i32_e64 s3, v2
	s_cbranch_execz .LBB1_19
; %bb.18:
	v_add_nc_u32_e32 v2, s4, v2
	v_mov_b32_e32 v3, 0
	v_lshlrev_b64 v[2:3], 3, v[2:3]
	v_add_co_u32 v2, s0, s14, v2
	v_add_co_ci_u32_e64 v3, null, s15, v3, s0
	global_load_dwordx2 v[5:6], v[2:3], off
.LBB1_19:
	s_or_b32 exec_lo, exec_lo, s1
	v_mov_b32_e32 v13, 0
	v_mov_b32_e32 v14, v13
	;; [unrolled: 1-line block ×8, first 2 shown]
	s_and_saveexec_b32 s1, vcc_lo
	s_cbranch_execz .LBB1_23
; %bb.20:
	s_waitcnt vmcnt(0)
	v_cvt_f32_f64_e32 v2, v[17:18]
	s_mov_b32 s0, exec_lo
	v_cmpx_nlg_f32_e64 0x7f800000, |v2|
	s_cbranch_execz .LBB1_22
; %bb.21:
	v_mov_b32_e32 v2, 0
	v_mov_b32_e32 v3, 1.0
	global_store_dword v2, v3, s[8:9]
.LBB1_22:
	s_or_b32 exec_lo, exec_lo, s0
	v_mov_b32_e32 v9, 0
	global_load_dword v4, v9, s[10:11]
	v_mov_b32_e32 v10, v9
	v_mov_b32_e32 v7, v9
	;; [unrolled: 1-line block ×3, first 2 shown]
	s_waitcnt vmcnt(0)
	v_cvt_f64_f32_e32 v[2:3], v4
	v_cmp_eq_f32_e64 s0, 1.0, v4
	v_mov_b32_e32 v4, v9
	v_mul_f64 v[13:14], v[17:18], v[2:3]
	v_mov_b32_e32 v3, v9
	v_cndmask_b32_e64 v14, v14, v18, s0
	v_cndmask_b32_e64 v13, v13, v17, s0
.LBB1_23:
	s_or_b32 exec_lo, exec_lo, s1
	s_mov_b32 s1, exec_lo
	v_cmpx_gt_i32_e64 s3, v19
	s_cbranch_execz .LBB1_27
; %bb.24:
	s_waitcnt vmcnt(0)
	v_cvt_f32_f64_e32 v2, v[11:12]
	s_mov_b32 s0, exec_lo
	v_cmpx_nlg_f32_e64 0x7f800000, |v2|
	s_cbranch_execz .LBB1_26
; %bb.25:
	v_mov_b32_e32 v2, 0
	v_mov_b32_e32 v9, 1.0
	global_store_dword v2, v9, s[8:9]
.LBB1_26:
	s_or_b32 exec_lo, exec_lo, s0
	v_mov_b32_e32 v2, 0
	global_load_dword v2, v2, s[10:11]
	s_waitcnt vmcnt(0)
	v_cvt_f64_f32_e32 v[9:10], v2
	v_cmp_eq_f32_e64 s0, 1.0, v2
	v_mul_f64 v[9:10], v[11:12], v[9:10]
	v_cndmask_b32_e64 v10, v10, v12, s0
	v_cndmask_b32_e64 v9, v9, v11, s0
.LBB1_27:
	s_or_b32 exec_lo, exec_lo, s1
	v_or_b32_e32 v2, 0x200, v0
	s_mov_b32 s1, exec_lo
	v_cmpx_gt_i32_e64 s3, v2
	s_cbranch_execz .LBB1_31
; %bb.28:
	s_waitcnt vmcnt(0)
	v_cvt_f32_f64_e32 v2, v[15:16]
	s_mov_b32 s0, exec_lo
	v_cmpx_nlg_f32_e64 0x7f800000, |v2|
	s_cbranch_execz .LBB1_30
; %bb.29:
	v_mov_b32_e32 v2, 0
	v_mov_b32_e32 v7, 1.0
	global_store_dword v2, v7, s[8:9]
.LBB1_30:
	s_or_b32 exec_lo, exec_lo, s0
	v_mov_b32_e32 v2, 0
	global_load_dword v2, v2, s[10:11]
	s_waitcnt vmcnt(0)
	v_cvt_f64_f32_e32 v[7:8], v2
	v_cmp_eq_f32_e64 s0, 1.0, v2
	v_mul_f64 v[7:8], v[15:16], v[7:8]
	v_cndmask_b32_e64 v8, v8, v16, s0
	v_cndmask_b32_e64 v7, v7, v15, s0
.LBB1_31:
	s_or_b32 exec_lo, exec_lo, s1
	v_or_b32_e32 v2, 0x300, v0
	s_mov_b32 s1, exec_lo
	v_cmpx_gt_i32_e64 s3, v2
	s_cbranch_execnz .LBB1_38
; %bb.32:
	s_or_b32 exec_lo, exec_lo, s1
	s_and_saveexec_b32 s0, vcc_lo
	s_xor_b32 s0, exec_lo, s0
	s_cbranch_execnz .LBB1_41
.LBB1_33:
	s_or_b32 exec_lo, exec_lo, s0
	s_mov_b32 s0, exec_lo
	v_cmpx_gt_i32_e64 s3, v0
	s_cbranch_execnz .LBB1_42
.LBB1_34:
	s_or_b32 exec_lo, exec_lo, s0
	s_mov_b32 s0, exec_lo
	v_cmpx_gt_i32_e64 s3, v0
	s_cbranch_execnz .LBB1_43
.LBB1_35:
	s_or_b32 exec_lo, exec_lo, s0
	s_mov_b32 s0, exec_lo
	v_cmpx_gt_i32_e64 s3, v0
	s_cbranch_execz .LBB1_37
.LBB1_36:
	v_add_nc_u32_e32 v0, s4, v0
	v_mov_b32_e32 v1, 0
	v_lshlrev_b64 v[0:1], 3, v[0:1]
	v_add_co_u32 v0, vcc_lo, s12, v0
	v_add_co_ci_u32_e64 v1, null, s13, v1, vcc_lo
	global_store_dwordx2 v[0:1], v[3:4], off
.LBB1_37:
	s_endpgm
.LBB1_38:
	s_waitcnt vmcnt(0)
	v_cvt_f32_f64_e32 v2, v[5:6]
	s_mov_b32 s0, exec_lo
	v_cmpx_nlg_f32_e64 0x7f800000, |v2|
	s_cbranch_execz .LBB1_40
; %bb.39:
	v_mov_b32_e32 v2, 0
	v_mov_b32_e32 v3, 1.0
	global_store_dword v2, v3, s[8:9]
.LBB1_40:
	s_or_b32 exec_lo, exec_lo, s0
	v_mov_b32_e32 v2, 0
	global_load_dword v4, v2, s[10:11]
	s_waitcnt vmcnt(0)
	v_cvt_f64_f32_e32 v[2:3], v4
	v_cmp_eq_f32_e64 s0, 1.0, v4
	v_mul_f64 v[2:3], v[5:6], v[2:3]
	v_cndmask_b32_e64 v4, v3, v6, s0
	v_cndmask_b32_e64 v3, v2, v5, s0
	s_or_b32 exec_lo, exec_lo, s1
	s_and_saveexec_b32 s0, vcc_lo
	s_xor_b32 s0, exec_lo, s0
	s_cbranch_execz .LBB1_33
.LBB1_41:
	v_mov_b32_e32 v2, 0
	v_lshlrev_b64 v[0:1], 3, v[1:2]
	s_waitcnt vmcnt(0)
	v_add_co_u32 v5, vcc_lo, s12, v0
	v_add_co_ci_u32_e64 v6, null, s13, v1, vcc_lo
	v_mov_b32_e32 v0, v19
	global_store_dwordx2 v[5:6], v[13:14], off
	s_or_b32 exec_lo, exec_lo, s0
	s_mov_b32 s0, exec_lo
	v_cmpx_gt_i32_e64 s3, v0
	s_cbranch_execz .LBB1_34
.LBB1_42:
	v_add_nc_u32_e32 v1, s4, v0
	v_mov_b32_e32 v2, 0
	v_add_nc_u32_e32 v0, 0x100, v0
	v_lshlrev_b64 v[1:2], 3, v[1:2]
	v_add_co_u32 v1, vcc_lo, s12, v1
	v_add_co_ci_u32_e64 v2, null, s13, v2, vcc_lo
	global_store_dwordx2 v[1:2], v[9:10], off
	s_or_b32 exec_lo, exec_lo, s0
	s_mov_b32 s0, exec_lo
	v_cmpx_gt_i32_e64 s3, v0
	s_cbranch_execz .LBB1_35
.LBB1_43:
	v_add_nc_u32_e32 v1, s4, v0
	v_mov_b32_e32 v2, 0
	v_add_nc_u32_e32 v0, 0x100, v0
	v_lshlrev_b64 v[1:2], 3, v[1:2]
	v_add_co_u32 v1, vcc_lo, s12, v1
	v_add_co_ci_u32_e64 v2, null, s13, v2, vcc_lo
	global_store_dwordx2 v[1:2], v[7:8], off
	s_or_b32 exec_lo, exec_lo, s0
	s_mov_b32 s0, exec_lo
	v_cmpx_gt_i32_e64 s3, v0
	s_cbranch_execnz .LBB1_36
	s_branch .LBB1_37
	.section	.rodata,"a",@progbits
	.p2align	6, 0x0
	.amdhsa_kernel _ZN2at6native29vectorized_elementwise_kernelILi16EZZZNS0_12_GLOBAL__N_139_amp_non_finite_check_and_unscale_cuda_ERNS_6TensorES4_RKS3_ENKUlvE_clEvENKUlvE_clEvEUldE_St5arrayIPcLm2EEEEviT0_T1_
		.amdhsa_group_segment_fixed_size 0
		.amdhsa_private_segment_fixed_size 0
		.amdhsa_kernarg_size 40
		.amdhsa_user_sgpr_count 6
		.amdhsa_user_sgpr_private_segment_buffer 1
		.amdhsa_user_sgpr_dispatch_ptr 0
		.amdhsa_user_sgpr_queue_ptr 0
		.amdhsa_user_sgpr_kernarg_segment_ptr 1
		.amdhsa_user_sgpr_dispatch_id 0
		.amdhsa_user_sgpr_flat_scratch_init 0
		.amdhsa_user_sgpr_private_segment_size 0
		.amdhsa_wavefront_size32 1
		.amdhsa_uses_dynamic_stack 0
		.amdhsa_system_sgpr_private_segment_wavefront_offset 0
		.amdhsa_system_sgpr_workgroup_id_x 1
		.amdhsa_system_sgpr_workgroup_id_y 0
		.amdhsa_system_sgpr_workgroup_id_z 0
		.amdhsa_system_sgpr_workgroup_info 0
		.amdhsa_system_vgpr_workitem_id 0
		.amdhsa_next_free_vgpr 22
		.amdhsa_next_free_sgpr 16
		.amdhsa_reserve_vcc 1
		.amdhsa_reserve_flat_scratch 0
		.amdhsa_float_round_mode_32 0
		.amdhsa_float_round_mode_16_64 0
		.amdhsa_float_denorm_mode_32 3
		.amdhsa_float_denorm_mode_16_64 3
		.amdhsa_dx10_clamp 1
		.amdhsa_ieee_mode 1
		.amdhsa_fp16_overflow 0
		.amdhsa_workgroup_processor_mode 1
		.amdhsa_memory_ordered 1
		.amdhsa_forward_progress 1
		.amdhsa_shared_vgpr_count 0
		.amdhsa_exception_fp_ieee_invalid_op 0
		.amdhsa_exception_fp_denorm_src 0
		.amdhsa_exception_fp_ieee_div_zero 0
		.amdhsa_exception_fp_ieee_overflow 0
		.amdhsa_exception_fp_ieee_underflow 0
		.amdhsa_exception_fp_ieee_inexact 0
		.amdhsa_exception_int_div_zero 0
	.end_amdhsa_kernel
	.section	.text._ZN2at6native29vectorized_elementwise_kernelILi16EZZZNS0_12_GLOBAL__N_139_amp_non_finite_check_and_unscale_cuda_ERNS_6TensorES4_RKS3_ENKUlvE_clEvENKUlvE_clEvEUldE_St5arrayIPcLm2EEEEviT0_T1_,"axG",@progbits,_ZN2at6native29vectorized_elementwise_kernelILi16EZZZNS0_12_GLOBAL__N_139_amp_non_finite_check_and_unscale_cuda_ERNS_6TensorES4_RKS3_ENKUlvE_clEvENKUlvE_clEvEUldE_St5arrayIPcLm2EEEEviT0_T1_,comdat
.Lfunc_end1:
	.size	_ZN2at6native29vectorized_elementwise_kernelILi16EZZZNS0_12_GLOBAL__N_139_amp_non_finite_check_and_unscale_cuda_ERNS_6TensorES4_RKS3_ENKUlvE_clEvENKUlvE_clEvEUldE_St5arrayIPcLm2EEEEviT0_T1_, .Lfunc_end1-_ZN2at6native29vectorized_elementwise_kernelILi16EZZZNS0_12_GLOBAL__N_139_amp_non_finite_check_and_unscale_cuda_ERNS_6TensorES4_RKS3_ENKUlvE_clEvENKUlvE_clEvEUldE_St5arrayIPcLm2EEEEviT0_T1_
                                        ; -- End function
	.set _ZN2at6native29vectorized_elementwise_kernelILi16EZZZNS0_12_GLOBAL__N_139_amp_non_finite_check_and_unscale_cuda_ERNS_6TensorES4_RKS3_ENKUlvE_clEvENKUlvE_clEvEUldE_St5arrayIPcLm2EEEEviT0_T1_.num_vgpr, 22
	.set _ZN2at6native29vectorized_elementwise_kernelILi16EZZZNS0_12_GLOBAL__N_139_amp_non_finite_check_and_unscale_cuda_ERNS_6TensorES4_RKS3_ENKUlvE_clEvENKUlvE_clEvEUldE_St5arrayIPcLm2EEEEviT0_T1_.num_agpr, 0
	.set _ZN2at6native29vectorized_elementwise_kernelILi16EZZZNS0_12_GLOBAL__N_139_amp_non_finite_check_and_unscale_cuda_ERNS_6TensorES4_RKS3_ENKUlvE_clEvENKUlvE_clEvEUldE_St5arrayIPcLm2EEEEviT0_T1_.numbered_sgpr, 16
	.set _ZN2at6native29vectorized_elementwise_kernelILi16EZZZNS0_12_GLOBAL__N_139_amp_non_finite_check_and_unscale_cuda_ERNS_6TensorES4_RKS3_ENKUlvE_clEvENKUlvE_clEvEUldE_St5arrayIPcLm2EEEEviT0_T1_.num_named_barrier, 0
	.set _ZN2at6native29vectorized_elementwise_kernelILi16EZZZNS0_12_GLOBAL__N_139_amp_non_finite_check_and_unscale_cuda_ERNS_6TensorES4_RKS3_ENKUlvE_clEvENKUlvE_clEvEUldE_St5arrayIPcLm2EEEEviT0_T1_.private_seg_size, 0
	.set _ZN2at6native29vectorized_elementwise_kernelILi16EZZZNS0_12_GLOBAL__N_139_amp_non_finite_check_and_unscale_cuda_ERNS_6TensorES4_RKS3_ENKUlvE_clEvENKUlvE_clEvEUldE_St5arrayIPcLm2EEEEviT0_T1_.uses_vcc, 1
	.set _ZN2at6native29vectorized_elementwise_kernelILi16EZZZNS0_12_GLOBAL__N_139_amp_non_finite_check_and_unscale_cuda_ERNS_6TensorES4_RKS3_ENKUlvE_clEvENKUlvE_clEvEUldE_St5arrayIPcLm2EEEEviT0_T1_.uses_flat_scratch, 0
	.set _ZN2at6native29vectorized_elementwise_kernelILi16EZZZNS0_12_GLOBAL__N_139_amp_non_finite_check_and_unscale_cuda_ERNS_6TensorES4_RKS3_ENKUlvE_clEvENKUlvE_clEvEUldE_St5arrayIPcLm2EEEEviT0_T1_.has_dyn_sized_stack, 0
	.set _ZN2at6native29vectorized_elementwise_kernelILi16EZZZNS0_12_GLOBAL__N_139_amp_non_finite_check_and_unscale_cuda_ERNS_6TensorES4_RKS3_ENKUlvE_clEvENKUlvE_clEvEUldE_St5arrayIPcLm2EEEEviT0_T1_.has_recursion, 0
	.set _ZN2at6native29vectorized_elementwise_kernelILi16EZZZNS0_12_GLOBAL__N_139_amp_non_finite_check_and_unscale_cuda_ERNS_6TensorES4_RKS3_ENKUlvE_clEvENKUlvE_clEvEUldE_St5arrayIPcLm2EEEEviT0_T1_.has_indirect_call, 0
	.section	.AMDGPU.csdata,"",@progbits
; Kernel info:
; codeLenInByte = 1696
; TotalNumSgprs: 18
; NumVgprs: 22
; ScratchSize: 0
; MemoryBound: 1
; FloatMode: 240
; IeeeMode: 1
; LDSByteSize: 0 bytes/workgroup (compile time only)
; SGPRBlocks: 0
; VGPRBlocks: 2
; NumSGPRsForWavesPerEU: 18
; NumVGPRsForWavesPerEU: 22
; Occupancy: 16
; WaveLimiterHint : 0
; COMPUTE_PGM_RSRC2:SCRATCH_EN: 0
; COMPUTE_PGM_RSRC2:USER_SGPR: 6
; COMPUTE_PGM_RSRC2:TRAP_HANDLER: 0
; COMPUTE_PGM_RSRC2:TGID_X_EN: 1
; COMPUTE_PGM_RSRC2:TGID_Y_EN: 0
; COMPUTE_PGM_RSRC2:TGID_Z_EN: 0
; COMPUTE_PGM_RSRC2:TIDIG_COMP_CNT: 0
	.section	.text._ZN2at6native29vectorized_elementwise_kernelILi8EZZZNS0_12_GLOBAL__N_139_amp_non_finite_check_and_unscale_cuda_ERNS_6TensorES4_RKS3_ENKUlvE_clEvENKUlvE_clEvEUldE_St5arrayIPcLm2EEEEviT0_T1_,"axG",@progbits,_ZN2at6native29vectorized_elementwise_kernelILi8EZZZNS0_12_GLOBAL__N_139_amp_non_finite_check_and_unscale_cuda_ERNS_6TensorES4_RKS3_ENKUlvE_clEvENKUlvE_clEvEUldE_St5arrayIPcLm2EEEEviT0_T1_,comdat
	.globl	_ZN2at6native29vectorized_elementwise_kernelILi8EZZZNS0_12_GLOBAL__N_139_amp_non_finite_check_and_unscale_cuda_ERNS_6TensorES4_RKS3_ENKUlvE_clEvENKUlvE_clEvEUldE_St5arrayIPcLm2EEEEviT0_T1_ ; -- Begin function _ZN2at6native29vectorized_elementwise_kernelILi8EZZZNS0_12_GLOBAL__N_139_amp_non_finite_check_and_unscale_cuda_ERNS_6TensorES4_RKS3_ENKUlvE_clEvENKUlvE_clEvEUldE_St5arrayIPcLm2EEEEviT0_T1_
	.p2align	8
	.type	_ZN2at6native29vectorized_elementwise_kernelILi8EZZZNS0_12_GLOBAL__N_139_amp_non_finite_check_and_unscale_cuda_ERNS_6TensorES4_RKS3_ENKUlvE_clEvENKUlvE_clEvEUldE_St5arrayIPcLm2EEEEviT0_T1_,@function
_ZN2at6native29vectorized_elementwise_kernelILi8EZZZNS0_12_GLOBAL__N_139_amp_non_finite_check_and_unscale_cuda_ERNS_6TensorES4_RKS3_ENKUlvE_clEvENKUlvE_clEvEUldE_St5arrayIPcLm2EEEEviT0_T1_: ; @_ZN2at6native29vectorized_elementwise_kernelILi8EZZZNS0_12_GLOBAL__N_139_amp_non_finite_check_and_unscale_cuda_ERNS_6TensorES4_RKS3_ENKUlvE_clEvENKUlvE_clEvEUldE_St5arrayIPcLm2EEEEviT0_T1_
; %bb.0:
	s_clause 0x1
	s_load_dword s0, s[4:5], 0x0
	s_load_dwordx8 s[8:15], s[4:5], 0x8
	s_lshl_b32 s4, s6, 10
	s_waitcnt lgkmcnt(0)
	s_sub_i32 s3, s0, s4
	s_mov_b32 s0, -1
	s_cmpk_gt_i32 s3, 0x3ff
	s_cbranch_scc0 .LBB2_10
; %bb.1:
	s_ashr_i32 s5, s4, 31
	v_lshlrev_b32_e32 v17, 5, v0
	s_lshl_b64 s[6:7], s[4:5], 3
	v_mov_b32_e32 v9, 0
	s_add_u32 s0, s14, s6
	s_addc_u32 s1, s15, s7
	s_clause 0x1
	global_load_dwordx4 v[5:8], v17, s[0:1]
	global_load_dwordx4 v[1:4], v17, s[0:1] offset:16
	s_mov_b32 s0, exec_lo
	s_waitcnt vmcnt(1)
	v_cvt_f32_f64_e32 v10, v[5:6]
	v_cmpx_nlg_f32_e64 0x7f800000, |v10|
	s_cbranch_execz .LBB2_3
; %bb.2:
	v_mov_b32_e32 v10, 1.0
	global_store_dword v9, v10, s[8:9]
.LBB2_3:
	s_or_b32 exec_lo, exec_lo, s0
	global_load_dword v18, v9, s[10:11]
	v_cvt_f32_f64_e32 v11, v[7:8]
	v_cmp_nlg_f32_e64 s1, 0x7f800000, |v11|
	s_waitcnt vmcnt(0)
	v_cvt_f64_f32_e32 v[9:10], v18
	v_mov_b32_e32 v19, v18
	v_mov_b32_e32 v12, v10
	;; [unrolled: 1-line block ×3, first 2 shown]
	s_and_saveexec_b32 s0, s1
	s_cbranch_execz .LBB2_5
; %bb.4:
	v_mov_b32_e32 v11, 0
	v_mov_b32_e32 v12, 1.0
	global_store_dword v11, v12, s[8:9]
	global_load_dword v19, v11, s[10:11]
	s_waitcnt vmcnt(0)
	v_cvt_f64_f32_e32 v[11:12], v19
.LBB2_5:
	s_or_b32 exec_lo, exec_lo, s0
	v_cvt_f32_f64_e32 v15, v[1:2]
	v_mov_b32_e32 v14, v12
	v_mov_b32_e32 v13, v11
	;; [unrolled: 1-line block ×3, first 2 shown]
	s_mov_b32 s0, exec_lo
	v_cmpx_nlg_f32_e64 0x7f800000, |v15|
	s_cbranch_execz .LBB2_7
; %bb.6:
	v_mov_b32_e32 v13, 0
	v_mov_b32_e32 v14, 1.0
	global_store_dword v13, v14, s[8:9]
	global_load_dword v20, v13, s[10:11]
	s_waitcnt vmcnt(0)
	v_cvt_f64_f32_e32 v[13:14], v20
.LBB2_7:
	s_or_b32 exec_lo, exec_lo, s0
	v_cvt_f32_f64_e32 v21, v[3:4]
	v_mov_b32_e32 v16, v14
	v_mov_b32_e32 v15, v13
	v_cmp_nlg_f32_e64 s1, 0x7f800000, |v21|
	v_mov_b32_e32 v21, v20
	s_and_saveexec_b32 s0, s1
	s_cbranch_execz .LBB2_9
; %bb.8:
	v_mov_b32_e32 v15, 0
	v_mov_b32_e32 v16, 1.0
	global_store_dword v15, v16, s[8:9]
	global_load_dword v21, v15, s[10:11]
	s_waitcnt vmcnt(0)
	v_cvt_f64_f32_e32 v[15:16], v21
.LBB2_9:
	s_or_b32 exec_lo, exec_lo, s0
	v_mul_f64 v[11:12], v[7:8], v[11:12]
	v_mul_f64 v[9:10], v[5:6], v[9:10]
	;; [unrolled: 1-line block ×4, first 2 shown]
	v_cmp_eq_f32_e64 s0, 1.0, v19
	v_cmp_eq_f32_e64 s1, 1.0, v18
	v_cmp_eq_f32_e32 vcc_lo, 1.0, v20
	v_cmp_eq_f32_e64 s2, 1.0, v21
	s_add_u32 s6, s12, s6
	s_addc_u32 s7, s13, s7
	v_cndmask_b32_e64 v8, v12, v8, s0
	v_cndmask_b32_e64 v7, v11, v7, s0
	;; [unrolled: 1-line block ×4, first 2 shown]
	v_cndmask_b32_e32 v2, v14, v2, vcc_lo
	v_cndmask_b32_e32 v1, v13, v1, vcc_lo
	v_cndmask_b32_e64 v4, v16, v4, s2
	v_cndmask_b32_e64 v3, v15, v3, s2
	s_mov_b32 s0, 0
	global_store_dwordx4 v17, v[5:8], s[6:7]
	global_store_dwordx4 v17, v[1:4], s[6:7] offset:16
.LBB2_10:
	s_and_b32 vcc_lo, exec_lo, s0
	s_cbranch_vccz .LBB2_37
; %bb.11:
	v_mov_b32_e32 v11, 0
	v_mov_b32_e32 v17, 0
	v_cmp_gt_i32_e32 vcc_lo, s3, v0
	v_mov_b32_e32 v12, 0
	v_or_b32_e32 v1, s4, v0
	v_or_b32_e32 v19, 0x100, v0
	v_mov_b32_e32 v18, 0
	v_mov_b32_e32 v2, v0
	s_and_saveexec_b32 s1, vcc_lo
	s_cbranch_execz .LBB2_13
; %bb.12:
	v_mov_b32_e32 v2, 0
	v_lshlrev_b64 v[2:3], 3, v[1:2]
	v_add_co_u32 v2, s0, s14, v2
	v_add_co_ci_u32_e64 v3, null, s15, v3, s0
	global_load_dwordx2 v[17:18], v[2:3], off
	v_or_b32_e32 v2, 0x100, v0
.LBB2_13:
	s_or_b32 exec_lo, exec_lo, s1
	s_mov_b32 s1, exec_lo
	v_cmpx_gt_i32_e64 s3, v2
	s_cbranch_execz .LBB2_15
; %bb.14:
	v_add_nc_u32_e32 v3, s4, v2
	v_mov_b32_e32 v4, 0
	v_add_nc_u32_e32 v2, 0x100, v2
	v_lshlrev_b64 v[3:4], 3, v[3:4]
	v_add_co_u32 v3, s0, s14, v3
	v_add_co_ci_u32_e64 v4, null, s15, v4, s0
	global_load_dwordx2 v[11:12], v[3:4], off
.LBB2_15:
	s_or_b32 exec_lo, exec_lo, s1
	v_mov_b32_e32 v5, 0
	v_mov_b32_e32 v15, 0
	;; [unrolled: 1-line block ×4, first 2 shown]
	s_mov_b32 s1, exec_lo
	v_cmpx_gt_i32_e64 s3, v2
	s_cbranch_execz .LBB2_17
; %bb.16:
	v_add_nc_u32_e32 v3, s4, v2
	v_mov_b32_e32 v4, 0
	v_add_nc_u32_e32 v2, 0x100, v2
	v_lshlrev_b64 v[3:4], 3, v[3:4]
	v_add_co_u32 v3, s0, s14, v3
	v_add_co_ci_u32_e64 v4, null, s15, v4, s0
	global_load_dwordx2 v[15:16], v[3:4], off
.LBB2_17:
	s_or_b32 exec_lo, exec_lo, s1
	s_mov_b32 s1, exec_lo
	v_cmpx_gt_i32_e64 s3, v2
	s_cbranch_execz .LBB2_19
; %bb.18:
	v_add_nc_u32_e32 v2, s4, v2
	v_mov_b32_e32 v3, 0
	v_lshlrev_b64 v[2:3], 3, v[2:3]
	v_add_co_u32 v2, s0, s14, v2
	v_add_co_ci_u32_e64 v3, null, s15, v3, s0
	global_load_dwordx2 v[5:6], v[2:3], off
.LBB2_19:
	s_or_b32 exec_lo, exec_lo, s1
	v_mov_b32_e32 v13, 0
	v_mov_b32_e32 v14, v13
	;; [unrolled: 1-line block ×8, first 2 shown]
	s_and_saveexec_b32 s1, vcc_lo
	s_cbranch_execz .LBB2_23
; %bb.20:
	s_waitcnt vmcnt(0)
	v_cvt_f32_f64_e32 v2, v[17:18]
	s_mov_b32 s0, exec_lo
	v_cmpx_nlg_f32_e64 0x7f800000, |v2|
	s_cbranch_execz .LBB2_22
; %bb.21:
	v_mov_b32_e32 v2, 0
	v_mov_b32_e32 v3, 1.0
	global_store_dword v2, v3, s[8:9]
.LBB2_22:
	s_or_b32 exec_lo, exec_lo, s0
	v_mov_b32_e32 v9, 0
	global_load_dword v4, v9, s[10:11]
	v_mov_b32_e32 v10, v9
	v_mov_b32_e32 v7, v9
	;; [unrolled: 1-line block ×3, first 2 shown]
	s_waitcnt vmcnt(0)
	v_cvt_f64_f32_e32 v[2:3], v4
	v_cmp_eq_f32_e64 s0, 1.0, v4
	v_mov_b32_e32 v4, v9
	v_mul_f64 v[13:14], v[17:18], v[2:3]
	v_mov_b32_e32 v3, v9
	v_cndmask_b32_e64 v14, v14, v18, s0
	v_cndmask_b32_e64 v13, v13, v17, s0
.LBB2_23:
	s_or_b32 exec_lo, exec_lo, s1
	s_mov_b32 s1, exec_lo
	v_cmpx_gt_i32_e64 s3, v19
	s_cbranch_execz .LBB2_27
; %bb.24:
	s_waitcnt vmcnt(0)
	v_cvt_f32_f64_e32 v2, v[11:12]
	s_mov_b32 s0, exec_lo
	v_cmpx_nlg_f32_e64 0x7f800000, |v2|
	s_cbranch_execz .LBB2_26
; %bb.25:
	v_mov_b32_e32 v2, 0
	v_mov_b32_e32 v9, 1.0
	global_store_dword v2, v9, s[8:9]
.LBB2_26:
	s_or_b32 exec_lo, exec_lo, s0
	v_mov_b32_e32 v2, 0
	global_load_dword v2, v2, s[10:11]
	s_waitcnt vmcnt(0)
	v_cvt_f64_f32_e32 v[9:10], v2
	v_cmp_eq_f32_e64 s0, 1.0, v2
	v_mul_f64 v[9:10], v[11:12], v[9:10]
	v_cndmask_b32_e64 v10, v10, v12, s0
	v_cndmask_b32_e64 v9, v9, v11, s0
.LBB2_27:
	s_or_b32 exec_lo, exec_lo, s1
	v_or_b32_e32 v2, 0x200, v0
	s_mov_b32 s1, exec_lo
	v_cmpx_gt_i32_e64 s3, v2
	s_cbranch_execz .LBB2_31
; %bb.28:
	s_waitcnt vmcnt(0)
	v_cvt_f32_f64_e32 v2, v[15:16]
	s_mov_b32 s0, exec_lo
	v_cmpx_nlg_f32_e64 0x7f800000, |v2|
	s_cbranch_execz .LBB2_30
; %bb.29:
	v_mov_b32_e32 v2, 0
	v_mov_b32_e32 v7, 1.0
	global_store_dword v2, v7, s[8:9]
.LBB2_30:
	s_or_b32 exec_lo, exec_lo, s0
	v_mov_b32_e32 v2, 0
	global_load_dword v2, v2, s[10:11]
	s_waitcnt vmcnt(0)
	v_cvt_f64_f32_e32 v[7:8], v2
	v_cmp_eq_f32_e64 s0, 1.0, v2
	v_mul_f64 v[7:8], v[15:16], v[7:8]
	v_cndmask_b32_e64 v8, v8, v16, s0
	v_cndmask_b32_e64 v7, v7, v15, s0
.LBB2_31:
	s_or_b32 exec_lo, exec_lo, s1
	v_or_b32_e32 v2, 0x300, v0
	s_mov_b32 s1, exec_lo
	v_cmpx_gt_i32_e64 s3, v2
	s_cbranch_execnz .LBB2_38
; %bb.32:
	s_or_b32 exec_lo, exec_lo, s1
	s_and_saveexec_b32 s0, vcc_lo
	s_xor_b32 s0, exec_lo, s0
	s_cbranch_execnz .LBB2_41
.LBB2_33:
	s_or_b32 exec_lo, exec_lo, s0
	s_mov_b32 s0, exec_lo
	v_cmpx_gt_i32_e64 s3, v0
	s_cbranch_execnz .LBB2_42
.LBB2_34:
	s_or_b32 exec_lo, exec_lo, s0
	s_mov_b32 s0, exec_lo
	v_cmpx_gt_i32_e64 s3, v0
	s_cbranch_execnz .LBB2_43
.LBB2_35:
	s_or_b32 exec_lo, exec_lo, s0
	s_mov_b32 s0, exec_lo
	v_cmpx_gt_i32_e64 s3, v0
	s_cbranch_execz .LBB2_37
.LBB2_36:
	v_add_nc_u32_e32 v0, s4, v0
	v_mov_b32_e32 v1, 0
	v_lshlrev_b64 v[0:1], 3, v[0:1]
	v_add_co_u32 v0, vcc_lo, s12, v0
	v_add_co_ci_u32_e64 v1, null, s13, v1, vcc_lo
	global_store_dwordx2 v[0:1], v[3:4], off
.LBB2_37:
	s_endpgm
.LBB2_38:
	s_waitcnt vmcnt(0)
	v_cvt_f32_f64_e32 v2, v[5:6]
	s_mov_b32 s0, exec_lo
	v_cmpx_nlg_f32_e64 0x7f800000, |v2|
	s_cbranch_execz .LBB2_40
; %bb.39:
	v_mov_b32_e32 v2, 0
	v_mov_b32_e32 v3, 1.0
	global_store_dword v2, v3, s[8:9]
.LBB2_40:
	s_or_b32 exec_lo, exec_lo, s0
	v_mov_b32_e32 v2, 0
	global_load_dword v4, v2, s[10:11]
	s_waitcnt vmcnt(0)
	v_cvt_f64_f32_e32 v[2:3], v4
	v_cmp_eq_f32_e64 s0, 1.0, v4
	v_mul_f64 v[2:3], v[5:6], v[2:3]
	v_cndmask_b32_e64 v4, v3, v6, s0
	v_cndmask_b32_e64 v3, v2, v5, s0
	s_or_b32 exec_lo, exec_lo, s1
	s_and_saveexec_b32 s0, vcc_lo
	s_xor_b32 s0, exec_lo, s0
	s_cbranch_execz .LBB2_33
.LBB2_41:
	v_mov_b32_e32 v2, 0
	v_lshlrev_b64 v[0:1], 3, v[1:2]
	s_waitcnt vmcnt(0)
	v_add_co_u32 v5, vcc_lo, s12, v0
	v_add_co_ci_u32_e64 v6, null, s13, v1, vcc_lo
	v_mov_b32_e32 v0, v19
	global_store_dwordx2 v[5:6], v[13:14], off
	s_or_b32 exec_lo, exec_lo, s0
	s_mov_b32 s0, exec_lo
	v_cmpx_gt_i32_e64 s3, v0
	s_cbranch_execz .LBB2_34
.LBB2_42:
	v_add_nc_u32_e32 v1, s4, v0
	v_mov_b32_e32 v2, 0
	v_add_nc_u32_e32 v0, 0x100, v0
	v_lshlrev_b64 v[1:2], 3, v[1:2]
	v_add_co_u32 v1, vcc_lo, s12, v1
	v_add_co_ci_u32_e64 v2, null, s13, v2, vcc_lo
	global_store_dwordx2 v[1:2], v[9:10], off
	s_or_b32 exec_lo, exec_lo, s0
	s_mov_b32 s0, exec_lo
	v_cmpx_gt_i32_e64 s3, v0
	s_cbranch_execz .LBB2_35
.LBB2_43:
	v_add_nc_u32_e32 v1, s4, v0
	v_mov_b32_e32 v2, 0
	v_add_nc_u32_e32 v0, 0x100, v0
	v_lshlrev_b64 v[1:2], 3, v[1:2]
	v_add_co_u32 v1, vcc_lo, s12, v1
	v_add_co_ci_u32_e64 v2, null, s13, v2, vcc_lo
	global_store_dwordx2 v[1:2], v[7:8], off
	s_or_b32 exec_lo, exec_lo, s0
	s_mov_b32 s0, exec_lo
	v_cmpx_gt_i32_e64 s3, v0
	s_cbranch_execnz .LBB2_36
	s_branch .LBB2_37
	.section	.rodata,"a",@progbits
	.p2align	6, 0x0
	.amdhsa_kernel _ZN2at6native29vectorized_elementwise_kernelILi8EZZZNS0_12_GLOBAL__N_139_amp_non_finite_check_and_unscale_cuda_ERNS_6TensorES4_RKS3_ENKUlvE_clEvENKUlvE_clEvEUldE_St5arrayIPcLm2EEEEviT0_T1_
		.amdhsa_group_segment_fixed_size 0
		.amdhsa_private_segment_fixed_size 0
		.amdhsa_kernarg_size 40
		.amdhsa_user_sgpr_count 6
		.amdhsa_user_sgpr_private_segment_buffer 1
		.amdhsa_user_sgpr_dispatch_ptr 0
		.amdhsa_user_sgpr_queue_ptr 0
		.amdhsa_user_sgpr_kernarg_segment_ptr 1
		.amdhsa_user_sgpr_dispatch_id 0
		.amdhsa_user_sgpr_flat_scratch_init 0
		.amdhsa_user_sgpr_private_segment_size 0
		.amdhsa_wavefront_size32 1
		.amdhsa_uses_dynamic_stack 0
		.amdhsa_system_sgpr_private_segment_wavefront_offset 0
		.amdhsa_system_sgpr_workgroup_id_x 1
		.amdhsa_system_sgpr_workgroup_id_y 0
		.amdhsa_system_sgpr_workgroup_id_z 0
		.amdhsa_system_sgpr_workgroup_info 0
		.amdhsa_system_vgpr_workitem_id 0
		.amdhsa_next_free_vgpr 22
		.amdhsa_next_free_sgpr 16
		.amdhsa_reserve_vcc 1
		.amdhsa_reserve_flat_scratch 0
		.amdhsa_float_round_mode_32 0
		.amdhsa_float_round_mode_16_64 0
		.amdhsa_float_denorm_mode_32 3
		.amdhsa_float_denorm_mode_16_64 3
		.amdhsa_dx10_clamp 1
		.amdhsa_ieee_mode 1
		.amdhsa_fp16_overflow 0
		.amdhsa_workgroup_processor_mode 1
		.amdhsa_memory_ordered 1
		.amdhsa_forward_progress 1
		.amdhsa_shared_vgpr_count 0
		.amdhsa_exception_fp_ieee_invalid_op 0
		.amdhsa_exception_fp_denorm_src 0
		.amdhsa_exception_fp_ieee_div_zero 0
		.amdhsa_exception_fp_ieee_overflow 0
		.amdhsa_exception_fp_ieee_underflow 0
		.amdhsa_exception_fp_ieee_inexact 0
		.amdhsa_exception_int_div_zero 0
	.end_amdhsa_kernel
	.section	.text._ZN2at6native29vectorized_elementwise_kernelILi8EZZZNS0_12_GLOBAL__N_139_amp_non_finite_check_and_unscale_cuda_ERNS_6TensorES4_RKS3_ENKUlvE_clEvENKUlvE_clEvEUldE_St5arrayIPcLm2EEEEviT0_T1_,"axG",@progbits,_ZN2at6native29vectorized_elementwise_kernelILi8EZZZNS0_12_GLOBAL__N_139_amp_non_finite_check_and_unscale_cuda_ERNS_6TensorES4_RKS3_ENKUlvE_clEvENKUlvE_clEvEUldE_St5arrayIPcLm2EEEEviT0_T1_,comdat
.Lfunc_end2:
	.size	_ZN2at6native29vectorized_elementwise_kernelILi8EZZZNS0_12_GLOBAL__N_139_amp_non_finite_check_and_unscale_cuda_ERNS_6TensorES4_RKS3_ENKUlvE_clEvENKUlvE_clEvEUldE_St5arrayIPcLm2EEEEviT0_T1_, .Lfunc_end2-_ZN2at6native29vectorized_elementwise_kernelILi8EZZZNS0_12_GLOBAL__N_139_amp_non_finite_check_and_unscale_cuda_ERNS_6TensorES4_RKS3_ENKUlvE_clEvENKUlvE_clEvEUldE_St5arrayIPcLm2EEEEviT0_T1_
                                        ; -- End function
	.set _ZN2at6native29vectorized_elementwise_kernelILi8EZZZNS0_12_GLOBAL__N_139_amp_non_finite_check_and_unscale_cuda_ERNS_6TensorES4_RKS3_ENKUlvE_clEvENKUlvE_clEvEUldE_St5arrayIPcLm2EEEEviT0_T1_.num_vgpr, 22
	.set _ZN2at6native29vectorized_elementwise_kernelILi8EZZZNS0_12_GLOBAL__N_139_amp_non_finite_check_and_unscale_cuda_ERNS_6TensorES4_RKS3_ENKUlvE_clEvENKUlvE_clEvEUldE_St5arrayIPcLm2EEEEviT0_T1_.num_agpr, 0
	.set _ZN2at6native29vectorized_elementwise_kernelILi8EZZZNS0_12_GLOBAL__N_139_amp_non_finite_check_and_unscale_cuda_ERNS_6TensorES4_RKS3_ENKUlvE_clEvENKUlvE_clEvEUldE_St5arrayIPcLm2EEEEviT0_T1_.numbered_sgpr, 16
	.set _ZN2at6native29vectorized_elementwise_kernelILi8EZZZNS0_12_GLOBAL__N_139_amp_non_finite_check_and_unscale_cuda_ERNS_6TensorES4_RKS3_ENKUlvE_clEvENKUlvE_clEvEUldE_St5arrayIPcLm2EEEEviT0_T1_.num_named_barrier, 0
	.set _ZN2at6native29vectorized_elementwise_kernelILi8EZZZNS0_12_GLOBAL__N_139_amp_non_finite_check_and_unscale_cuda_ERNS_6TensorES4_RKS3_ENKUlvE_clEvENKUlvE_clEvEUldE_St5arrayIPcLm2EEEEviT0_T1_.private_seg_size, 0
	.set _ZN2at6native29vectorized_elementwise_kernelILi8EZZZNS0_12_GLOBAL__N_139_amp_non_finite_check_and_unscale_cuda_ERNS_6TensorES4_RKS3_ENKUlvE_clEvENKUlvE_clEvEUldE_St5arrayIPcLm2EEEEviT0_T1_.uses_vcc, 1
	.set _ZN2at6native29vectorized_elementwise_kernelILi8EZZZNS0_12_GLOBAL__N_139_amp_non_finite_check_and_unscale_cuda_ERNS_6TensorES4_RKS3_ENKUlvE_clEvENKUlvE_clEvEUldE_St5arrayIPcLm2EEEEviT0_T1_.uses_flat_scratch, 0
	.set _ZN2at6native29vectorized_elementwise_kernelILi8EZZZNS0_12_GLOBAL__N_139_amp_non_finite_check_and_unscale_cuda_ERNS_6TensorES4_RKS3_ENKUlvE_clEvENKUlvE_clEvEUldE_St5arrayIPcLm2EEEEviT0_T1_.has_dyn_sized_stack, 0
	.set _ZN2at6native29vectorized_elementwise_kernelILi8EZZZNS0_12_GLOBAL__N_139_amp_non_finite_check_and_unscale_cuda_ERNS_6TensorES4_RKS3_ENKUlvE_clEvENKUlvE_clEvEUldE_St5arrayIPcLm2EEEEviT0_T1_.has_recursion, 0
	.set _ZN2at6native29vectorized_elementwise_kernelILi8EZZZNS0_12_GLOBAL__N_139_amp_non_finite_check_and_unscale_cuda_ERNS_6TensorES4_RKS3_ENKUlvE_clEvENKUlvE_clEvEUldE_St5arrayIPcLm2EEEEviT0_T1_.has_indirect_call, 0
	.section	.AMDGPU.csdata,"",@progbits
; Kernel info:
; codeLenInByte = 1696
; TotalNumSgprs: 18
; NumVgprs: 22
; ScratchSize: 0
; MemoryBound: 1
; FloatMode: 240
; IeeeMode: 1
; LDSByteSize: 0 bytes/workgroup (compile time only)
; SGPRBlocks: 0
; VGPRBlocks: 2
; NumSGPRsForWavesPerEU: 18
; NumVGPRsForWavesPerEU: 22
; Occupancy: 16
; WaveLimiterHint : 0
; COMPUTE_PGM_RSRC2:SCRATCH_EN: 0
; COMPUTE_PGM_RSRC2:USER_SGPR: 6
; COMPUTE_PGM_RSRC2:TRAP_HANDLER: 0
; COMPUTE_PGM_RSRC2:TGID_X_EN: 1
; COMPUTE_PGM_RSRC2:TGID_Y_EN: 0
; COMPUTE_PGM_RSRC2:TGID_Z_EN: 0
; COMPUTE_PGM_RSRC2:TIDIG_COMP_CNT: 0
	.section	.text._ZN2at6native29vectorized_elementwise_kernelILi4EZZZNS0_12_GLOBAL__N_139_amp_non_finite_check_and_unscale_cuda_ERNS_6TensorES4_RKS3_ENKUlvE_clEvENKUlvE_clEvEUldE_St5arrayIPcLm2EEEEviT0_T1_,"axG",@progbits,_ZN2at6native29vectorized_elementwise_kernelILi4EZZZNS0_12_GLOBAL__N_139_amp_non_finite_check_and_unscale_cuda_ERNS_6TensorES4_RKS3_ENKUlvE_clEvENKUlvE_clEvEUldE_St5arrayIPcLm2EEEEviT0_T1_,comdat
	.globl	_ZN2at6native29vectorized_elementwise_kernelILi4EZZZNS0_12_GLOBAL__N_139_amp_non_finite_check_and_unscale_cuda_ERNS_6TensorES4_RKS3_ENKUlvE_clEvENKUlvE_clEvEUldE_St5arrayIPcLm2EEEEviT0_T1_ ; -- Begin function _ZN2at6native29vectorized_elementwise_kernelILi4EZZZNS0_12_GLOBAL__N_139_amp_non_finite_check_and_unscale_cuda_ERNS_6TensorES4_RKS3_ENKUlvE_clEvENKUlvE_clEvEUldE_St5arrayIPcLm2EEEEviT0_T1_
	.p2align	8
	.type	_ZN2at6native29vectorized_elementwise_kernelILi4EZZZNS0_12_GLOBAL__N_139_amp_non_finite_check_and_unscale_cuda_ERNS_6TensorES4_RKS3_ENKUlvE_clEvENKUlvE_clEvEUldE_St5arrayIPcLm2EEEEviT0_T1_,@function
_ZN2at6native29vectorized_elementwise_kernelILi4EZZZNS0_12_GLOBAL__N_139_amp_non_finite_check_and_unscale_cuda_ERNS_6TensorES4_RKS3_ENKUlvE_clEvENKUlvE_clEvEUldE_St5arrayIPcLm2EEEEviT0_T1_: ; @_ZN2at6native29vectorized_elementwise_kernelILi4EZZZNS0_12_GLOBAL__N_139_amp_non_finite_check_and_unscale_cuda_ERNS_6TensorES4_RKS3_ENKUlvE_clEvENKUlvE_clEvEUldE_St5arrayIPcLm2EEEEviT0_T1_
; %bb.0:
	s_clause 0x1
	s_load_dword s0, s[4:5], 0x0
	s_load_dwordx8 s[8:15], s[4:5], 0x8
	s_lshl_b32 s4, s6, 10
	s_waitcnt lgkmcnt(0)
	s_sub_i32 s3, s0, s4
	s_mov_b32 s0, -1
	s_cmpk_gt_i32 s3, 0x3ff
	s_cbranch_scc0 .LBB3_10
; %bb.1:
	s_ashr_i32 s5, s4, 31
	v_lshlrev_b32_e32 v17, 5, v0
	s_lshl_b64 s[6:7], s[4:5], 3
	v_mov_b32_e32 v9, 0
	s_add_u32 s0, s14, s6
	s_addc_u32 s1, s15, s7
	s_clause 0x1
	global_load_dwordx4 v[5:8], v17, s[0:1]
	global_load_dwordx4 v[1:4], v17, s[0:1] offset:16
	s_mov_b32 s0, exec_lo
	s_waitcnt vmcnt(1)
	v_cvt_f32_f64_e32 v10, v[5:6]
	v_cmpx_nlg_f32_e64 0x7f800000, |v10|
	s_cbranch_execz .LBB3_3
; %bb.2:
	v_mov_b32_e32 v10, 1.0
	global_store_dword v9, v10, s[8:9]
.LBB3_3:
	s_or_b32 exec_lo, exec_lo, s0
	global_load_dword v18, v9, s[10:11]
	v_cvt_f32_f64_e32 v11, v[7:8]
	v_cmp_nlg_f32_e64 s1, 0x7f800000, |v11|
	s_waitcnt vmcnt(0)
	v_cvt_f64_f32_e32 v[9:10], v18
	v_mov_b32_e32 v19, v18
	v_mov_b32_e32 v12, v10
	v_mov_b32_e32 v11, v9
	s_and_saveexec_b32 s0, s1
	s_cbranch_execz .LBB3_5
; %bb.4:
	v_mov_b32_e32 v11, 0
	v_mov_b32_e32 v12, 1.0
	global_store_dword v11, v12, s[8:9]
	global_load_dword v19, v11, s[10:11]
	s_waitcnt vmcnt(0)
	v_cvt_f64_f32_e32 v[11:12], v19
.LBB3_5:
	s_or_b32 exec_lo, exec_lo, s0
	v_cvt_f32_f64_e32 v15, v[1:2]
	v_mov_b32_e32 v14, v12
	v_mov_b32_e32 v13, v11
	;; [unrolled: 1-line block ×3, first 2 shown]
	s_mov_b32 s0, exec_lo
	v_cmpx_nlg_f32_e64 0x7f800000, |v15|
	s_cbranch_execz .LBB3_7
; %bb.6:
	v_mov_b32_e32 v13, 0
	v_mov_b32_e32 v14, 1.0
	global_store_dword v13, v14, s[8:9]
	global_load_dword v20, v13, s[10:11]
	s_waitcnt vmcnt(0)
	v_cvt_f64_f32_e32 v[13:14], v20
.LBB3_7:
	s_or_b32 exec_lo, exec_lo, s0
	v_cvt_f32_f64_e32 v21, v[3:4]
	v_mov_b32_e32 v16, v14
	v_mov_b32_e32 v15, v13
	v_cmp_nlg_f32_e64 s1, 0x7f800000, |v21|
	v_mov_b32_e32 v21, v20
	s_and_saveexec_b32 s0, s1
	s_cbranch_execz .LBB3_9
; %bb.8:
	v_mov_b32_e32 v15, 0
	v_mov_b32_e32 v16, 1.0
	global_store_dword v15, v16, s[8:9]
	global_load_dword v21, v15, s[10:11]
	s_waitcnt vmcnt(0)
	v_cvt_f64_f32_e32 v[15:16], v21
.LBB3_9:
	s_or_b32 exec_lo, exec_lo, s0
	v_mul_f64 v[11:12], v[7:8], v[11:12]
	v_mul_f64 v[9:10], v[5:6], v[9:10]
	;; [unrolled: 1-line block ×4, first 2 shown]
	v_cmp_eq_f32_e64 s0, 1.0, v19
	v_cmp_eq_f32_e64 s1, 1.0, v18
	v_cmp_eq_f32_e32 vcc_lo, 1.0, v20
	v_cmp_eq_f32_e64 s2, 1.0, v21
	s_add_u32 s6, s12, s6
	s_addc_u32 s7, s13, s7
	v_cndmask_b32_e64 v8, v12, v8, s0
	v_cndmask_b32_e64 v7, v11, v7, s0
	;; [unrolled: 1-line block ×4, first 2 shown]
	v_cndmask_b32_e32 v2, v14, v2, vcc_lo
	v_cndmask_b32_e32 v1, v13, v1, vcc_lo
	v_cndmask_b32_e64 v4, v16, v4, s2
	v_cndmask_b32_e64 v3, v15, v3, s2
	s_mov_b32 s0, 0
	global_store_dwordx4 v17, v[5:8], s[6:7]
	global_store_dwordx4 v17, v[1:4], s[6:7] offset:16
.LBB3_10:
	s_and_b32 vcc_lo, exec_lo, s0
	s_cbranch_vccz .LBB3_37
; %bb.11:
	v_mov_b32_e32 v11, 0
	v_mov_b32_e32 v17, 0
	v_cmp_gt_i32_e32 vcc_lo, s3, v0
	v_mov_b32_e32 v12, 0
	v_or_b32_e32 v1, s4, v0
	v_or_b32_e32 v19, 0x100, v0
	v_mov_b32_e32 v18, 0
	v_mov_b32_e32 v2, v0
	s_and_saveexec_b32 s1, vcc_lo
	s_cbranch_execz .LBB3_13
; %bb.12:
	v_mov_b32_e32 v2, 0
	v_lshlrev_b64 v[2:3], 3, v[1:2]
	v_add_co_u32 v2, s0, s14, v2
	v_add_co_ci_u32_e64 v3, null, s15, v3, s0
	global_load_dwordx2 v[17:18], v[2:3], off
	v_or_b32_e32 v2, 0x100, v0
.LBB3_13:
	s_or_b32 exec_lo, exec_lo, s1
	s_mov_b32 s1, exec_lo
	v_cmpx_gt_i32_e64 s3, v2
	s_cbranch_execz .LBB3_15
; %bb.14:
	v_add_nc_u32_e32 v3, s4, v2
	v_mov_b32_e32 v4, 0
	v_add_nc_u32_e32 v2, 0x100, v2
	v_lshlrev_b64 v[3:4], 3, v[3:4]
	v_add_co_u32 v3, s0, s14, v3
	v_add_co_ci_u32_e64 v4, null, s15, v4, s0
	global_load_dwordx2 v[11:12], v[3:4], off
.LBB3_15:
	s_or_b32 exec_lo, exec_lo, s1
	v_mov_b32_e32 v5, 0
	v_mov_b32_e32 v15, 0
	;; [unrolled: 1-line block ×4, first 2 shown]
	s_mov_b32 s1, exec_lo
	v_cmpx_gt_i32_e64 s3, v2
	s_cbranch_execz .LBB3_17
; %bb.16:
	v_add_nc_u32_e32 v3, s4, v2
	v_mov_b32_e32 v4, 0
	v_add_nc_u32_e32 v2, 0x100, v2
	v_lshlrev_b64 v[3:4], 3, v[3:4]
	v_add_co_u32 v3, s0, s14, v3
	v_add_co_ci_u32_e64 v4, null, s15, v4, s0
	global_load_dwordx2 v[15:16], v[3:4], off
.LBB3_17:
	s_or_b32 exec_lo, exec_lo, s1
	s_mov_b32 s1, exec_lo
	v_cmpx_gt_i32_e64 s3, v2
	s_cbranch_execz .LBB3_19
; %bb.18:
	v_add_nc_u32_e32 v2, s4, v2
	v_mov_b32_e32 v3, 0
	v_lshlrev_b64 v[2:3], 3, v[2:3]
	v_add_co_u32 v2, s0, s14, v2
	v_add_co_ci_u32_e64 v3, null, s15, v3, s0
	global_load_dwordx2 v[5:6], v[2:3], off
.LBB3_19:
	s_or_b32 exec_lo, exec_lo, s1
	v_mov_b32_e32 v13, 0
	v_mov_b32_e32 v14, v13
	;; [unrolled: 1-line block ×8, first 2 shown]
	s_and_saveexec_b32 s1, vcc_lo
	s_cbranch_execz .LBB3_23
; %bb.20:
	s_waitcnt vmcnt(0)
	v_cvt_f32_f64_e32 v2, v[17:18]
	s_mov_b32 s0, exec_lo
	v_cmpx_nlg_f32_e64 0x7f800000, |v2|
	s_cbranch_execz .LBB3_22
; %bb.21:
	v_mov_b32_e32 v2, 0
	v_mov_b32_e32 v3, 1.0
	global_store_dword v2, v3, s[8:9]
.LBB3_22:
	s_or_b32 exec_lo, exec_lo, s0
	v_mov_b32_e32 v9, 0
	global_load_dword v4, v9, s[10:11]
	v_mov_b32_e32 v10, v9
	v_mov_b32_e32 v7, v9
	;; [unrolled: 1-line block ×3, first 2 shown]
	s_waitcnt vmcnt(0)
	v_cvt_f64_f32_e32 v[2:3], v4
	v_cmp_eq_f32_e64 s0, 1.0, v4
	v_mov_b32_e32 v4, v9
	v_mul_f64 v[13:14], v[17:18], v[2:3]
	v_mov_b32_e32 v3, v9
	v_cndmask_b32_e64 v14, v14, v18, s0
	v_cndmask_b32_e64 v13, v13, v17, s0
.LBB3_23:
	s_or_b32 exec_lo, exec_lo, s1
	s_mov_b32 s1, exec_lo
	v_cmpx_gt_i32_e64 s3, v19
	s_cbranch_execz .LBB3_27
; %bb.24:
	s_waitcnt vmcnt(0)
	v_cvt_f32_f64_e32 v2, v[11:12]
	s_mov_b32 s0, exec_lo
	v_cmpx_nlg_f32_e64 0x7f800000, |v2|
	s_cbranch_execz .LBB3_26
; %bb.25:
	v_mov_b32_e32 v2, 0
	v_mov_b32_e32 v9, 1.0
	global_store_dword v2, v9, s[8:9]
.LBB3_26:
	s_or_b32 exec_lo, exec_lo, s0
	v_mov_b32_e32 v2, 0
	global_load_dword v2, v2, s[10:11]
	s_waitcnt vmcnt(0)
	v_cvt_f64_f32_e32 v[9:10], v2
	v_cmp_eq_f32_e64 s0, 1.0, v2
	v_mul_f64 v[9:10], v[11:12], v[9:10]
	v_cndmask_b32_e64 v10, v10, v12, s0
	v_cndmask_b32_e64 v9, v9, v11, s0
.LBB3_27:
	s_or_b32 exec_lo, exec_lo, s1
	v_or_b32_e32 v2, 0x200, v0
	s_mov_b32 s1, exec_lo
	v_cmpx_gt_i32_e64 s3, v2
	s_cbranch_execz .LBB3_31
; %bb.28:
	s_waitcnt vmcnt(0)
	v_cvt_f32_f64_e32 v2, v[15:16]
	s_mov_b32 s0, exec_lo
	v_cmpx_nlg_f32_e64 0x7f800000, |v2|
	s_cbranch_execz .LBB3_30
; %bb.29:
	v_mov_b32_e32 v2, 0
	v_mov_b32_e32 v7, 1.0
	global_store_dword v2, v7, s[8:9]
.LBB3_30:
	s_or_b32 exec_lo, exec_lo, s0
	v_mov_b32_e32 v2, 0
	global_load_dword v2, v2, s[10:11]
	s_waitcnt vmcnt(0)
	v_cvt_f64_f32_e32 v[7:8], v2
	v_cmp_eq_f32_e64 s0, 1.0, v2
	v_mul_f64 v[7:8], v[15:16], v[7:8]
	v_cndmask_b32_e64 v8, v8, v16, s0
	v_cndmask_b32_e64 v7, v7, v15, s0
.LBB3_31:
	s_or_b32 exec_lo, exec_lo, s1
	v_or_b32_e32 v2, 0x300, v0
	s_mov_b32 s1, exec_lo
	v_cmpx_gt_i32_e64 s3, v2
	s_cbranch_execnz .LBB3_38
; %bb.32:
	s_or_b32 exec_lo, exec_lo, s1
	s_and_saveexec_b32 s0, vcc_lo
	s_xor_b32 s0, exec_lo, s0
	s_cbranch_execnz .LBB3_41
.LBB3_33:
	s_or_b32 exec_lo, exec_lo, s0
	s_mov_b32 s0, exec_lo
	v_cmpx_gt_i32_e64 s3, v0
	s_cbranch_execnz .LBB3_42
.LBB3_34:
	s_or_b32 exec_lo, exec_lo, s0
	s_mov_b32 s0, exec_lo
	v_cmpx_gt_i32_e64 s3, v0
	s_cbranch_execnz .LBB3_43
.LBB3_35:
	s_or_b32 exec_lo, exec_lo, s0
	s_mov_b32 s0, exec_lo
	v_cmpx_gt_i32_e64 s3, v0
	s_cbranch_execz .LBB3_37
.LBB3_36:
	v_add_nc_u32_e32 v0, s4, v0
	v_mov_b32_e32 v1, 0
	v_lshlrev_b64 v[0:1], 3, v[0:1]
	v_add_co_u32 v0, vcc_lo, s12, v0
	v_add_co_ci_u32_e64 v1, null, s13, v1, vcc_lo
	global_store_dwordx2 v[0:1], v[3:4], off
.LBB3_37:
	s_endpgm
.LBB3_38:
	s_waitcnt vmcnt(0)
	v_cvt_f32_f64_e32 v2, v[5:6]
	s_mov_b32 s0, exec_lo
	v_cmpx_nlg_f32_e64 0x7f800000, |v2|
	s_cbranch_execz .LBB3_40
; %bb.39:
	v_mov_b32_e32 v2, 0
	v_mov_b32_e32 v3, 1.0
	global_store_dword v2, v3, s[8:9]
.LBB3_40:
	s_or_b32 exec_lo, exec_lo, s0
	v_mov_b32_e32 v2, 0
	global_load_dword v4, v2, s[10:11]
	s_waitcnt vmcnt(0)
	v_cvt_f64_f32_e32 v[2:3], v4
	v_cmp_eq_f32_e64 s0, 1.0, v4
	v_mul_f64 v[2:3], v[5:6], v[2:3]
	v_cndmask_b32_e64 v4, v3, v6, s0
	v_cndmask_b32_e64 v3, v2, v5, s0
	s_or_b32 exec_lo, exec_lo, s1
	s_and_saveexec_b32 s0, vcc_lo
	s_xor_b32 s0, exec_lo, s0
	s_cbranch_execz .LBB3_33
.LBB3_41:
	v_mov_b32_e32 v2, 0
	v_lshlrev_b64 v[0:1], 3, v[1:2]
	s_waitcnt vmcnt(0)
	v_add_co_u32 v5, vcc_lo, s12, v0
	v_add_co_ci_u32_e64 v6, null, s13, v1, vcc_lo
	v_mov_b32_e32 v0, v19
	global_store_dwordx2 v[5:6], v[13:14], off
	s_or_b32 exec_lo, exec_lo, s0
	s_mov_b32 s0, exec_lo
	v_cmpx_gt_i32_e64 s3, v0
	s_cbranch_execz .LBB3_34
.LBB3_42:
	v_add_nc_u32_e32 v1, s4, v0
	v_mov_b32_e32 v2, 0
	v_add_nc_u32_e32 v0, 0x100, v0
	v_lshlrev_b64 v[1:2], 3, v[1:2]
	v_add_co_u32 v1, vcc_lo, s12, v1
	v_add_co_ci_u32_e64 v2, null, s13, v2, vcc_lo
	global_store_dwordx2 v[1:2], v[9:10], off
	s_or_b32 exec_lo, exec_lo, s0
	s_mov_b32 s0, exec_lo
	v_cmpx_gt_i32_e64 s3, v0
	s_cbranch_execz .LBB3_35
.LBB3_43:
	v_add_nc_u32_e32 v1, s4, v0
	v_mov_b32_e32 v2, 0
	v_add_nc_u32_e32 v0, 0x100, v0
	v_lshlrev_b64 v[1:2], 3, v[1:2]
	v_add_co_u32 v1, vcc_lo, s12, v1
	v_add_co_ci_u32_e64 v2, null, s13, v2, vcc_lo
	global_store_dwordx2 v[1:2], v[7:8], off
	s_or_b32 exec_lo, exec_lo, s0
	s_mov_b32 s0, exec_lo
	v_cmpx_gt_i32_e64 s3, v0
	s_cbranch_execnz .LBB3_36
	s_branch .LBB3_37
	.section	.rodata,"a",@progbits
	.p2align	6, 0x0
	.amdhsa_kernel _ZN2at6native29vectorized_elementwise_kernelILi4EZZZNS0_12_GLOBAL__N_139_amp_non_finite_check_and_unscale_cuda_ERNS_6TensorES4_RKS3_ENKUlvE_clEvENKUlvE_clEvEUldE_St5arrayIPcLm2EEEEviT0_T1_
		.amdhsa_group_segment_fixed_size 0
		.amdhsa_private_segment_fixed_size 0
		.amdhsa_kernarg_size 40
		.amdhsa_user_sgpr_count 6
		.amdhsa_user_sgpr_private_segment_buffer 1
		.amdhsa_user_sgpr_dispatch_ptr 0
		.amdhsa_user_sgpr_queue_ptr 0
		.amdhsa_user_sgpr_kernarg_segment_ptr 1
		.amdhsa_user_sgpr_dispatch_id 0
		.amdhsa_user_sgpr_flat_scratch_init 0
		.amdhsa_user_sgpr_private_segment_size 0
		.amdhsa_wavefront_size32 1
		.amdhsa_uses_dynamic_stack 0
		.amdhsa_system_sgpr_private_segment_wavefront_offset 0
		.amdhsa_system_sgpr_workgroup_id_x 1
		.amdhsa_system_sgpr_workgroup_id_y 0
		.amdhsa_system_sgpr_workgroup_id_z 0
		.amdhsa_system_sgpr_workgroup_info 0
		.amdhsa_system_vgpr_workitem_id 0
		.amdhsa_next_free_vgpr 22
		.amdhsa_next_free_sgpr 16
		.amdhsa_reserve_vcc 1
		.amdhsa_reserve_flat_scratch 0
		.amdhsa_float_round_mode_32 0
		.amdhsa_float_round_mode_16_64 0
		.amdhsa_float_denorm_mode_32 3
		.amdhsa_float_denorm_mode_16_64 3
		.amdhsa_dx10_clamp 1
		.amdhsa_ieee_mode 1
		.amdhsa_fp16_overflow 0
		.amdhsa_workgroup_processor_mode 1
		.amdhsa_memory_ordered 1
		.amdhsa_forward_progress 1
		.amdhsa_shared_vgpr_count 0
		.amdhsa_exception_fp_ieee_invalid_op 0
		.amdhsa_exception_fp_denorm_src 0
		.amdhsa_exception_fp_ieee_div_zero 0
		.amdhsa_exception_fp_ieee_overflow 0
		.amdhsa_exception_fp_ieee_underflow 0
		.amdhsa_exception_fp_ieee_inexact 0
		.amdhsa_exception_int_div_zero 0
	.end_amdhsa_kernel
	.section	.text._ZN2at6native29vectorized_elementwise_kernelILi4EZZZNS0_12_GLOBAL__N_139_amp_non_finite_check_and_unscale_cuda_ERNS_6TensorES4_RKS3_ENKUlvE_clEvENKUlvE_clEvEUldE_St5arrayIPcLm2EEEEviT0_T1_,"axG",@progbits,_ZN2at6native29vectorized_elementwise_kernelILi4EZZZNS0_12_GLOBAL__N_139_amp_non_finite_check_and_unscale_cuda_ERNS_6TensorES4_RKS3_ENKUlvE_clEvENKUlvE_clEvEUldE_St5arrayIPcLm2EEEEviT0_T1_,comdat
.Lfunc_end3:
	.size	_ZN2at6native29vectorized_elementwise_kernelILi4EZZZNS0_12_GLOBAL__N_139_amp_non_finite_check_and_unscale_cuda_ERNS_6TensorES4_RKS3_ENKUlvE_clEvENKUlvE_clEvEUldE_St5arrayIPcLm2EEEEviT0_T1_, .Lfunc_end3-_ZN2at6native29vectorized_elementwise_kernelILi4EZZZNS0_12_GLOBAL__N_139_amp_non_finite_check_and_unscale_cuda_ERNS_6TensorES4_RKS3_ENKUlvE_clEvENKUlvE_clEvEUldE_St5arrayIPcLm2EEEEviT0_T1_
                                        ; -- End function
	.set _ZN2at6native29vectorized_elementwise_kernelILi4EZZZNS0_12_GLOBAL__N_139_amp_non_finite_check_and_unscale_cuda_ERNS_6TensorES4_RKS3_ENKUlvE_clEvENKUlvE_clEvEUldE_St5arrayIPcLm2EEEEviT0_T1_.num_vgpr, 22
	.set _ZN2at6native29vectorized_elementwise_kernelILi4EZZZNS0_12_GLOBAL__N_139_amp_non_finite_check_and_unscale_cuda_ERNS_6TensorES4_RKS3_ENKUlvE_clEvENKUlvE_clEvEUldE_St5arrayIPcLm2EEEEviT0_T1_.num_agpr, 0
	.set _ZN2at6native29vectorized_elementwise_kernelILi4EZZZNS0_12_GLOBAL__N_139_amp_non_finite_check_and_unscale_cuda_ERNS_6TensorES4_RKS3_ENKUlvE_clEvENKUlvE_clEvEUldE_St5arrayIPcLm2EEEEviT0_T1_.numbered_sgpr, 16
	.set _ZN2at6native29vectorized_elementwise_kernelILi4EZZZNS0_12_GLOBAL__N_139_amp_non_finite_check_and_unscale_cuda_ERNS_6TensorES4_RKS3_ENKUlvE_clEvENKUlvE_clEvEUldE_St5arrayIPcLm2EEEEviT0_T1_.num_named_barrier, 0
	.set _ZN2at6native29vectorized_elementwise_kernelILi4EZZZNS0_12_GLOBAL__N_139_amp_non_finite_check_and_unscale_cuda_ERNS_6TensorES4_RKS3_ENKUlvE_clEvENKUlvE_clEvEUldE_St5arrayIPcLm2EEEEviT0_T1_.private_seg_size, 0
	.set _ZN2at6native29vectorized_elementwise_kernelILi4EZZZNS0_12_GLOBAL__N_139_amp_non_finite_check_and_unscale_cuda_ERNS_6TensorES4_RKS3_ENKUlvE_clEvENKUlvE_clEvEUldE_St5arrayIPcLm2EEEEviT0_T1_.uses_vcc, 1
	.set _ZN2at6native29vectorized_elementwise_kernelILi4EZZZNS0_12_GLOBAL__N_139_amp_non_finite_check_and_unscale_cuda_ERNS_6TensorES4_RKS3_ENKUlvE_clEvENKUlvE_clEvEUldE_St5arrayIPcLm2EEEEviT0_T1_.uses_flat_scratch, 0
	.set _ZN2at6native29vectorized_elementwise_kernelILi4EZZZNS0_12_GLOBAL__N_139_amp_non_finite_check_and_unscale_cuda_ERNS_6TensorES4_RKS3_ENKUlvE_clEvENKUlvE_clEvEUldE_St5arrayIPcLm2EEEEviT0_T1_.has_dyn_sized_stack, 0
	.set _ZN2at6native29vectorized_elementwise_kernelILi4EZZZNS0_12_GLOBAL__N_139_amp_non_finite_check_and_unscale_cuda_ERNS_6TensorES4_RKS3_ENKUlvE_clEvENKUlvE_clEvEUldE_St5arrayIPcLm2EEEEviT0_T1_.has_recursion, 0
	.set _ZN2at6native29vectorized_elementwise_kernelILi4EZZZNS0_12_GLOBAL__N_139_amp_non_finite_check_and_unscale_cuda_ERNS_6TensorES4_RKS3_ENKUlvE_clEvENKUlvE_clEvEUldE_St5arrayIPcLm2EEEEviT0_T1_.has_indirect_call, 0
	.section	.AMDGPU.csdata,"",@progbits
; Kernel info:
; codeLenInByte = 1696
; TotalNumSgprs: 18
; NumVgprs: 22
; ScratchSize: 0
; MemoryBound: 1
; FloatMode: 240
; IeeeMode: 1
; LDSByteSize: 0 bytes/workgroup (compile time only)
; SGPRBlocks: 0
; VGPRBlocks: 2
; NumSGPRsForWavesPerEU: 18
; NumVGPRsForWavesPerEU: 22
; Occupancy: 16
; WaveLimiterHint : 0
; COMPUTE_PGM_RSRC2:SCRATCH_EN: 0
; COMPUTE_PGM_RSRC2:USER_SGPR: 6
; COMPUTE_PGM_RSRC2:TRAP_HANDLER: 0
; COMPUTE_PGM_RSRC2:TGID_X_EN: 1
; COMPUTE_PGM_RSRC2:TGID_Y_EN: 0
; COMPUTE_PGM_RSRC2:TGID_Z_EN: 0
; COMPUTE_PGM_RSRC2:TIDIG_COMP_CNT: 0
	.section	.text._ZN2at6native29vectorized_elementwise_kernelILi2EZZZNS0_12_GLOBAL__N_139_amp_non_finite_check_and_unscale_cuda_ERNS_6TensorES4_RKS3_ENKUlvE_clEvENKUlvE_clEvEUldE_St5arrayIPcLm2EEEEviT0_T1_,"axG",@progbits,_ZN2at6native29vectorized_elementwise_kernelILi2EZZZNS0_12_GLOBAL__N_139_amp_non_finite_check_and_unscale_cuda_ERNS_6TensorES4_RKS3_ENKUlvE_clEvENKUlvE_clEvEUldE_St5arrayIPcLm2EEEEviT0_T1_,comdat
	.globl	_ZN2at6native29vectorized_elementwise_kernelILi2EZZZNS0_12_GLOBAL__N_139_amp_non_finite_check_and_unscale_cuda_ERNS_6TensorES4_RKS3_ENKUlvE_clEvENKUlvE_clEvEUldE_St5arrayIPcLm2EEEEviT0_T1_ ; -- Begin function _ZN2at6native29vectorized_elementwise_kernelILi2EZZZNS0_12_GLOBAL__N_139_amp_non_finite_check_and_unscale_cuda_ERNS_6TensorES4_RKS3_ENKUlvE_clEvENKUlvE_clEvEUldE_St5arrayIPcLm2EEEEviT0_T1_
	.p2align	8
	.type	_ZN2at6native29vectorized_elementwise_kernelILi2EZZZNS0_12_GLOBAL__N_139_amp_non_finite_check_and_unscale_cuda_ERNS_6TensorES4_RKS3_ENKUlvE_clEvENKUlvE_clEvEUldE_St5arrayIPcLm2EEEEviT0_T1_,@function
_ZN2at6native29vectorized_elementwise_kernelILi2EZZZNS0_12_GLOBAL__N_139_amp_non_finite_check_and_unscale_cuda_ERNS_6TensorES4_RKS3_ENKUlvE_clEvENKUlvE_clEvEUldE_St5arrayIPcLm2EEEEviT0_T1_: ; @_ZN2at6native29vectorized_elementwise_kernelILi2EZZZNS0_12_GLOBAL__N_139_amp_non_finite_check_and_unscale_cuda_ERNS_6TensorES4_RKS3_ENKUlvE_clEvENKUlvE_clEvEUldE_St5arrayIPcLm2EEEEviT0_T1_
; %bb.0:
	s_clause 0x1
	s_load_dword s0, s[4:5], 0x0
	s_load_dwordx8 s[8:15], s[4:5], 0x8
	s_lshl_b32 s2, s6, 10
	s_waitcnt lgkmcnt(0)
	s_sub_i32 s6, s0, s2
	s_mov_b32 s0, -1
	s_cmpk_gt_i32 s6, 0x3ff
	s_cbranch_scc0 .LBB4_10
; %bb.1:
	s_ashr_i32 s3, s2, 31
	v_lshlrev_b32_e32 v17, 4, v0
	s_lshl_b64 s[4:5], s[2:3], 3
	v_mov_b32_e32 v9, 0
	s_add_u32 s0, s14, s4
	s_addc_u32 s1, s15, s5
	global_load_dwordx4 v[5:8], v17, s[0:1]
	v_add_co_u32 v1, s0, s0, v17
	v_add_co_ci_u32_e64 v2, null, s1, 0, s0
	s_mov_b32 s0, exec_lo
	v_add_co_u32 v1, vcc_lo, 0x1000, v1
	v_add_co_ci_u32_e64 v2, null, 0, v2, vcc_lo
	global_load_dwordx4 v[1:4], v[1:2], off
	s_waitcnt vmcnt(1)
	v_cvt_f32_f64_e32 v10, v[5:6]
	v_cmpx_nlg_f32_e64 0x7f800000, |v10|
	s_cbranch_execz .LBB4_3
; %bb.2:
	v_mov_b32_e32 v10, 1.0
	global_store_dword v9, v10, s[8:9]
.LBB4_3:
	s_or_b32 exec_lo, exec_lo, s0
	global_load_dword v18, v9, s[10:11]
	v_cvt_f32_f64_e32 v11, v[7:8]
	v_cmp_nlg_f32_e64 s1, 0x7f800000, |v11|
	s_waitcnt vmcnt(0)
	v_cvt_f64_f32_e32 v[9:10], v18
	v_mov_b32_e32 v19, v18
	v_mov_b32_e32 v12, v10
	;; [unrolled: 1-line block ×3, first 2 shown]
	s_and_saveexec_b32 s0, s1
	s_cbranch_execz .LBB4_5
; %bb.4:
	v_mov_b32_e32 v11, 0
	v_mov_b32_e32 v12, 1.0
	global_store_dword v11, v12, s[8:9]
	global_load_dword v19, v11, s[10:11]
	s_waitcnt vmcnt(0)
	v_cvt_f64_f32_e32 v[11:12], v19
.LBB4_5:
	s_or_b32 exec_lo, exec_lo, s0
	v_cvt_f32_f64_e32 v15, v[1:2]
	v_mov_b32_e32 v14, v12
	v_mov_b32_e32 v13, v11
	v_mov_b32_e32 v20, v19
	s_mov_b32 s0, exec_lo
	v_cmpx_nlg_f32_e64 0x7f800000, |v15|
	s_cbranch_execz .LBB4_7
; %bb.6:
	v_mov_b32_e32 v13, 0
	v_mov_b32_e32 v14, 1.0
	global_store_dword v13, v14, s[8:9]
	global_load_dword v20, v13, s[10:11]
	s_waitcnt vmcnt(0)
	v_cvt_f64_f32_e32 v[13:14], v20
.LBB4_7:
	s_or_b32 exec_lo, exec_lo, s0
	v_cvt_f32_f64_e32 v21, v[3:4]
	v_mov_b32_e32 v16, v14
	v_mov_b32_e32 v15, v13
	v_cmp_nlg_f32_e64 s1, 0x7f800000, |v21|
	v_mov_b32_e32 v21, v20
	s_and_saveexec_b32 s0, s1
	s_cbranch_execz .LBB4_9
; %bb.8:
	v_mov_b32_e32 v15, 0
	v_mov_b32_e32 v16, 1.0
	global_store_dword v15, v16, s[8:9]
	global_load_dword v21, v15, s[10:11]
	s_waitcnt vmcnt(0)
	v_cvt_f64_f32_e32 v[15:16], v21
.LBB4_9:
	s_or_b32 exec_lo, exec_lo, s0
	v_mul_f64 v[13:14], v[1:2], v[13:14]
	v_mul_f64 v[11:12], v[7:8], v[11:12]
	;; [unrolled: 1-line block ×4, first 2 shown]
	v_cmp_eq_f32_e32 vcc_lo, 1.0, v20
	s_add_u32 s4, s12, s4
	v_cmp_eq_f32_e64 s0, 1.0, v19
	v_cmp_eq_f32_e64 s1, 1.0, v18
	s_addc_u32 s5, s13, s5
	v_add_co_u32 v18, s3, s4, v17
	v_add_co_ci_u32_e64 v19, null, s5, 0, s3
	v_cndmask_b32_e32 v2, v14, v2, vcc_lo
	v_cndmask_b32_e32 v1, v13, v1, vcc_lo
	v_cmp_eq_f32_e32 vcc_lo, 1.0, v21
	v_cndmask_b32_e64 v8, v12, v8, s0
	v_cndmask_b32_e64 v7, v11, v7, s0
	;; [unrolled: 1-line block ×3, first 2 shown]
	v_add_co_u32 v9, s0, 0x1000, v18
	v_cndmask_b32_e64 v6, v10, v6, s1
	v_cndmask_b32_e32 v4, v16, v4, vcc_lo
	v_add_co_ci_u32_e64 v10, null, 0, v19, s0
	v_cndmask_b32_e32 v3, v15, v3, vcc_lo
	s_mov_b32 s0, 0
	global_store_dwordx4 v17, v[5:8], s[4:5]
	global_store_dwordx4 v[9:10], v[1:4], off
.LBB4_10:
	s_and_b32 vcc_lo, exec_lo, s0
	s_cbranch_vccz .LBB4_37
; %bb.11:
	v_mov_b32_e32 v11, 0
	v_mov_b32_e32 v17, 0
	v_cmp_gt_i32_e32 vcc_lo, s6, v0
	v_mov_b32_e32 v12, 0
	v_or_b32_e32 v1, s2, v0
	v_or_b32_e32 v19, 0x100, v0
	v_mov_b32_e32 v18, 0
	v_mov_b32_e32 v2, v0
	s_and_saveexec_b32 s1, vcc_lo
	s_cbranch_execz .LBB4_13
; %bb.12:
	v_mov_b32_e32 v2, 0
	v_lshlrev_b64 v[2:3], 3, v[1:2]
	v_add_co_u32 v2, s0, s14, v2
	v_add_co_ci_u32_e64 v3, null, s15, v3, s0
	global_load_dwordx2 v[17:18], v[2:3], off
	v_or_b32_e32 v2, 0x100, v0
.LBB4_13:
	s_or_b32 exec_lo, exec_lo, s1
	s_mov_b32 s1, exec_lo
	v_cmpx_gt_i32_e64 s6, v2
	s_cbranch_execz .LBB4_15
; %bb.14:
	v_add_nc_u32_e32 v3, s2, v2
	v_mov_b32_e32 v4, 0
	v_add_nc_u32_e32 v2, 0x100, v2
	v_lshlrev_b64 v[3:4], 3, v[3:4]
	v_add_co_u32 v3, s0, s14, v3
	v_add_co_ci_u32_e64 v4, null, s15, v4, s0
	global_load_dwordx2 v[11:12], v[3:4], off
.LBB4_15:
	s_or_b32 exec_lo, exec_lo, s1
	v_mov_b32_e32 v5, 0
	v_mov_b32_e32 v15, 0
	;; [unrolled: 1-line block ×4, first 2 shown]
	s_mov_b32 s1, exec_lo
	v_cmpx_gt_i32_e64 s6, v2
	s_cbranch_execz .LBB4_17
; %bb.16:
	v_add_nc_u32_e32 v3, s2, v2
	v_mov_b32_e32 v4, 0
	v_add_nc_u32_e32 v2, 0x100, v2
	v_lshlrev_b64 v[3:4], 3, v[3:4]
	v_add_co_u32 v3, s0, s14, v3
	v_add_co_ci_u32_e64 v4, null, s15, v4, s0
	global_load_dwordx2 v[15:16], v[3:4], off
.LBB4_17:
	s_or_b32 exec_lo, exec_lo, s1
	s_mov_b32 s1, exec_lo
	v_cmpx_gt_i32_e64 s6, v2
	s_cbranch_execz .LBB4_19
; %bb.18:
	v_add_nc_u32_e32 v2, s2, v2
	v_mov_b32_e32 v3, 0
	v_lshlrev_b64 v[2:3], 3, v[2:3]
	v_add_co_u32 v2, s0, s14, v2
	v_add_co_ci_u32_e64 v3, null, s15, v3, s0
	global_load_dwordx2 v[5:6], v[2:3], off
.LBB4_19:
	s_or_b32 exec_lo, exec_lo, s1
	v_mov_b32_e32 v13, 0
	v_mov_b32_e32 v14, v13
	;; [unrolled: 1-line block ×8, first 2 shown]
	s_and_saveexec_b32 s1, vcc_lo
	s_cbranch_execz .LBB4_23
; %bb.20:
	s_waitcnt vmcnt(0)
	v_cvt_f32_f64_e32 v2, v[17:18]
	s_mov_b32 s0, exec_lo
	v_cmpx_nlg_f32_e64 0x7f800000, |v2|
	s_cbranch_execz .LBB4_22
; %bb.21:
	v_mov_b32_e32 v2, 0
	v_mov_b32_e32 v3, 1.0
	global_store_dword v2, v3, s[8:9]
.LBB4_22:
	s_or_b32 exec_lo, exec_lo, s0
	v_mov_b32_e32 v9, 0
	global_load_dword v4, v9, s[10:11]
	v_mov_b32_e32 v10, v9
	v_mov_b32_e32 v7, v9
	v_mov_b32_e32 v8, v9
	s_waitcnt vmcnt(0)
	v_cvt_f64_f32_e32 v[2:3], v4
	v_cmp_eq_f32_e64 s0, 1.0, v4
	v_mov_b32_e32 v4, v9
	v_mul_f64 v[13:14], v[17:18], v[2:3]
	v_mov_b32_e32 v3, v9
	v_cndmask_b32_e64 v14, v14, v18, s0
	v_cndmask_b32_e64 v13, v13, v17, s0
.LBB4_23:
	s_or_b32 exec_lo, exec_lo, s1
	s_mov_b32 s1, exec_lo
	v_cmpx_gt_i32_e64 s6, v19
	s_cbranch_execz .LBB4_27
; %bb.24:
	s_waitcnt vmcnt(0)
	v_cvt_f32_f64_e32 v2, v[11:12]
	s_mov_b32 s0, exec_lo
	v_cmpx_nlg_f32_e64 0x7f800000, |v2|
	s_cbranch_execz .LBB4_26
; %bb.25:
	v_mov_b32_e32 v2, 0
	v_mov_b32_e32 v9, 1.0
	global_store_dword v2, v9, s[8:9]
.LBB4_26:
	s_or_b32 exec_lo, exec_lo, s0
	v_mov_b32_e32 v2, 0
	global_load_dword v2, v2, s[10:11]
	s_waitcnt vmcnt(0)
	v_cvt_f64_f32_e32 v[9:10], v2
	v_cmp_eq_f32_e64 s0, 1.0, v2
	v_mul_f64 v[9:10], v[11:12], v[9:10]
	v_cndmask_b32_e64 v10, v10, v12, s0
	v_cndmask_b32_e64 v9, v9, v11, s0
.LBB4_27:
	s_or_b32 exec_lo, exec_lo, s1
	v_or_b32_e32 v2, 0x200, v0
	s_mov_b32 s1, exec_lo
	v_cmpx_gt_i32_e64 s6, v2
	s_cbranch_execz .LBB4_31
; %bb.28:
	s_waitcnt vmcnt(0)
	v_cvt_f32_f64_e32 v2, v[15:16]
	s_mov_b32 s0, exec_lo
	v_cmpx_nlg_f32_e64 0x7f800000, |v2|
	s_cbranch_execz .LBB4_30
; %bb.29:
	v_mov_b32_e32 v2, 0
	v_mov_b32_e32 v7, 1.0
	global_store_dword v2, v7, s[8:9]
.LBB4_30:
	s_or_b32 exec_lo, exec_lo, s0
	v_mov_b32_e32 v2, 0
	global_load_dword v2, v2, s[10:11]
	s_waitcnt vmcnt(0)
	v_cvt_f64_f32_e32 v[7:8], v2
	v_cmp_eq_f32_e64 s0, 1.0, v2
	v_mul_f64 v[7:8], v[15:16], v[7:8]
	v_cndmask_b32_e64 v8, v8, v16, s0
	v_cndmask_b32_e64 v7, v7, v15, s0
.LBB4_31:
	s_or_b32 exec_lo, exec_lo, s1
	v_or_b32_e32 v2, 0x300, v0
	s_mov_b32 s1, exec_lo
	v_cmpx_gt_i32_e64 s6, v2
	s_cbranch_execnz .LBB4_38
; %bb.32:
	s_or_b32 exec_lo, exec_lo, s1
	s_and_saveexec_b32 s0, vcc_lo
	s_xor_b32 s0, exec_lo, s0
	s_cbranch_execnz .LBB4_41
.LBB4_33:
	s_or_b32 exec_lo, exec_lo, s0
	s_mov_b32 s0, exec_lo
	v_cmpx_gt_i32_e64 s6, v0
	s_cbranch_execnz .LBB4_42
.LBB4_34:
	s_or_b32 exec_lo, exec_lo, s0
	s_mov_b32 s0, exec_lo
	v_cmpx_gt_i32_e64 s6, v0
	s_cbranch_execnz .LBB4_43
.LBB4_35:
	s_or_b32 exec_lo, exec_lo, s0
	s_mov_b32 s0, exec_lo
	v_cmpx_gt_i32_e64 s6, v0
	s_cbranch_execz .LBB4_37
.LBB4_36:
	v_add_nc_u32_e32 v0, s2, v0
	v_mov_b32_e32 v1, 0
	v_lshlrev_b64 v[0:1], 3, v[0:1]
	v_add_co_u32 v0, vcc_lo, s12, v0
	v_add_co_ci_u32_e64 v1, null, s13, v1, vcc_lo
	global_store_dwordx2 v[0:1], v[3:4], off
.LBB4_37:
	s_endpgm
.LBB4_38:
	s_waitcnt vmcnt(0)
	v_cvt_f32_f64_e32 v2, v[5:6]
	s_mov_b32 s0, exec_lo
	v_cmpx_nlg_f32_e64 0x7f800000, |v2|
	s_cbranch_execz .LBB4_40
; %bb.39:
	v_mov_b32_e32 v2, 0
	v_mov_b32_e32 v3, 1.0
	global_store_dword v2, v3, s[8:9]
.LBB4_40:
	s_or_b32 exec_lo, exec_lo, s0
	v_mov_b32_e32 v2, 0
	global_load_dword v4, v2, s[10:11]
	s_waitcnt vmcnt(0)
	v_cvt_f64_f32_e32 v[2:3], v4
	v_cmp_eq_f32_e64 s0, 1.0, v4
	v_mul_f64 v[2:3], v[5:6], v[2:3]
	v_cndmask_b32_e64 v4, v3, v6, s0
	v_cndmask_b32_e64 v3, v2, v5, s0
	s_or_b32 exec_lo, exec_lo, s1
	s_and_saveexec_b32 s0, vcc_lo
	s_xor_b32 s0, exec_lo, s0
	s_cbranch_execz .LBB4_33
.LBB4_41:
	v_mov_b32_e32 v2, 0
	v_lshlrev_b64 v[0:1], 3, v[1:2]
	s_waitcnt vmcnt(0)
	v_add_co_u32 v5, vcc_lo, s12, v0
	v_add_co_ci_u32_e64 v6, null, s13, v1, vcc_lo
	v_mov_b32_e32 v0, v19
	global_store_dwordx2 v[5:6], v[13:14], off
	s_or_b32 exec_lo, exec_lo, s0
	s_mov_b32 s0, exec_lo
	v_cmpx_gt_i32_e64 s6, v0
	s_cbranch_execz .LBB4_34
.LBB4_42:
	v_add_nc_u32_e32 v1, s2, v0
	v_mov_b32_e32 v2, 0
	v_add_nc_u32_e32 v0, 0x100, v0
	v_lshlrev_b64 v[1:2], 3, v[1:2]
	v_add_co_u32 v1, vcc_lo, s12, v1
	v_add_co_ci_u32_e64 v2, null, s13, v2, vcc_lo
	global_store_dwordx2 v[1:2], v[9:10], off
	s_or_b32 exec_lo, exec_lo, s0
	s_mov_b32 s0, exec_lo
	v_cmpx_gt_i32_e64 s6, v0
	s_cbranch_execz .LBB4_35
.LBB4_43:
	v_add_nc_u32_e32 v1, s2, v0
	v_mov_b32_e32 v2, 0
	v_add_nc_u32_e32 v0, 0x100, v0
	v_lshlrev_b64 v[1:2], 3, v[1:2]
	v_add_co_u32 v1, vcc_lo, s12, v1
	v_add_co_ci_u32_e64 v2, null, s13, v2, vcc_lo
	global_store_dwordx2 v[1:2], v[7:8], off
	s_or_b32 exec_lo, exec_lo, s0
	s_mov_b32 s0, exec_lo
	v_cmpx_gt_i32_e64 s6, v0
	s_cbranch_execnz .LBB4_36
	s_branch .LBB4_37
	.section	.rodata,"a",@progbits
	.p2align	6, 0x0
	.amdhsa_kernel _ZN2at6native29vectorized_elementwise_kernelILi2EZZZNS0_12_GLOBAL__N_139_amp_non_finite_check_and_unscale_cuda_ERNS_6TensorES4_RKS3_ENKUlvE_clEvENKUlvE_clEvEUldE_St5arrayIPcLm2EEEEviT0_T1_
		.amdhsa_group_segment_fixed_size 0
		.amdhsa_private_segment_fixed_size 0
		.amdhsa_kernarg_size 40
		.amdhsa_user_sgpr_count 6
		.amdhsa_user_sgpr_private_segment_buffer 1
		.amdhsa_user_sgpr_dispatch_ptr 0
		.amdhsa_user_sgpr_queue_ptr 0
		.amdhsa_user_sgpr_kernarg_segment_ptr 1
		.amdhsa_user_sgpr_dispatch_id 0
		.amdhsa_user_sgpr_flat_scratch_init 0
		.amdhsa_user_sgpr_private_segment_size 0
		.amdhsa_wavefront_size32 1
		.amdhsa_uses_dynamic_stack 0
		.amdhsa_system_sgpr_private_segment_wavefront_offset 0
		.amdhsa_system_sgpr_workgroup_id_x 1
		.amdhsa_system_sgpr_workgroup_id_y 0
		.amdhsa_system_sgpr_workgroup_id_z 0
		.amdhsa_system_sgpr_workgroup_info 0
		.amdhsa_system_vgpr_workitem_id 0
		.amdhsa_next_free_vgpr 22
		.amdhsa_next_free_sgpr 16
		.amdhsa_reserve_vcc 1
		.amdhsa_reserve_flat_scratch 0
		.amdhsa_float_round_mode_32 0
		.amdhsa_float_round_mode_16_64 0
		.amdhsa_float_denorm_mode_32 3
		.amdhsa_float_denorm_mode_16_64 3
		.amdhsa_dx10_clamp 1
		.amdhsa_ieee_mode 1
		.amdhsa_fp16_overflow 0
		.amdhsa_workgroup_processor_mode 1
		.amdhsa_memory_ordered 1
		.amdhsa_forward_progress 1
		.amdhsa_shared_vgpr_count 0
		.amdhsa_exception_fp_ieee_invalid_op 0
		.amdhsa_exception_fp_denorm_src 0
		.amdhsa_exception_fp_ieee_div_zero 0
		.amdhsa_exception_fp_ieee_overflow 0
		.amdhsa_exception_fp_ieee_underflow 0
		.amdhsa_exception_fp_ieee_inexact 0
		.amdhsa_exception_int_div_zero 0
	.end_amdhsa_kernel
	.section	.text._ZN2at6native29vectorized_elementwise_kernelILi2EZZZNS0_12_GLOBAL__N_139_amp_non_finite_check_and_unscale_cuda_ERNS_6TensorES4_RKS3_ENKUlvE_clEvENKUlvE_clEvEUldE_St5arrayIPcLm2EEEEviT0_T1_,"axG",@progbits,_ZN2at6native29vectorized_elementwise_kernelILi2EZZZNS0_12_GLOBAL__N_139_amp_non_finite_check_and_unscale_cuda_ERNS_6TensorES4_RKS3_ENKUlvE_clEvENKUlvE_clEvEUldE_St5arrayIPcLm2EEEEviT0_T1_,comdat
.Lfunc_end4:
	.size	_ZN2at6native29vectorized_elementwise_kernelILi2EZZZNS0_12_GLOBAL__N_139_amp_non_finite_check_and_unscale_cuda_ERNS_6TensorES4_RKS3_ENKUlvE_clEvENKUlvE_clEvEUldE_St5arrayIPcLm2EEEEviT0_T1_, .Lfunc_end4-_ZN2at6native29vectorized_elementwise_kernelILi2EZZZNS0_12_GLOBAL__N_139_amp_non_finite_check_and_unscale_cuda_ERNS_6TensorES4_RKS3_ENKUlvE_clEvENKUlvE_clEvEUldE_St5arrayIPcLm2EEEEviT0_T1_
                                        ; -- End function
	.set _ZN2at6native29vectorized_elementwise_kernelILi2EZZZNS0_12_GLOBAL__N_139_amp_non_finite_check_and_unscale_cuda_ERNS_6TensorES4_RKS3_ENKUlvE_clEvENKUlvE_clEvEUldE_St5arrayIPcLm2EEEEviT0_T1_.num_vgpr, 22
	.set _ZN2at6native29vectorized_elementwise_kernelILi2EZZZNS0_12_GLOBAL__N_139_amp_non_finite_check_and_unscale_cuda_ERNS_6TensorES4_RKS3_ENKUlvE_clEvENKUlvE_clEvEUldE_St5arrayIPcLm2EEEEviT0_T1_.num_agpr, 0
	.set _ZN2at6native29vectorized_elementwise_kernelILi2EZZZNS0_12_GLOBAL__N_139_amp_non_finite_check_and_unscale_cuda_ERNS_6TensorES4_RKS3_ENKUlvE_clEvENKUlvE_clEvEUldE_St5arrayIPcLm2EEEEviT0_T1_.numbered_sgpr, 16
	.set _ZN2at6native29vectorized_elementwise_kernelILi2EZZZNS0_12_GLOBAL__N_139_amp_non_finite_check_and_unscale_cuda_ERNS_6TensorES4_RKS3_ENKUlvE_clEvENKUlvE_clEvEUldE_St5arrayIPcLm2EEEEviT0_T1_.num_named_barrier, 0
	.set _ZN2at6native29vectorized_elementwise_kernelILi2EZZZNS0_12_GLOBAL__N_139_amp_non_finite_check_and_unscale_cuda_ERNS_6TensorES4_RKS3_ENKUlvE_clEvENKUlvE_clEvEUldE_St5arrayIPcLm2EEEEviT0_T1_.private_seg_size, 0
	.set _ZN2at6native29vectorized_elementwise_kernelILi2EZZZNS0_12_GLOBAL__N_139_amp_non_finite_check_and_unscale_cuda_ERNS_6TensorES4_RKS3_ENKUlvE_clEvENKUlvE_clEvEUldE_St5arrayIPcLm2EEEEviT0_T1_.uses_vcc, 1
	.set _ZN2at6native29vectorized_elementwise_kernelILi2EZZZNS0_12_GLOBAL__N_139_amp_non_finite_check_and_unscale_cuda_ERNS_6TensorES4_RKS3_ENKUlvE_clEvENKUlvE_clEvEUldE_St5arrayIPcLm2EEEEviT0_T1_.uses_flat_scratch, 0
	.set _ZN2at6native29vectorized_elementwise_kernelILi2EZZZNS0_12_GLOBAL__N_139_amp_non_finite_check_and_unscale_cuda_ERNS_6TensorES4_RKS3_ENKUlvE_clEvENKUlvE_clEvEUldE_St5arrayIPcLm2EEEEviT0_T1_.has_dyn_sized_stack, 0
	.set _ZN2at6native29vectorized_elementwise_kernelILi2EZZZNS0_12_GLOBAL__N_139_amp_non_finite_check_and_unscale_cuda_ERNS_6TensorES4_RKS3_ENKUlvE_clEvENKUlvE_clEvEUldE_St5arrayIPcLm2EEEEviT0_T1_.has_recursion, 0
	.set _ZN2at6native29vectorized_elementwise_kernelILi2EZZZNS0_12_GLOBAL__N_139_amp_non_finite_check_and_unscale_cuda_ERNS_6TensorES4_RKS3_ENKUlvE_clEvENKUlvE_clEvEUldE_St5arrayIPcLm2EEEEviT0_T1_.has_indirect_call, 0
	.section	.AMDGPU.csdata,"",@progbits
; Kernel info:
; codeLenInByte = 1752
; TotalNumSgprs: 18
; NumVgprs: 22
; ScratchSize: 0
; MemoryBound: 0
; FloatMode: 240
; IeeeMode: 1
; LDSByteSize: 0 bytes/workgroup (compile time only)
; SGPRBlocks: 0
; VGPRBlocks: 2
; NumSGPRsForWavesPerEU: 18
; NumVGPRsForWavesPerEU: 22
; Occupancy: 16
; WaveLimiterHint : 1
; COMPUTE_PGM_RSRC2:SCRATCH_EN: 0
; COMPUTE_PGM_RSRC2:USER_SGPR: 6
; COMPUTE_PGM_RSRC2:TRAP_HANDLER: 0
; COMPUTE_PGM_RSRC2:TGID_X_EN: 1
; COMPUTE_PGM_RSRC2:TGID_Y_EN: 0
; COMPUTE_PGM_RSRC2:TGID_Z_EN: 0
; COMPUTE_PGM_RSRC2:TIDIG_COMP_CNT: 0
	.section	.text._ZN2at6native27unrolled_elementwise_kernelIZZZNS0_12_GLOBAL__N_139_amp_non_finite_check_and_unscale_cuda_ERNS_6TensorES4_RKS3_ENKUlvE_clEvENKUlvE_clEvEUldE_St5arrayIPcLm2EELi4E23TrivialOffsetCalculatorILi1EjESE_NS0_6memory15LoadWithoutCastENSF_16StoreWithoutCastEEEviT_T0_T2_T3_T4_T5_,"axG",@progbits,_ZN2at6native27unrolled_elementwise_kernelIZZZNS0_12_GLOBAL__N_139_amp_non_finite_check_and_unscale_cuda_ERNS_6TensorES4_RKS3_ENKUlvE_clEvENKUlvE_clEvEUldE_St5arrayIPcLm2EELi4E23TrivialOffsetCalculatorILi1EjESE_NS0_6memory15LoadWithoutCastENSF_16StoreWithoutCastEEEviT_T0_T2_T3_T4_T5_,comdat
	.globl	_ZN2at6native27unrolled_elementwise_kernelIZZZNS0_12_GLOBAL__N_139_amp_non_finite_check_and_unscale_cuda_ERNS_6TensorES4_RKS3_ENKUlvE_clEvENKUlvE_clEvEUldE_St5arrayIPcLm2EELi4E23TrivialOffsetCalculatorILi1EjESE_NS0_6memory15LoadWithoutCastENSF_16StoreWithoutCastEEEviT_T0_T2_T3_T4_T5_ ; -- Begin function _ZN2at6native27unrolled_elementwise_kernelIZZZNS0_12_GLOBAL__N_139_amp_non_finite_check_and_unscale_cuda_ERNS_6TensorES4_RKS3_ENKUlvE_clEvENKUlvE_clEvEUldE_St5arrayIPcLm2EELi4E23TrivialOffsetCalculatorILi1EjESE_NS0_6memory15LoadWithoutCastENSF_16StoreWithoutCastEEEviT_T0_T2_T3_T4_T5_
	.p2align	8
	.type	_ZN2at6native27unrolled_elementwise_kernelIZZZNS0_12_GLOBAL__N_139_amp_non_finite_check_and_unscale_cuda_ERNS_6TensorES4_RKS3_ENKUlvE_clEvENKUlvE_clEvEUldE_St5arrayIPcLm2EELi4E23TrivialOffsetCalculatorILi1EjESE_NS0_6memory15LoadWithoutCastENSF_16StoreWithoutCastEEEviT_T0_T2_T3_T4_T5_,@function
_ZN2at6native27unrolled_elementwise_kernelIZZZNS0_12_GLOBAL__N_139_amp_non_finite_check_and_unscale_cuda_ERNS_6TensorES4_RKS3_ENKUlvE_clEvENKUlvE_clEvEUldE_St5arrayIPcLm2EELi4E23TrivialOffsetCalculatorILi1EjESE_NS0_6memory15LoadWithoutCastENSF_16StoreWithoutCastEEEviT_T0_T2_T3_T4_T5_: ; @_ZN2at6native27unrolled_elementwise_kernelIZZZNS0_12_GLOBAL__N_139_amp_non_finite_check_and_unscale_cuda_ERNS_6TensorES4_RKS3_ENKUlvE_clEvENKUlvE_clEvEUldE_St5arrayIPcLm2EELi4E23TrivialOffsetCalculatorILi1EjESE_NS0_6memory15LoadWithoutCastENSF_16StoreWithoutCastEEEviT_T0_T2_T3_T4_T5_
; %bb.0:
	s_clause 0x1
	s_load_dword s0, s[4:5], 0x0
	s_load_dwordx8 s[8:15], s[4:5], 0x8
	s_lshl_b32 s1, s6, 10
	v_mov_b32_e32 v9, 0
	v_mov_b32_e32 v17, 0
	;; [unrolled: 1-line block ×4, first 2 shown]
	v_or_b32_e32 v1, s1, v0
	v_or_b32_e32 v19, 0x100, v0
	v_mov_b32_e32 v2, v0
	s_waitcnt lgkmcnt(0)
	s_sub_i32 s2, s0, s1
	v_cmp_gt_i32_e32 vcc_lo, s2, v0
	s_and_saveexec_b32 s3, vcc_lo
	s_cbranch_execz .LBB5_2
; %bb.1:
	v_mov_b32_e32 v2, 0
	v_lshlrev_b64 v[2:3], 3, v[1:2]
	v_add_co_u32 v2, s0, s14, v2
	v_add_co_ci_u32_e64 v3, null, s15, v3, s0
	global_load_dwordx2 v[17:18], v[2:3], off
	v_or_b32_e32 v2, 0x100, v0
.LBB5_2:
	s_or_b32 exec_lo, exec_lo, s3
	s_mov_b32 s3, exec_lo
	v_cmpx_gt_i32_e64 s2, v2
	s_cbranch_execz .LBB5_4
; %bb.3:
	v_add_nc_u32_e32 v3, s1, v2
	v_mov_b32_e32 v4, 0
	v_add_nc_u32_e32 v2, 0x100, v2
	v_lshlrev_b64 v[3:4], 3, v[3:4]
	v_add_co_u32 v3, s0, s14, v3
	v_add_co_ci_u32_e64 v4, null, s15, v4, s0
	global_load_dwordx2 v[9:10], v[3:4], off
.LBB5_4:
	s_or_b32 exec_lo, exec_lo, s3
	v_mov_b32_e32 v5, 0
	v_mov_b32_e32 v15, 0
	v_mov_b32_e32 v6, 0
	v_mov_b32_e32 v16, 0
	s_mov_b32 s3, exec_lo
	v_cmpx_gt_i32_e64 s2, v2
	s_cbranch_execz .LBB5_6
; %bb.5:
	v_add_nc_u32_e32 v3, s1, v2
	v_mov_b32_e32 v4, 0
	v_add_nc_u32_e32 v2, 0x100, v2
	v_lshlrev_b64 v[3:4], 3, v[3:4]
	v_add_co_u32 v3, s0, s14, v3
	v_add_co_ci_u32_e64 v4, null, s15, v4, s0
	global_load_dwordx2 v[15:16], v[3:4], off
.LBB5_6:
	s_or_b32 exec_lo, exec_lo, s3
	s_mov_b32 s3, exec_lo
	v_cmpx_gt_i32_e64 s2, v2
	s_cbranch_execz .LBB5_8
; %bb.7:
	v_add_nc_u32_e32 v2, s1, v2
	v_mov_b32_e32 v3, 0
	v_lshlrev_b64 v[2:3], 3, v[2:3]
	v_add_co_u32 v2, s0, s14, v2
	v_add_co_ci_u32_e64 v3, null, s15, v3, s0
	global_load_dwordx2 v[5:6], v[2:3], off
.LBB5_8:
	s_or_b32 exec_lo, exec_lo, s3
	v_mov_b32_e32 v13, 0
	v_mov_b32_e32 v14, v13
	;; [unrolled: 1-line block ×8, first 2 shown]
	s_and_saveexec_b32 s3, vcc_lo
	s_cbranch_execz .LBB5_12
; %bb.9:
	s_waitcnt vmcnt(0)
	v_cvt_f32_f64_e32 v2, v[17:18]
	s_mov_b32 s0, exec_lo
	v_cmpx_nlg_f32_e64 0x7f800000, |v2|
	s_cbranch_execz .LBB5_11
; %bb.10:
	v_mov_b32_e32 v2, 0
	v_mov_b32_e32 v3, 1.0
	global_store_dword v2, v3, s[8:9]
.LBB5_11:
	s_or_b32 exec_lo, exec_lo, s0
	v_mov_b32_e32 v11, 0
	global_load_dword v4, v11, s[10:11]
	v_mov_b32_e32 v12, v11
	v_mov_b32_e32 v7, v11
	;; [unrolled: 1-line block ×3, first 2 shown]
	s_waitcnt vmcnt(0)
	v_cvt_f64_f32_e32 v[2:3], v4
	v_cmp_eq_f32_e64 s0, 1.0, v4
	v_mov_b32_e32 v4, v11
	v_mul_f64 v[13:14], v[17:18], v[2:3]
	v_mov_b32_e32 v3, v11
	v_cndmask_b32_e64 v14, v14, v18, s0
	v_cndmask_b32_e64 v13, v13, v17, s0
.LBB5_12:
	s_or_b32 exec_lo, exec_lo, s3
	s_mov_b32 s3, exec_lo
	v_cmpx_gt_i32_e64 s2, v19
	s_cbranch_execz .LBB5_16
; %bb.13:
	s_waitcnt vmcnt(0)
	v_cvt_f32_f64_e32 v2, v[9:10]
	s_mov_b32 s0, exec_lo
	v_cmpx_nlg_f32_e64 0x7f800000, |v2|
	s_cbranch_execz .LBB5_15
; %bb.14:
	v_mov_b32_e32 v2, 0
	v_mov_b32_e32 v11, 1.0
	global_store_dword v2, v11, s[8:9]
.LBB5_15:
	s_or_b32 exec_lo, exec_lo, s0
	v_mov_b32_e32 v2, 0
	global_load_dword v2, v2, s[10:11]
	s_waitcnt vmcnt(0)
	v_cvt_f64_f32_e32 v[11:12], v2
	v_cmp_eq_f32_e64 s0, 1.0, v2
	v_mul_f64 v[11:12], v[9:10], v[11:12]
	v_cndmask_b32_e64 v12, v12, v10, s0
	v_cndmask_b32_e64 v11, v11, v9, s0
.LBB5_16:
	s_or_b32 exec_lo, exec_lo, s3
	v_or_b32_e32 v2, 0x200, v0
	s_mov_b32 s3, exec_lo
	v_cmpx_gt_i32_e64 s2, v2
	s_cbranch_execz .LBB5_20
; %bb.17:
	s_waitcnt vmcnt(0)
	v_cvt_f32_f64_e32 v2, v[15:16]
	s_mov_b32 s0, exec_lo
	v_cmpx_nlg_f32_e64 0x7f800000, |v2|
	s_cbranch_execz .LBB5_19
; %bb.18:
	v_mov_b32_e32 v2, 0
	v_mov_b32_e32 v7, 1.0
	global_store_dword v2, v7, s[8:9]
.LBB5_19:
	s_or_b32 exec_lo, exec_lo, s0
	v_mov_b32_e32 v2, 0
	global_load_dword v2, v2, s[10:11]
	s_waitcnt vmcnt(0)
	v_cvt_f64_f32_e32 v[7:8], v2
	v_cmp_eq_f32_e64 s0, 1.0, v2
	v_mul_f64 v[7:8], v[15:16], v[7:8]
	v_cndmask_b32_e64 v8, v8, v16, s0
	v_cndmask_b32_e64 v7, v7, v15, s0
.LBB5_20:
	s_or_b32 exec_lo, exec_lo, s3
	v_or_b32_e32 v2, 0x300, v0
	s_mov_b32 s3, exec_lo
	v_cmpx_gt_i32_e64 s2, v2
	s_cbranch_execnz .LBB5_26
; %bb.21:
	s_or_b32 exec_lo, exec_lo, s3
	s_and_saveexec_b32 s0, vcc_lo
	s_xor_b32 s0, exec_lo, s0
	s_cbranch_execnz .LBB5_29
.LBB5_22:
	s_or_b32 exec_lo, exec_lo, s0
	s_mov_b32 s0, exec_lo
	v_cmpx_gt_i32_e64 s2, v0
	s_cbranch_execnz .LBB5_30
.LBB5_23:
	s_or_b32 exec_lo, exec_lo, s0
	s_mov_b32 s0, exec_lo
	v_cmpx_gt_i32_e64 s2, v0
	s_cbranch_execnz .LBB5_31
.LBB5_24:
	s_or_b32 exec_lo, exec_lo, s0
	s_mov_b32 s0, exec_lo
	v_cmpx_gt_i32_e64 s2, v0
	s_cbranch_execnz .LBB5_32
.LBB5_25:
	s_endpgm
.LBB5_26:
	s_waitcnt vmcnt(0)
	v_cvt_f32_f64_e32 v2, v[5:6]
	s_mov_b32 s0, exec_lo
	v_cmpx_nlg_f32_e64 0x7f800000, |v2|
	s_cbranch_execz .LBB5_28
; %bb.27:
	v_mov_b32_e32 v2, 0
	v_mov_b32_e32 v3, 1.0
	global_store_dword v2, v3, s[8:9]
.LBB5_28:
	s_or_b32 exec_lo, exec_lo, s0
	v_mov_b32_e32 v2, 0
	global_load_dword v4, v2, s[10:11]
	s_waitcnt vmcnt(0)
	v_cvt_f64_f32_e32 v[2:3], v4
	v_cmp_eq_f32_e64 s0, 1.0, v4
	v_mul_f64 v[2:3], v[5:6], v[2:3]
	v_cndmask_b32_e64 v4, v3, v6, s0
	v_cndmask_b32_e64 v3, v2, v5, s0
	s_or_b32 exec_lo, exec_lo, s3
	s_and_saveexec_b32 s0, vcc_lo
	s_xor_b32 s0, exec_lo, s0
	s_cbranch_execz .LBB5_22
.LBB5_29:
	v_mov_b32_e32 v2, 0
	v_lshlrev_b64 v[0:1], 3, v[1:2]
	s_waitcnt vmcnt(0)
	v_add_co_u32 v5, vcc_lo, s12, v0
	v_add_co_ci_u32_e64 v6, null, s13, v1, vcc_lo
	v_mov_b32_e32 v0, v19
	global_store_dwordx2 v[5:6], v[13:14], off
	s_or_b32 exec_lo, exec_lo, s0
	s_mov_b32 s0, exec_lo
	v_cmpx_gt_i32_e64 s2, v0
	s_cbranch_execz .LBB5_23
.LBB5_30:
	v_add_nc_u32_e32 v1, s1, v0
	v_mov_b32_e32 v2, 0
	v_add_nc_u32_e32 v0, 0x100, v0
	v_lshlrev_b64 v[1:2], 3, v[1:2]
	v_add_co_u32 v1, vcc_lo, s12, v1
	v_add_co_ci_u32_e64 v2, null, s13, v2, vcc_lo
	global_store_dwordx2 v[1:2], v[11:12], off
	s_or_b32 exec_lo, exec_lo, s0
	s_mov_b32 s0, exec_lo
	v_cmpx_gt_i32_e64 s2, v0
	s_cbranch_execz .LBB5_24
.LBB5_31:
	v_add_nc_u32_e32 v1, s1, v0
	v_mov_b32_e32 v2, 0
	v_add_nc_u32_e32 v0, 0x100, v0
	v_lshlrev_b64 v[1:2], 3, v[1:2]
	v_add_co_u32 v1, vcc_lo, s12, v1
	v_add_co_ci_u32_e64 v2, null, s13, v2, vcc_lo
	global_store_dwordx2 v[1:2], v[7:8], off
	s_or_b32 exec_lo, exec_lo, s0
	s_mov_b32 s0, exec_lo
	v_cmpx_gt_i32_e64 s2, v0
	s_cbranch_execz .LBB5_25
.LBB5_32:
	v_add_nc_u32_e32 v0, s1, v0
	v_mov_b32_e32 v1, 0
	v_lshlrev_b64 v[0:1], 3, v[0:1]
	v_add_co_u32 v0, vcc_lo, s12, v0
	v_add_co_ci_u32_e64 v1, null, s13, v1, vcc_lo
	global_store_dwordx2 v[0:1], v[3:4], off
	s_endpgm
	.section	.rodata,"a",@progbits
	.p2align	6, 0x0
	.amdhsa_kernel _ZN2at6native27unrolled_elementwise_kernelIZZZNS0_12_GLOBAL__N_139_amp_non_finite_check_and_unscale_cuda_ERNS_6TensorES4_RKS3_ENKUlvE_clEvENKUlvE_clEvEUldE_St5arrayIPcLm2EELi4E23TrivialOffsetCalculatorILi1EjESE_NS0_6memory15LoadWithoutCastENSF_16StoreWithoutCastEEEviT_T0_T2_T3_T4_T5_
		.amdhsa_group_segment_fixed_size 0
		.amdhsa_private_segment_fixed_size 0
		.amdhsa_kernarg_size 44
		.amdhsa_user_sgpr_count 6
		.amdhsa_user_sgpr_private_segment_buffer 1
		.amdhsa_user_sgpr_dispatch_ptr 0
		.amdhsa_user_sgpr_queue_ptr 0
		.amdhsa_user_sgpr_kernarg_segment_ptr 1
		.amdhsa_user_sgpr_dispatch_id 0
		.amdhsa_user_sgpr_flat_scratch_init 0
		.amdhsa_user_sgpr_private_segment_size 0
		.amdhsa_wavefront_size32 1
		.amdhsa_uses_dynamic_stack 0
		.amdhsa_system_sgpr_private_segment_wavefront_offset 0
		.amdhsa_system_sgpr_workgroup_id_x 1
		.amdhsa_system_sgpr_workgroup_id_y 0
		.amdhsa_system_sgpr_workgroup_id_z 0
		.amdhsa_system_sgpr_workgroup_info 0
		.amdhsa_system_vgpr_workitem_id 0
		.amdhsa_next_free_vgpr 20
		.amdhsa_next_free_sgpr 16
		.amdhsa_reserve_vcc 1
		.amdhsa_reserve_flat_scratch 0
		.amdhsa_float_round_mode_32 0
		.amdhsa_float_round_mode_16_64 0
		.amdhsa_float_denorm_mode_32 3
		.amdhsa_float_denorm_mode_16_64 3
		.amdhsa_dx10_clamp 1
		.amdhsa_ieee_mode 1
		.amdhsa_fp16_overflow 0
		.amdhsa_workgroup_processor_mode 1
		.amdhsa_memory_ordered 1
		.amdhsa_forward_progress 1
		.amdhsa_shared_vgpr_count 0
		.amdhsa_exception_fp_ieee_invalid_op 0
		.amdhsa_exception_fp_denorm_src 0
		.amdhsa_exception_fp_ieee_div_zero 0
		.amdhsa_exception_fp_ieee_overflow 0
		.amdhsa_exception_fp_ieee_underflow 0
		.amdhsa_exception_fp_ieee_inexact 0
		.amdhsa_exception_int_div_zero 0
	.end_amdhsa_kernel
	.section	.text._ZN2at6native27unrolled_elementwise_kernelIZZZNS0_12_GLOBAL__N_139_amp_non_finite_check_and_unscale_cuda_ERNS_6TensorES4_RKS3_ENKUlvE_clEvENKUlvE_clEvEUldE_St5arrayIPcLm2EELi4E23TrivialOffsetCalculatorILi1EjESE_NS0_6memory15LoadWithoutCastENSF_16StoreWithoutCastEEEviT_T0_T2_T3_T4_T5_,"axG",@progbits,_ZN2at6native27unrolled_elementwise_kernelIZZZNS0_12_GLOBAL__N_139_amp_non_finite_check_and_unscale_cuda_ERNS_6TensorES4_RKS3_ENKUlvE_clEvENKUlvE_clEvEUldE_St5arrayIPcLm2EELi4E23TrivialOffsetCalculatorILi1EjESE_NS0_6memory15LoadWithoutCastENSF_16StoreWithoutCastEEEviT_T0_T2_T3_T4_T5_,comdat
.Lfunc_end5:
	.size	_ZN2at6native27unrolled_elementwise_kernelIZZZNS0_12_GLOBAL__N_139_amp_non_finite_check_and_unscale_cuda_ERNS_6TensorES4_RKS3_ENKUlvE_clEvENKUlvE_clEvEUldE_St5arrayIPcLm2EELi4E23TrivialOffsetCalculatorILi1EjESE_NS0_6memory15LoadWithoutCastENSF_16StoreWithoutCastEEEviT_T0_T2_T3_T4_T5_, .Lfunc_end5-_ZN2at6native27unrolled_elementwise_kernelIZZZNS0_12_GLOBAL__N_139_amp_non_finite_check_and_unscale_cuda_ERNS_6TensorES4_RKS3_ENKUlvE_clEvENKUlvE_clEvEUldE_St5arrayIPcLm2EELi4E23TrivialOffsetCalculatorILi1EjESE_NS0_6memory15LoadWithoutCastENSF_16StoreWithoutCastEEEviT_T0_T2_T3_T4_T5_
                                        ; -- End function
	.set _ZN2at6native27unrolled_elementwise_kernelIZZZNS0_12_GLOBAL__N_139_amp_non_finite_check_and_unscale_cuda_ERNS_6TensorES4_RKS3_ENKUlvE_clEvENKUlvE_clEvEUldE_St5arrayIPcLm2EELi4E23TrivialOffsetCalculatorILi1EjESE_NS0_6memory15LoadWithoutCastENSF_16StoreWithoutCastEEEviT_T0_T2_T3_T4_T5_.num_vgpr, 20
	.set _ZN2at6native27unrolled_elementwise_kernelIZZZNS0_12_GLOBAL__N_139_amp_non_finite_check_and_unscale_cuda_ERNS_6TensorES4_RKS3_ENKUlvE_clEvENKUlvE_clEvEUldE_St5arrayIPcLm2EELi4E23TrivialOffsetCalculatorILi1EjESE_NS0_6memory15LoadWithoutCastENSF_16StoreWithoutCastEEEviT_T0_T2_T3_T4_T5_.num_agpr, 0
	.set _ZN2at6native27unrolled_elementwise_kernelIZZZNS0_12_GLOBAL__N_139_amp_non_finite_check_and_unscale_cuda_ERNS_6TensorES4_RKS3_ENKUlvE_clEvENKUlvE_clEvEUldE_St5arrayIPcLm2EELi4E23TrivialOffsetCalculatorILi1EjESE_NS0_6memory15LoadWithoutCastENSF_16StoreWithoutCastEEEviT_T0_T2_T3_T4_T5_.numbered_sgpr, 16
	.set _ZN2at6native27unrolled_elementwise_kernelIZZZNS0_12_GLOBAL__N_139_amp_non_finite_check_and_unscale_cuda_ERNS_6TensorES4_RKS3_ENKUlvE_clEvENKUlvE_clEvEUldE_St5arrayIPcLm2EELi4E23TrivialOffsetCalculatorILi1EjESE_NS0_6memory15LoadWithoutCastENSF_16StoreWithoutCastEEEviT_T0_T2_T3_T4_T5_.num_named_barrier, 0
	.set _ZN2at6native27unrolled_elementwise_kernelIZZZNS0_12_GLOBAL__N_139_amp_non_finite_check_and_unscale_cuda_ERNS_6TensorES4_RKS3_ENKUlvE_clEvENKUlvE_clEvEUldE_St5arrayIPcLm2EELi4E23TrivialOffsetCalculatorILi1EjESE_NS0_6memory15LoadWithoutCastENSF_16StoreWithoutCastEEEviT_T0_T2_T3_T4_T5_.private_seg_size, 0
	.set _ZN2at6native27unrolled_elementwise_kernelIZZZNS0_12_GLOBAL__N_139_amp_non_finite_check_and_unscale_cuda_ERNS_6TensorES4_RKS3_ENKUlvE_clEvENKUlvE_clEvEUldE_St5arrayIPcLm2EELi4E23TrivialOffsetCalculatorILi1EjESE_NS0_6memory15LoadWithoutCastENSF_16StoreWithoutCastEEEviT_T0_T2_T3_T4_T5_.uses_vcc, 1
	.set _ZN2at6native27unrolled_elementwise_kernelIZZZNS0_12_GLOBAL__N_139_amp_non_finite_check_and_unscale_cuda_ERNS_6TensorES4_RKS3_ENKUlvE_clEvENKUlvE_clEvEUldE_St5arrayIPcLm2EELi4E23TrivialOffsetCalculatorILi1EjESE_NS0_6memory15LoadWithoutCastENSF_16StoreWithoutCastEEEviT_T0_T2_T3_T4_T5_.uses_flat_scratch, 0
	.set _ZN2at6native27unrolled_elementwise_kernelIZZZNS0_12_GLOBAL__N_139_amp_non_finite_check_and_unscale_cuda_ERNS_6TensorES4_RKS3_ENKUlvE_clEvENKUlvE_clEvEUldE_St5arrayIPcLm2EELi4E23TrivialOffsetCalculatorILi1EjESE_NS0_6memory15LoadWithoutCastENSF_16StoreWithoutCastEEEviT_T0_T2_T3_T4_T5_.has_dyn_sized_stack, 0
	.set _ZN2at6native27unrolled_elementwise_kernelIZZZNS0_12_GLOBAL__N_139_amp_non_finite_check_and_unscale_cuda_ERNS_6TensorES4_RKS3_ENKUlvE_clEvENKUlvE_clEvEUldE_St5arrayIPcLm2EELi4E23TrivialOffsetCalculatorILi1EjESE_NS0_6memory15LoadWithoutCastENSF_16StoreWithoutCastEEEviT_T0_T2_T3_T4_T5_.has_recursion, 0
	.set _ZN2at6native27unrolled_elementwise_kernelIZZZNS0_12_GLOBAL__N_139_amp_non_finite_check_and_unscale_cuda_ERNS_6TensorES4_RKS3_ENKUlvE_clEvENKUlvE_clEvEUldE_St5arrayIPcLm2EELi4E23TrivialOffsetCalculatorILi1EjESE_NS0_6memory15LoadWithoutCastENSF_16StoreWithoutCastEEEviT_T0_T2_T3_T4_T5_.has_indirect_call, 0
	.section	.AMDGPU.csdata,"",@progbits
; Kernel info:
; codeLenInByte = 1212
; TotalNumSgprs: 18
; NumVgprs: 20
; ScratchSize: 0
; MemoryBound: 0
; FloatMode: 240
; IeeeMode: 1
; LDSByteSize: 0 bytes/workgroup (compile time only)
; SGPRBlocks: 0
; VGPRBlocks: 2
; NumSGPRsForWavesPerEU: 18
; NumVGPRsForWavesPerEU: 20
; Occupancy: 16
; WaveLimiterHint : 0
; COMPUTE_PGM_RSRC2:SCRATCH_EN: 0
; COMPUTE_PGM_RSRC2:USER_SGPR: 6
; COMPUTE_PGM_RSRC2:TRAP_HANDLER: 0
; COMPUTE_PGM_RSRC2:TGID_X_EN: 1
; COMPUTE_PGM_RSRC2:TGID_Y_EN: 0
; COMPUTE_PGM_RSRC2:TGID_Z_EN: 0
; COMPUTE_PGM_RSRC2:TIDIG_COMP_CNT: 0
	.section	.text._ZN2at6native32elementwise_kernel_manual_unrollILi128ELi4EZNS0_22gpu_kernel_impl_nocastIZZZNS0_12_GLOBAL__N_139_amp_non_finite_check_and_unscale_cuda_ERNS_6TensorES5_RKS4_ENKUlvE_clEvENKUlvE_clEvEUldE_EEvRNS_18TensorIteratorBaseERKT_EUlibE_EEviT1_,"axG",@progbits,_ZN2at6native32elementwise_kernel_manual_unrollILi128ELi4EZNS0_22gpu_kernel_impl_nocastIZZZNS0_12_GLOBAL__N_139_amp_non_finite_check_and_unscale_cuda_ERNS_6TensorES5_RKS4_ENKUlvE_clEvENKUlvE_clEvEUldE_EEvRNS_18TensorIteratorBaseERKT_EUlibE_EEviT1_,comdat
	.globl	_ZN2at6native32elementwise_kernel_manual_unrollILi128ELi4EZNS0_22gpu_kernel_impl_nocastIZZZNS0_12_GLOBAL__N_139_amp_non_finite_check_and_unscale_cuda_ERNS_6TensorES5_RKS4_ENKUlvE_clEvENKUlvE_clEvEUldE_EEvRNS_18TensorIteratorBaseERKT_EUlibE_EEviT1_ ; -- Begin function _ZN2at6native32elementwise_kernel_manual_unrollILi128ELi4EZNS0_22gpu_kernel_impl_nocastIZZZNS0_12_GLOBAL__N_139_amp_non_finite_check_and_unscale_cuda_ERNS_6TensorES5_RKS4_ENKUlvE_clEvENKUlvE_clEvEUldE_EEvRNS_18TensorIteratorBaseERKT_EUlibE_EEviT1_
	.p2align	8
	.type	_ZN2at6native32elementwise_kernel_manual_unrollILi128ELi4EZNS0_22gpu_kernel_impl_nocastIZZZNS0_12_GLOBAL__N_139_amp_non_finite_check_and_unscale_cuda_ERNS_6TensorES5_RKS4_ENKUlvE_clEvENKUlvE_clEvEUldE_EEvRNS_18TensorIteratorBaseERKT_EUlibE_EEviT1_,@function
_ZN2at6native32elementwise_kernel_manual_unrollILi128ELi4EZNS0_22gpu_kernel_impl_nocastIZZZNS0_12_GLOBAL__N_139_amp_non_finite_check_and_unscale_cuda_ERNS_6TensorES5_RKS4_ENKUlvE_clEvENKUlvE_clEvEUldE_EEvRNS_18TensorIteratorBaseERKT_EUlibE_EEviT1_: ; @_ZN2at6native32elementwise_kernel_manual_unrollILi128ELi4EZNS0_22gpu_kernel_impl_nocastIZZZNS0_12_GLOBAL__N_139_amp_non_finite_check_and_unscale_cuda_ERNS_6TensorES5_RKS4_ENKUlvE_clEvENKUlvE_clEvEUldE_EEvRNS_18TensorIteratorBaseERKT_EUlibE_EEviT1_
; %bb.0:
	s_clause 0x1
	s_load_dword s26, s[4:5], 0x8
	s_load_dword s31, s[4:5], 0x0
	v_lshl_or_b32 v7, s6, 9, v0
	s_add_u32 s16, s4, 8
	s_addc_u32 s17, s5, 0
	s_mov_b32 s0, exec_lo
	v_or_b32_e32 v13, 0x180, v7
	s_waitcnt lgkmcnt(0)
	s_add_i32 s27, s26, -1
	s_cmp_gt_u32 s27, 1
	s_cselect_b32 s28, -1, 0
	v_cmpx_le_i32_e64 s31, v13
	s_xor_b32 s29, exec_lo, s0
	s_cbranch_execz .LBB6_7
; %bb.1:
	s_clause 0x3
	s_load_dwordx4 s[12:15], s[16:17], 0x4
	s_load_dwordx2 s[18:19], s[16:17], 0x14
	s_load_dwordx4 s[8:11], s[16:17], 0xc4
	s_load_dwordx8 s[0:7], s[16:17], 0x148
	s_cmp_lg_u32 s26, 0
	s_mov_b32 s35, exec_lo
	s_cselect_b32 s34, -1, 0
	s_add_u32 s20, s16, 0xc4
	s_addc_u32 s21, s17, 0
	s_min_u32 s33, s27, 15
	s_cmp_gt_u32 s26, 1
	s_cselect_b32 s30, -1, 0
	v_cmpx_gt_i32_e64 s31, v7
	s_cbranch_execz .LBB6_14
; %bb.2:
	s_andn2_b32 vcc_lo, exec_lo, s28
	s_cbranch_vccnz .LBB6_21
; %bb.3:
	s_andn2_b32 vcc_lo, exec_lo, s34
	s_cbranch_vccnz .LBB6_81
; %bb.4:
	s_add_i32 s37, s33, 1
	s_cmp_eq_u32 s27, 2
	s_cbranch_scc1 .LBB6_83
; %bb.5:
	v_mov_b32_e32 v2, 0
	v_mov_b32_e32 v0, 0
	;; [unrolled: 1-line block ×3, first 2 shown]
	s_and_b32 s36, s37, 28
	s_mov_b32 s38, 0
	s_mov_b64 s[22:23], s[16:17]
	s_mov_b64 s[24:25], s[20:21]
.LBB6_6:                                ; =>This Inner Loop Header: Depth=1
	s_clause 0x1
	s_load_dwordx8 s[40:47], s[22:23], 0x4
	s_load_dwordx4 s[56:59], s[22:23], 0x24
	s_load_dwordx8 s[48:55], s[24:25], 0x0
	s_add_u32 s22, s22, 48
	s_addc_u32 s23, s23, 0
	s_add_i32 s38, s38, 4
	s_add_u32 s24, s24, 32
	s_addc_u32 s25, s25, 0
	s_cmp_lg_u32 s36, s38
	s_waitcnt lgkmcnt(0)
	v_mul_hi_u32 v3, s41, v1
	v_add_nc_u32_e32 v3, v1, v3
	v_lshrrev_b32_e32 v3, s42, v3
	v_mul_hi_u32 v4, s44, v3
	v_mul_lo_u32 v6, v3, s40
	v_add_nc_u32_e32 v4, v3, v4
	v_sub_nc_u32_e32 v1, v1, v6
	v_lshrrev_b32_e32 v4, s45, v4
	v_mul_lo_u32 v6, v1, s48
	v_mul_lo_u32 v9, v1, s49
	v_mul_hi_u32 v5, s47, v4
	v_add_nc_u32_e32 v5, v4, v5
	v_lshrrev_b32_e32 v5, s56, v5
	v_mul_hi_u32 v8, s58, v5
	v_mul_lo_u32 v10, v5, s46
	v_add_nc_u32_e32 v1, v5, v8
	v_mul_lo_u32 v8, v4, s43
	v_sub_nc_u32_e32 v4, v4, v10
	v_lshrrev_b32_e32 v1, s59, v1
	v_mul_lo_u32 v10, v4, s52
	v_mul_lo_u32 v4, v4, s53
	v_sub_nc_u32_e32 v3, v3, v8
	v_mul_lo_u32 v11, v1, s57
	v_mul_lo_u32 v8, v3, s50
	;; [unrolled: 1-line block ×3, first 2 shown]
	v_sub_nc_u32_e32 v5, v5, v11
	v_add3_u32 v0, v6, v0, v8
	v_mul_lo_u32 v11, v5, s54
	v_mul_lo_u32 v5, v5, s55
	v_add3_u32 v2, v9, v2, v3
	v_add3_u32 v0, v10, v0, v11
	;; [unrolled: 1-line block ×3, first 2 shown]
	s_cbranch_scc1 .LBB6_6
	s_branch .LBB6_84
.LBB6_7:
	s_andn2_saveexec_b32 s0, s29
	s_cbranch_execz .LBB6_113
.LBB6_8:
	v_cndmask_b32_e64 v10, 0, 1, s28
	s_andn2_b32 vcc_lo, exec_lo, s28
	s_cbranch_vccnz .LBB6_20
; %bb.9:
	s_cmp_lg_u32 s26, 0
	s_mov_b32 s4, 0
	s_cbranch_scc0 .LBB6_23
; %bb.10:
	s_min_u32 s6, s27, 15
	s_add_i32 s6, s6, 1
	s_cmp_eq_u32 s27, 2
	s_cbranch_scc1 .LBB6_24
; %bb.11:
	v_mov_b32_e32 v2, 0
	v_mov_b32_e32 v0, 0
	;; [unrolled: 1-line block ×3, first 2 shown]
	s_and_b32 s5, s6, 28
	s_add_u32 s0, s16, 0xc4
	s_addc_u32 s1, s17, 0
	s_mov_b32 s7, 0
	s_mov_b64 s[2:3], s[16:17]
.LBB6_12:                               ; =>This Inner Loop Header: Depth=1
	s_clause 0x1
	s_load_dwordx8 s[8:15], s[2:3], 0x4
	s_load_dwordx4 s[20:23], s[2:3], 0x24
	s_load_dwordx8 s[36:43], s[0:1], 0x0
	s_add_u32 s2, s2, 48
	s_addc_u32 s3, s3, 0
	s_add_i32 s7, s7, 4
	s_add_u32 s0, s0, 32
	s_addc_u32 s1, s1, 0
	s_cmp_lg_u32 s5, s7
	s_waitcnt lgkmcnt(0)
	v_mul_hi_u32 v3, s9, v1
	v_add_nc_u32_e32 v3, v1, v3
	v_lshrrev_b32_e32 v3, s10, v3
	v_mul_hi_u32 v4, s12, v3
	v_mul_lo_u32 v6, v3, s8
	v_add_nc_u32_e32 v4, v3, v4
	v_sub_nc_u32_e32 v1, v1, v6
	v_lshrrev_b32_e32 v4, s13, v4
	v_mul_lo_u32 v6, v1, s36
	v_mul_lo_u32 v9, v1, s37
	v_mul_hi_u32 v5, s15, v4
	v_add_nc_u32_e32 v5, v4, v5
	v_lshrrev_b32_e32 v5, s20, v5
	v_mul_hi_u32 v8, s22, v5
	v_mul_lo_u32 v11, v5, s14
	v_add_nc_u32_e32 v1, v5, v8
	v_mul_lo_u32 v8, v4, s11
	v_sub_nc_u32_e32 v4, v4, v11
	v_lshrrev_b32_e32 v1, s23, v1
	v_mul_lo_u32 v11, v4, s40
	v_mul_lo_u32 v4, v4, s41
	v_sub_nc_u32_e32 v3, v3, v8
	v_mul_lo_u32 v12, v1, s21
	v_mul_lo_u32 v8, v3, s38
	;; [unrolled: 1-line block ×3, first 2 shown]
	v_sub_nc_u32_e32 v5, v5, v12
	v_add3_u32 v0, v6, v0, v8
	v_mul_lo_u32 v12, v5, s42
	v_mul_lo_u32 v5, v5, s43
	v_add3_u32 v2, v9, v2, v3
	v_add3_u32 v0, v11, v0, v12
	;; [unrolled: 1-line block ×3, first 2 shown]
	s_cbranch_scc1 .LBB6_12
; %bb.13:
	s_and_b32 s6, s6, 3
	s_cmp_eq_u32 s6, 0
	s_cbranch_scc0 .LBB6_25
	s_branch .LBB6_27
.LBB6_14:
	s_or_b32 exec_lo, exec_lo, s35
	s_mov_b32 s35, exec_lo
	v_cmpx_gt_i32_e64 s31, v7
	s_cbranch_execz .LBB6_93
.LBB6_15:
	s_andn2_b32 vcc_lo, exec_lo, s28
	s_cbranch_vccnz .LBB6_22
; %bb.16:
	s_andn2_b32 vcc_lo, exec_lo, s34
	s_cbranch_vccnz .LBB6_82
; %bb.17:
	s_add_i32 s37, s33, 1
	s_cmp_eq_u32 s27, 2
	s_cbranch_scc1 .LBB6_101
; %bb.18:
	v_mov_b32_e32 v2, 0
	v_mov_b32_e32 v0, 0
	;; [unrolled: 1-line block ×3, first 2 shown]
	s_and_b32 s36, s37, 28
	s_mov_b32 s38, 0
	s_mov_b64 s[22:23], s[16:17]
	s_mov_b64 s[24:25], s[20:21]
.LBB6_19:                               ; =>This Inner Loop Header: Depth=1
	s_clause 0x1
	s_load_dwordx8 s[40:47], s[22:23], 0x4
	s_load_dwordx4 s[56:59], s[22:23], 0x24
	s_load_dwordx8 s[48:55], s[24:25], 0x0
	s_add_u32 s22, s22, 48
	s_addc_u32 s23, s23, 0
	s_add_i32 s38, s38, 4
	s_add_u32 s24, s24, 32
	s_addc_u32 s25, s25, 0
	s_cmp_eq_u32 s36, s38
	s_waitcnt lgkmcnt(0)
	v_mul_hi_u32 v3, s41, v1
	v_add_nc_u32_e32 v3, v1, v3
	v_lshrrev_b32_e32 v3, s42, v3
	v_mul_hi_u32 v4, s44, v3
	v_mul_lo_u32 v6, v3, s40
	v_add_nc_u32_e32 v4, v3, v4
	v_sub_nc_u32_e32 v1, v1, v6
	v_lshrrev_b32_e32 v4, s45, v4
	v_mul_lo_u32 v6, v1, s48
	v_mul_lo_u32 v9, v1, s49
	v_mul_hi_u32 v5, s47, v4
	v_add_nc_u32_e32 v5, v4, v5
	v_lshrrev_b32_e32 v5, s56, v5
	v_mul_hi_u32 v8, s58, v5
	v_mul_lo_u32 v10, v5, s46
	v_add_nc_u32_e32 v1, v5, v8
	v_mul_lo_u32 v8, v4, s43
	v_sub_nc_u32_e32 v4, v4, v10
	v_lshrrev_b32_e32 v1, s59, v1
	v_mul_lo_u32 v10, v4, s52
	v_mul_lo_u32 v4, v4, s53
	v_sub_nc_u32_e32 v3, v3, v8
	v_mul_lo_u32 v11, v1, s57
	v_mul_lo_u32 v8, v3, s50
	v_mul_lo_u32 v3, v3, s51
	v_sub_nc_u32_e32 v5, v5, v11
	v_add3_u32 v0, v6, v0, v8
	v_mul_lo_u32 v11, v5, s54
	v_mul_lo_u32 v5, v5, s55
	v_add3_u32 v2, v9, v2, v3
	v_add3_u32 v0, v10, v0, v11
	;; [unrolled: 1-line block ×3, first 2 shown]
	s_cbranch_scc0 .LBB6_19
	s_branch .LBB6_102
.LBB6_20:
	s_mov_b32 s4, -1
                                        ; implicit-def: $vgpr0
                                        ; implicit-def: $vgpr2
	s_branch .LBB6_27
.LBB6_21:
                                        ; implicit-def: $vgpr0
                                        ; implicit-def: $vgpr2
	s_branch .LBB6_88
.LBB6_22:
                                        ; implicit-def: $vgpr0
                                        ; implicit-def: $vgpr2
	s_branch .LBB6_106
.LBB6_23:
	v_mov_b32_e32 v0, 0
	v_mov_b32_e32 v2, 0
	s_branch .LBB6_27
.LBB6_24:
	v_mov_b32_e32 v0, 0
	v_mov_b32_e32 v2, 0
	;; [unrolled: 1-line block ×3, first 2 shown]
	s_mov_b32 s5, 0
	s_and_b32 s6, s6, 3
	s_cmp_eq_u32 s6, 0
	s_cbranch_scc1 .LBB6_27
.LBB6_25:
	s_lshl_b32 s0, s5, 3
	s_mul_i32 s2, s5, 12
	s_add_u32 s0, s16, s0
	s_addc_u32 s1, s17, 0
	s_add_u32 s0, s0, 0xc4
	s_addc_u32 s1, s1, 0
	;; [unrolled: 2-line block ×3, first 2 shown]
	.p2align	6
.LBB6_26:                               ; =>This Inner Loop Header: Depth=1
	s_clause 0x1
	s_load_dwordx2 s[8:9], s[2:3], 0x4
	s_load_dword s5, s[2:3], 0xc
	s_load_dwordx2 s[10:11], s[0:1], 0x0
	s_add_u32 s2, s2, 12
	s_addc_u32 s3, s3, 0
	s_add_u32 s0, s0, 8
	s_addc_u32 s1, s1, 0
	s_add_i32 s6, s6, -1
	s_cmp_lg_u32 s6, 0
	s_waitcnt lgkmcnt(0)
	v_mul_hi_u32 v3, s9, v1
	v_add_nc_u32_e32 v3, v1, v3
	v_lshrrev_b32_e32 v4, s5, v3
	v_mul_lo_u32 v3, v4, s8
	v_sub_nc_u32_e32 v3, v1, v3
	v_mad_u64_u32 v[0:1], null, v3, s10, v[0:1]
	v_mad_u64_u32 v[2:3], null, v3, s11, v[2:3]
	v_mov_b32_e32 v1, v4
	s_cbranch_scc1 .LBB6_26
.LBB6_27:
	s_andn2_b32 vcc_lo, exec_lo, s4
	s_cbranch_vccnz .LBB6_30
; %bb.28:
	s_clause 0x1
	s_load_dwordx4 s[0:3], s[16:17], 0x4
	s_load_dwordx2 s[4:5], s[16:17], 0xc4
	s_cmp_lt_u32 s26, 2
	s_waitcnt lgkmcnt(0)
	v_mul_hi_u32 v0, s1, v7
	v_add_nc_u32_e32 v0, v7, v0
	v_lshrrev_b32_e32 v1, s2, v0
	v_mul_lo_u32 v0, v1, s0
	v_sub_nc_u32_e32 v2, v7, v0
	v_mul_lo_u32 v0, v2, s4
	v_mul_lo_u32 v2, v2, s5
	s_cbranch_scc1 .LBB6_30
; %bb.29:
	s_clause 0x1
	s_load_dwordx4 s[0:3], s[16:17], 0x10
	s_load_dwordx2 s[4:5], s[16:17], 0xcc
	s_waitcnt lgkmcnt(0)
	v_mul_hi_u32 v3, s1, v1
	v_add_nc_u32_e32 v3, v1, v3
	v_lshrrev_b32_e32 v3, s2, v3
	v_mul_lo_u32 v3, v3, s0
	v_sub_nc_u32_e32 v3, v1, v3
	v_mad_u64_u32 v[0:1], null, v3, s4, v[0:1]
	v_mad_u64_u32 v[2:3], null, v3, s5, v[2:3]
.LBB6_30:
	v_cmp_ne_u32_e32 vcc_lo, 1, v10
	v_add_nc_u32_e32 v1, 0x80, v7
	s_cbranch_vccnz .LBB6_36
; %bb.31:
	s_cmp_lg_u32 s26, 0
	s_mov_b32 s4, 0
	s_cbranch_scc0 .LBB6_37
; %bb.32:
	s_min_u32 s6, s27, 15
	s_add_i32 s6, s6, 1
	s_cmp_eq_u32 s27, 2
	s_cbranch_scc1 .LBB6_38
; %bb.33:
	v_mov_b32_e32 v5, 0
	v_mov_b32_e32 v3, 0
	;; [unrolled: 1-line block ×3, first 2 shown]
	s_and_b32 s5, s6, 28
	s_add_u32 s0, s16, 0xc4
	s_addc_u32 s1, s17, 0
	s_mov_b32 s7, 0
	s_mov_b64 s[2:3], s[16:17]
.LBB6_34:                               ; =>This Inner Loop Header: Depth=1
	s_clause 0x1
	s_load_dwordx8 s[8:15], s[2:3], 0x4
	s_load_dwordx4 s[20:23], s[2:3], 0x24
	s_load_dwordx8 s[36:43], s[0:1], 0x0
	s_add_u32 s2, s2, 48
	s_addc_u32 s3, s3, 0
	s_add_i32 s7, s7, 4
	s_add_u32 s0, s0, 32
	s_addc_u32 s1, s1, 0
	s_cmp_lg_u32 s5, s7
	s_waitcnt lgkmcnt(0)
	v_mul_hi_u32 v6, s9, v4
	v_add_nc_u32_e32 v6, v4, v6
	v_lshrrev_b32_e32 v6, s10, v6
	v_mul_hi_u32 v8, s12, v6
	v_mul_lo_u32 v11, v6, s8
	v_add_nc_u32_e32 v8, v6, v8
	v_sub_nc_u32_e32 v4, v4, v11
	v_lshrrev_b32_e32 v8, s13, v8
	v_mul_lo_u32 v11, v4, s36
	v_mul_lo_u32 v14, v4, s37
	v_mul_hi_u32 v9, s15, v8
	v_add_nc_u32_e32 v9, v8, v9
	v_lshrrev_b32_e32 v9, s20, v9
	v_mul_hi_u32 v12, s22, v9
	v_mul_lo_u32 v15, v9, s14
	v_add_nc_u32_e32 v4, v9, v12
	v_mul_lo_u32 v12, v8, s11
	v_sub_nc_u32_e32 v8, v8, v15
	v_lshrrev_b32_e32 v4, s23, v4
	v_mul_lo_u32 v15, v8, s40
	v_mul_lo_u32 v8, v8, s41
	v_sub_nc_u32_e32 v6, v6, v12
	v_mul_lo_u32 v16, v4, s21
	v_mul_lo_u32 v12, v6, s38
	;; [unrolled: 1-line block ×3, first 2 shown]
	v_sub_nc_u32_e32 v9, v9, v16
	v_add3_u32 v3, v11, v3, v12
	v_mul_lo_u32 v16, v9, s42
	v_mul_lo_u32 v9, v9, s43
	v_add3_u32 v5, v14, v5, v6
	v_add3_u32 v3, v15, v3, v16
	;; [unrolled: 1-line block ×3, first 2 shown]
	s_cbranch_scc1 .LBB6_34
; %bb.35:
	s_and_b32 s6, s6, 3
	s_cmp_eq_u32 s6, 0
	s_cbranch_scc0 .LBB6_39
	s_branch .LBB6_41
.LBB6_36:
	s_mov_b32 s4, -1
                                        ; implicit-def: $vgpr3
                                        ; implicit-def: $vgpr5
	s_branch .LBB6_41
.LBB6_37:
	v_mov_b32_e32 v3, 0
	v_mov_b32_e32 v5, 0
	s_branch .LBB6_41
.LBB6_38:
	v_mov_b32_e32 v3, 0
	v_mov_b32_e32 v5, 0
	;; [unrolled: 1-line block ×3, first 2 shown]
	s_mov_b32 s5, 0
	s_and_b32 s6, s6, 3
	s_cmp_eq_u32 s6, 0
	s_cbranch_scc1 .LBB6_41
.LBB6_39:
	s_lshl_b32 s0, s5, 3
	s_mul_i32 s2, s5, 12
	s_add_u32 s0, s16, s0
	s_addc_u32 s1, s17, 0
	s_add_u32 s0, s0, 0xc4
	s_addc_u32 s1, s1, 0
	;; [unrolled: 2-line block ×3, first 2 shown]
	.p2align	6
.LBB6_40:                               ; =>This Inner Loop Header: Depth=1
	s_clause 0x1
	s_load_dwordx2 s[8:9], s[2:3], 0x4
	s_load_dword s5, s[2:3], 0xc
	s_load_dwordx2 s[10:11], s[0:1], 0x0
	s_add_u32 s2, s2, 12
	s_addc_u32 s3, s3, 0
	s_add_u32 s0, s0, 8
	s_addc_u32 s1, s1, 0
	s_add_i32 s6, s6, -1
	s_cmp_lg_u32 s6, 0
	s_waitcnt lgkmcnt(0)
	v_mul_hi_u32 v6, s9, v4
	v_add_nc_u32_e32 v6, v4, v6
	v_lshrrev_b32_e32 v8, s5, v6
	v_mul_lo_u32 v6, v8, s8
	v_sub_nc_u32_e32 v6, v4, v6
	v_mad_u64_u32 v[3:4], null, v6, s10, v[3:4]
	v_mad_u64_u32 v[5:6], null, v6, s11, v[5:6]
	v_mov_b32_e32 v4, v8
	s_cbranch_scc1 .LBB6_40
.LBB6_41:
	s_andn2_b32 vcc_lo, exec_lo, s4
	s_cbranch_vccnz .LBB6_44
; %bb.42:
	s_clause 0x1
	s_load_dwordx4 s[0:3], s[16:17], 0x4
	s_load_dwordx2 s[4:5], s[16:17], 0xc4
	s_cmp_lt_u32 s26, 2
	s_waitcnt lgkmcnt(0)
	v_mul_hi_u32 v3, s1, v1
	v_add_nc_u32_e32 v3, v1, v3
	v_lshrrev_b32_e32 v4, s2, v3
	v_mul_lo_u32 v3, v4, s0
	v_sub_nc_u32_e32 v1, v1, v3
	v_mul_lo_u32 v3, v1, s4
	v_mul_lo_u32 v5, v1, s5
	s_cbranch_scc1 .LBB6_44
; %bb.43:
	s_clause 0x1
	s_load_dwordx4 s[0:3], s[16:17], 0x10
	s_load_dwordx2 s[4:5], s[16:17], 0xcc
	s_waitcnt lgkmcnt(0)
	v_mul_hi_u32 v1, s1, v4
	v_add_nc_u32_e32 v1, v4, v1
	v_lshrrev_b32_e32 v1, s2, v1
	v_mul_lo_u32 v1, v1, s0
	v_sub_nc_u32_e32 v1, v4, v1
	v_mad_u64_u32 v[3:4], null, v1, s4, v[3:4]
	v_mad_u64_u32 v[5:6], null, v1, s5, v[5:6]
.LBB6_44:
	v_cmp_ne_u32_e32 vcc_lo, 1, v10
	v_add_nc_u32_e32 v1, 0x100, v7
	s_cbranch_vccnz .LBB6_50
; %bb.45:
	s_cmp_lg_u32 s26, 0
	s_mov_b32 s4, 0
	s_cbranch_scc0 .LBB6_51
; %bb.46:
	s_min_u32 s6, s27, 15
	s_add_i32 s6, s6, 1
	s_cmp_eq_u32 s27, 2
	s_cbranch_scc1 .LBB6_52
; %bb.47:
	v_mov_b32_e32 v8, 0
	v_mov_b32_e32 v6, 0
	v_mov_b32_e32 v4, v1
	s_and_b32 s5, s6, 28
	s_add_u32 s0, s16, 0xc4
	s_addc_u32 s1, s17, 0
	s_mov_b32 s7, 0
	s_mov_b64 s[2:3], s[16:17]
.LBB6_48:                               ; =>This Inner Loop Header: Depth=1
	s_clause 0x1
	s_load_dwordx8 s[8:15], s[2:3], 0x4
	s_load_dwordx4 s[20:23], s[2:3], 0x24
	s_load_dwordx8 s[36:43], s[0:1], 0x0
	s_add_u32 s2, s2, 48
	s_addc_u32 s3, s3, 0
	s_add_i32 s7, s7, 4
	s_add_u32 s0, s0, 32
	s_addc_u32 s1, s1, 0
	s_cmp_lg_u32 s5, s7
	s_waitcnt lgkmcnt(0)
	v_mul_hi_u32 v7, s9, v4
	v_add_nc_u32_e32 v7, v4, v7
	v_lshrrev_b32_e32 v7, s10, v7
	v_mul_hi_u32 v9, s12, v7
	v_mul_lo_u32 v12, v7, s8
	v_add_nc_u32_e32 v9, v7, v9
	v_sub_nc_u32_e32 v4, v4, v12
	v_lshrrev_b32_e32 v9, s13, v9
	v_mul_lo_u32 v12, v4, s36
	v_mul_lo_u32 v15, v4, s37
	v_mul_hi_u32 v11, s15, v9
	v_add_nc_u32_e32 v11, v9, v11
	v_lshrrev_b32_e32 v11, s20, v11
	v_mul_hi_u32 v14, s22, v11
	v_mul_lo_u32 v16, v11, s14
	v_add_nc_u32_e32 v4, v11, v14
	v_mul_lo_u32 v14, v9, s11
	v_sub_nc_u32_e32 v9, v9, v16
	v_lshrrev_b32_e32 v4, s23, v4
	v_mul_lo_u32 v16, v9, s40
	v_mul_lo_u32 v9, v9, s41
	v_sub_nc_u32_e32 v7, v7, v14
	v_mul_lo_u32 v17, v4, s21
	v_mul_lo_u32 v14, v7, s38
	;; [unrolled: 1-line block ×3, first 2 shown]
	v_sub_nc_u32_e32 v11, v11, v17
	v_add3_u32 v6, v12, v6, v14
	v_mul_lo_u32 v17, v11, s42
	v_mul_lo_u32 v11, v11, s43
	v_add3_u32 v7, v15, v8, v7
	v_add3_u32 v6, v16, v6, v17
	;; [unrolled: 1-line block ×3, first 2 shown]
	s_cbranch_scc1 .LBB6_48
; %bb.49:
	s_and_b32 s6, s6, 3
	s_cmp_eq_u32 s6, 0
	s_cbranch_scc0 .LBB6_53
	s_branch .LBB6_55
.LBB6_50:
	s_mov_b32 s4, -1
                                        ; implicit-def: $vgpr6
                                        ; implicit-def: $vgpr8
	s_branch .LBB6_55
.LBB6_51:
	v_mov_b32_e32 v6, 0
	v_mov_b32_e32 v8, 0
	s_branch .LBB6_55
.LBB6_52:
	v_mov_b32_e32 v6, 0
	v_mov_b32_e32 v8, 0
	;; [unrolled: 1-line block ×3, first 2 shown]
	s_mov_b32 s5, 0
	s_and_b32 s6, s6, 3
	s_cmp_eq_u32 s6, 0
	s_cbranch_scc1 .LBB6_55
.LBB6_53:
	s_lshl_b32 s0, s5, 3
	s_mul_i32 s2, s5, 12
	s_add_u32 s0, s16, s0
	s_addc_u32 s1, s17, 0
	s_add_u32 s0, s0, 0xc4
	s_addc_u32 s1, s1, 0
	;; [unrolled: 2-line block ×3, first 2 shown]
	.p2align	6
.LBB6_54:                               ; =>This Inner Loop Header: Depth=1
	s_clause 0x1
	s_load_dwordx2 s[8:9], s[2:3], 0x4
	s_load_dword s5, s[2:3], 0xc
	s_load_dwordx2 s[10:11], s[0:1], 0x0
	s_add_u32 s2, s2, 12
	s_addc_u32 s3, s3, 0
	s_add_u32 s0, s0, 8
	s_addc_u32 s1, s1, 0
	s_add_i32 s6, s6, -1
	s_cmp_lg_u32 s6, 0
	s_waitcnt lgkmcnt(0)
	v_mul_hi_u32 v7, s9, v4
	v_add_nc_u32_e32 v7, v4, v7
	v_lshrrev_b32_e32 v11, s5, v7
	v_mul_lo_u32 v7, v11, s8
	v_sub_nc_u32_e32 v4, v4, v7
	v_mad_u64_u32 v[6:7], null, v4, s10, v[6:7]
	v_mad_u64_u32 v[8:9], null, v4, s11, v[8:9]
	v_mov_b32_e32 v4, v11
	s_cbranch_scc1 .LBB6_54
.LBB6_55:
	s_andn2_b32 vcc_lo, exec_lo, s4
	s_cbranch_vccnz .LBB6_58
; %bb.56:
	s_clause 0x1
	s_load_dwordx4 s[0:3], s[16:17], 0x4
	s_load_dwordx2 s[4:5], s[16:17], 0xc4
	s_cmp_lt_u32 s26, 2
	s_waitcnt lgkmcnt(0)
	v_mul_hi_u32 v4, s1, v1
	v_add_nc_u32_e32 v4, v1, v4
	v_lshrrev_b32_e32 v4, s2, v4
	v_mul_lo_u32 v6, v4, s0
	v_sub_nc_u32_e32 v1, v1, v6
	v_mul_lo_u32 v6, v1, s4
	v_mul_lo_u32 v8, v1, s5
	s_cbranch_scc1 .LBB6_58
; %bb.57:
	s_clause 0x1
	s_load_dwordx4 s[0:3], s[16:17], 0x10
	s_load_dwordx2 s[4:5], s[16:17], 0xcc
	s_waitcnt lgkmcnt(0)
	v_mul_hi_u32 v1, s1, v4
	v_add_nc_u32_e32 v1, v4, v1
	v_lshrrev_b32_e32 v1, s2, v1
	v_mul_lo_u32 v1, v1, s0
	v_sub_nc_u32_e32 v1, v4, v1
	v_mad_u64_u32 v[6:7], null, v1, s4, v[6:7]
	v_mad_u64_u32 v[8:9], null, v1, s5, v[8:9]
.LBB6_58:
	v_cmp_ne_u32_e32 vcc_lo, 1, v10
	s_cbranch_vccnz .LBB6_64
; %bb.59:
	s_cmp_lg_u32 s26, 0
	s_mov_b32 s4, 0
	s_cbranch_scc0 .LBB6_65
; %bb.60:
	s_min_u32 s6, s27, 15
	s_add_i32 s6, s6, 1
	s_cmp_eq_u32 s27, 2
	s_cbranch_scc1 .LBB6_66
; %bb.61:
	v_mov_b32_e32 v11, 0
	v_mov_b32_e32 v9, 0
	;; [unrolled: 1-line block ×3, first 2 shown]
	s_and_b32 s5, s6, 28
	s_add_u32 s0, s16, 0xc4
	s_addc_u32 s1, s17, 0
	s_mov_b32 s7, 0
	s_mov_b64 s[2:3], s[16:17]
.LBB6_62:                               ; =>This Inner Loop Header: Depth=1
	s_clause 0x1
	s_load_dwordx8 s[8:15], s[2:3], 0x4
	s_load_dwordx4 s[20:23], s[2:3], 0x24
	s_load_dwordx8 s[36:43], s[0:1], 0x0
	s_add_u32 s2, s2, 48
	s_addc_u32 s3, s3, 0
	s_add_i32 s7, s7, 4
	s_add_u32 s0, s0, 32
	s_addc_u32 s1, s1, 0
	s_cmp_lg_u32 s5, s7
	s_waitcnt lgkmcnt(0)
	v_mul_hi_u32 v4, s9, v1
	v_add_nc_u32_e32 v4, v1, v4
	v_lshrrev_b32_e32 v4, s10, v4
	v_mul_hi_u32 v7, s12, v4
	v_mul_lo_u32 v12, v4, s8
	v_add_nc_u32_e32 v7, v4, v7
	v_sub_nc_u32_e32 v1, v1, v12
	v_lshrrev_b32_e32 v7, s13, v7
	v_mul_lo_u32 v12, v1, s36
	v_mul_lo_u32 v15, v1, s37
	v_mul_hi_u32 v10, s15, v7
	v_add_nc_u32_e32 v10, v7, v10
	v_lshrrev_b32_e32 v10, s20, v10
	v_mul_hi_u32 v14, s22, v10
	v_mul_lo_u32 v16, v10, s14
	v_add_nc_u32_e32 v1, v10, v14
	v_mul_lo_u32 v14, v7, s11
	v_sub_nc_u32_e32 v7, v7, v16
	v_lshrrev_b32_e32 v1, s23, v1
	v_mul_lo_u32 v16, v7, s40
	v_mul_lo_u32 v7, v7, s41
	v_sub_nc_u32_e32 v4, v4, v14
	v_mul_lo_u32 v17, v1, s21
	v_mul_lo_u32 v14, v4, s38
	;; [unrolled: 1-line block ×3, first 2 shown]
	v_sub_nc_u32_e32 v10, v10, v17
	v_add3_u32 v9, v12, v9, v14
	v_mul_lo_u32 v17, v10, s42
	v_mul_lo_u32 v10, v10, s43
	v_add3_u32 v4, v15, v11, v4
	v_add3_u32 v9, v16, v9, v17
	;; [unrolled: 1-line block ×3, first 2 shown]
	s_cbranch_scc1 .LBB6_62
; %bb.63:
	s_and_b32 s6, s6, 3
	s_cmp_eq_u32 s6, 0
	s_cbranch_scc0 .LBB6_67
	s_branch .LBB6_69
.LBB6_64:
	s_mov_b32 s4, -1
                                        ; implicit-def: $vgpr9
                                        ; implicit-def: $vgpr11
	s_branch .LBB6_69
.LBB6_65:
	v_mov_b32_e32 v9, 0
	v_mov_b32_e32 v11, 0
	s_branch .LBB6_69
.LBB6_66:
	v_mov_b32_e32 v9, 0
	v_mov_b32_e32 v11, 0
	;; [unrolled: 1-line block ×3, first 2 shown]
	s_mov_b32 s5, 0
	s_and_b32 s6, s6, 3
	s_cmp_eq_u32 s6, 0
	s_cbranch_scc1 .LBB6_69
.LBB6_67:
	s_lshl_b32 s0, s5, 3
	s_mul_i32 s2, s5, 12
	s_add_u32 s0, s16, s0
	s_addc_u32 s1, s17, 0
	s_add_u32 s0, s0, 0xc4
	s_addc_u32 s1, s1, 0
	;; [unrolled: 2-line block ×3, first 2 shown]
	.p2align	6
.LBB6_68:                               ; =>This Inner Loop Header: Depth=1
	s_clause 0x1
	s_load_dwordx2 s[8:9], s[2:3], 0x4
	s_load_dword s5, s[2:3], 0xc
	s_load_dwordx2 s[10:11], s[0:1], 0x0
	s_add_u32 s2, s2, 12
	s_addc_u32 s3, s3, 0
	s_add_u32 s0, s0, 8
	s_addc_u32 s1, s1, 0
	s_add_i32 s6, s6, -1
	s_cmp_lg_u32 s6, 0
	s_waitcnt lgkmcnt(0)
	v_mul_hi_u32 v4, s9, v1
	v_add_nc_u32_e32 v4, v1, v4
	v_lshrrev_b32_e32 v4, s5, v4
	v_mul_lo_u32 v7, v4, s8
	v_sub_nc_u32_e32 v1, v1, v7
	v_mad_u64_u32 v[9:10], null, v1, s10, v[9:10]
	v_mad_u64_u32 v[11:12], null, v1, s11, v[11:12]
	v_mov_b32_e32 v1, v4
	s_cbranch_scc1 .LBB6_68
.LBB6_69:
	s_andn2_b32 vcc_lo, exec_lo, s4
	s_cbranch_vccnz .LBB6_72
; %bb.70:
	s_clause 0x1
	s_load_dwordx4 s[0:3], s[16:17], 0x4
	s_load_dwordx2 s[4:5], s[16:17], 0xc4
	s_cmp_lt_u32 s26, 2
	s_waitcnt lgkmcnt(0)
	v_mul_hi_u32 v1, s1, v13
	v_add_nc_u32_e32 v1, v13, v1
	v_lshrrev_b32_e32 v1, s2, v1
	v_mul_lo_u32 v4, v1, s0
	v_sub_nc_u32_e32 v4, v13, v4
	v_mul_lo_u32 v9, v4, s4
	v_mul_lo_u32 v11, v4, s5
	s_cbranch_scc1 .LBB6_72
; %bb.71:
	s_clause 0x1
	s_load_dwordx4 s[0:3], s[16:17], 0x10
	s_load_dwordx2 s[4:5], s[16:17], 0xcc
	s_waitcnt lgkmcnt(0)
	v_mul_hi_u32 v4, s1, v1
	v_add_nc_u32_e32 v4, v1, v4
	v_lshrrev_b32_e32 v4, s2, v4
	v_mul_lo_u32 v4, v4, s0
	v_sub_nc_u32_e32 v1, v1, v4
	v_mad_u64_u32 v[9:10], null, v1, s4, v[9:10]
	v_mad_u64_u32 v[11:12], null, v1, s5, v[11:12]
.LBB6_72:
	s_clause 0x1
	s_load_dwordx4 s[4:7], s[16:17], 0x148
	s_load_dwordx2 s[0:1], s[16:17], 0x160
	s_mov_b32 s2, exec_lo
	s_waitcnt lgkmcnt(0)
	global_load_dwordx2 v[1:2], v2, s[6:7]
	s_waitcnt vmcnt(0)
	v_cvt_f32_f64_e32 v4, v[1:2]
	v_cmpx_nlg_f32_e64 0x7f800000, |v4|
	s_cbranch_execz .LBB6_74
; %bb.73:
	s_load_dwordx2 s[8:9], s[16:17], 0x158
	v_mov_b32_e32 v4, 0
	v_mov_b32_e32 v7, 1.0
	s_waitcnt lgkmcnt(0)
	global_store_dword v4, v7, s[8:9]
.LBB6_74:
	s_or_b32 exec_lo, exec_lo, s2
	v_mov_b32_e32 v7, 0
	s_mov_b32 s2, exec_lo
	global_load_dwordx2 v[4:5], v5, s[6:7]
	global_load_dword v20, v7, s[0:1]
	s_waitcnt vmcnt(1)
	v_cvt_f32_f64_e32 v10, v[4:5]
	s_waitcnt vmcnt(0)
	v_cvt_f64_f32_e32 v[12:13], v20
	v_mov_b32_e32 v21, v20
	v_mov_b32_e32 v15, v13
	;; [unrolled: 1-line block ×3, first 2 shown]
	v_cmpx_nlg_f32_e64 0x7f800000, |v10|
	s_cbranch_execz .LBB6_76
; %bb.75:
	s_load_dwordx2 s[8:9], s[16:17], 0x158
	v_mov_b32_e32 v10, 1.0
	s_waitcnt lgkmcnt(0)
	global_store_dword v7, v10, s[8:9]
	global_load_dword v21, v7, s[0:1]
	s_waitcnt vmcnt(0)
	v_cvt_f64_f32_e32 v[14:15], v21
.LBB6_76:
	s_or_b32 exec_lo, exec_lo, s2
	global_load_dwordx2 v[7:8], v8, s[6:7]
	v_mov_b32_e32 v17, v15
	v_mov_b32_e32 v16, v14
	;; [unrolled: 1-line block ×3, first 2 shown]
	s_mov_b32 s2, exec_lo
	s_waitcnt vmcnt(0)
	v_cvt_f32_f64_e32 v10, v[7:8]
	v_cmpx_nlg_f32_e64 0x7f800000, |v10|
	s_cbranch_execz .LBB6_78
; %bb.77:
	s_load_dwordx2 s[8:9], s[16:17], 0x158
	v_mov_b32_e32 v10, 0
	v_mov_b32_e32 v16, 1.0
	s_waitcnt lgkmcnt(0)
	global_store_dword v10, v16, s[8:9]
	global_load_dword v22, v10, s[0:1]
	s_waitcnt vmcnt(0)
	v_cvt_f64_f32_e32 v[16:17], v22
.LBB6_78:
	s_or_b32 exec_lo, exec_lo, s2
	global_load_dwordx2 v[10:11], v11, s[6:7]
	v_mov_b32_e32 v19, v17
	v_mov_b32_e32 v18, v16
	s_waitcnt vmcnt(0)
	v_cvt_f32_f64_e32 v23, v[10:11]
	v_cmp_nlg_f32_e64 s3, 0x7f800000, |v23|
	v_mov_b32_e32 v23, v22
	s_and_saveexec_b32 s2, s3
	s_cbranch_execz .LBB6_80
; %bb.79:
	s_load_dwordx2 s[6:7], s[16:17], 0x158
	v_mov_b32_e32 v18, 0
	v_mov_b32_e32 v19, 1.0
	s_waitcnt lgkmcnt(0)
	global_store_dword v18, v19, s[6:7]
	global_load_dword v23, v18, s[0:1]
	s_waitcnt vmcnt(0)
	v_cvt_f64_f32_e32 v[18:19], v23
.LBB6_80:
	s_or_b32 exec_lo, exec_lo, s2
	v_mul_f64 v[12:13], v[1:2], v[12:13]
	v_mul_f64 v[14:15], v[4:5], v[14:15]
	;; [unrolled: 1-line block ×4, first 2 shown]
	v_cmp_eq_f32_e64 s1, 1.0, v20
	v_cmp_eq_f32_e64 s0, 1.0, v21
	v_cmp_eq_f32_e32 vcc_lo, 1.0, v22
	v_cmp_eq_f32_e64 s2, 1.0, v23
	v_cndmask_b32_e64 v2, v13, v2, s1
	v_cndmask_b32_e64 v1, v12, v1, s1
	;; [unrolled: 1-line block ×4, first 2 shown]
	v_cndmask_b32_e32 v8, v17, v8, vcc_lo
	v_cndmask_b32_e32 v7, v16, v7, vcc_lo
	v_cndmask_b32_e64 v11, v19, v11, s2
	v_cndmask_b32_e64 v10, v18, v10, s2
	global_store_dwordx2 v0, v[1:2], s[4:5]
	global_store_dwordx2 v3, v[4:5], s[4:5]
	;; [unrolled: 1-line block ×4, first 2 shown]
	s_endpgm
.LBB6_81:
	v_mov_b32_e32 v0, 0
	v_mov_b32_e32 v2, 0
	s_branch .LBB6_87
.LBB6_82:
	v_mov_b32_e32 v0, 0
	v_mov_b32_e32 v2, 0
	s_branch .LBB6_105
.LBB6_83:
	v_mov_b32_e32 v0, 0
	v_mov_b32_e32 v2, 0
	;; [unrolled: 1-line block ×3, first 2 shown]
	s_mov_b32 s36, 0
.LBB6_84:
	s_and_b32 s37, s37, 3
	s_cmp_eq_u32 s37, 0
	s_cbranch_scc1 .LBB6_87
; %bb.85:
	s_lshl_b32 s22, s36, 3
	s_mul_i32 s24, s36, 12
	s_add_u32 s22, s16, s22
	s_addc_u32 s23, s17, 0
	s_add_u32 s22, s22, 0xc4
	s_addc_u32 s23, s23, 0
	;; [unrolled: 2-line block ×3, first 2 shown]
	.p2align	6
.LBB6_86:                               ; =>This Inner Loop Header: Depth=1
	s_clause 0x1
	s_load_dwordx2 s[38:39], s[24:25], 0x4
	s_load_dword s36, s[24:25], 0xc
	s_load_dwordx2 s[40:41], s[22:23], 0x0
	s_add_u32 s24, s24, 12
	s_addc_u32 s25, s25, 0
	s_add_u32 s22, s22, 8
	s_addc_u32 s23, s23, 0
	s_add_i32 s37, s37, -1
	s_cmp_lg_u32 s37, 0
	s_waitcnt lgkmcnt(0)
	v_mul_hi_u32 v3, s39, v1
	v_add_nc_u32_e32 v3, v1, v3
	v_lshrrev_b32_e32 v4, s36, v3
	v_mul_lo_u32 v3, v4, s38
	v_sub_nc_u32_e32 v3, v1, v3
	v_mad_u64_u32 v[0:1], null, v3, s40, v[0:1]
	v_mad_u64_u32 v[2:3], null, v3, s41, v[2:3]
	v_mov_b32_e32 v1, v4
	s_cbranch_scc1 .LBB6_86
.LBB6_87:
	s_cbranch_execnz .LBB6_90
.LBB6_88:
	s_waitcnt lgkmcnt(0)
	v_mul_hi_u32 v0, s13, v7
	s_andn2_b32 vcc_lo, exec_lo, s30
	v_add_nc_u32_e32 v0, v7, v0
	v_lshrrev_b32_e32 v1, s14, v0
	v_mul_lo_u32 v0, v1, s12
	v_sub_nc_u32_e32 v2, v7, v0
	v_mul_lo_u32 v0, v2, s8
	v_mul_lo_u32 v2, v2, s9
	s_cbranch_vccnz .LBB6_90
; %bb.89:
	v_mul_hi_u32 v3, s18, v1
	v_add_nc_u32_e32 v3, v1, v3
	v_lshrrev_b32_e32 v3, s19, v3
	v_mul_lo_u32 v3, v3, s15
	v_sub_nc_u32_e32 v3, v1, v3
	v_mad_u64_u32 v[0:1], null, v3, s10, v[0:1]
	v_mad_u64_u32 v[2:3], null, v3, s11, v[2:3]
.LBB6_90:
	s_waitcnt lgkmcnt(0)
	global_load_dwordx2 v[1:2], v2, s[2:3]
	s_mov_b32 s22, exec_lo
	s_waitcnt vmcnt(0)
	v_cvt_f32_f64_e32 v3, v[1:2]
	v_cmpx_nlg_f32_e64 0x7f800000, |v3|
	s_cbranch_execz .LBB6_92
; %bb.91:
	v_mov_b32_e32 v3, 0
	v_mov_b32_e32 v4, 1.0
	global_store_dword v3, v4, s[4:5]
.LBB6_92:
	s_or_b32 exec_lo, exec_lo, s22
	v_mov_b32_e32 v3, 0
	v_add_nc_u32_e32 v7, 0x80, v7
	global_load_dword v5, v3, s[6:7]
	s_waitcnt vmcnt(0)
	v_cvt_f64_f32_e32 v[3:4], v5
	v_cmp_eq_f32_e32 vcc_lo, 1.0, v5
	v_mul_f64 v[3:4], v[1:2], v[3:4]
	v_cndmask_b32_e32 v2, v4, v2, vcc_lo
	v_cndmask_b32_e32 v1, v3, v1, vcc_lo
	global_store_dwordx2 v0, v[1:2], s[0:1]
	s_or_b32 exec_lo, exec_lo, s35
	s_mov_b32 s35, exec_lo
	v_cmpx_gt_i32_e64 s31, v7
	s_cbranch_execnz .LBB6_15
.LBB6_93:
	s_or_b32 exec_lo, exec_lo, s35
	s_mov_b32 s35, exec_lo
	v_cmpx_gt_i32_e64 s31, v7
	s_cbranch_execz .LBB6_111
.LBB6_94:
	s_andn2_b32 vcc_lo, exec_lo, s28
	s_cbranch_vccnz .LBB6_99
; %bb.95:
	s_andn2_b32 vcc_lo, exec_lo, s34
	s_cbranch_vccnz .LBB6_100
; %bb.96:
	s_add_i32 s37, s33, 1
	s_cmp_eq_u32 s27, 2
	s_cbranch_scc1 .LBB6_114
; %bb.97:
	v_mov_b32_e32 v2, 0
	v_mov_b32_e32 v0, 0
	;; [unrolled: 1-line block ×3, first 2 shown]
	s_and_b32 s36, s37, 28
	s_mov_b32 s38, 0
	s_mov_b64 s[22:23], s[16:17]
	s_mov_b64 s[24:25], s[20:21]
.LBB6_98:                               ; =>This Inner Loop Header: Depth=1
	s_clause 0x1
	s_load_dwordx8 s[40:47], s[22:23], 0x4
	s_load_dwordx4 s[56:59], s[22:23], 0x24
	s_load_dwordx8 s[48:55], s[24:25], 0x0
	s_add_u32 s22, s22, 48
	s_addc_u32 s23, s23, 0
	s_add_i32 s38, s38, 4
	s_add_u32 s24, s24, 32
	s_addc_u32 s25, s25, 0
	s_cmp_eq_u32 s36, s38
	s_waitcnt lgkmcnt(0)
	v_mul_hi_u32 v3, s41, v1
	v_add_nc_u32_e32 v3, v1, v3
	v_lshrrev_b32_e32 v3, s42, v3
	v_mul_hi_u32 v4, s44, v3
	v_mul_lo_u32 v6, v3, s40
	v_add_nc_u32_e32 v4, v3, v4
	v_sub_nc_u32_e32 v1, v1, v6
	v_lshrrev_b32_e32 v4, s45, v4
	v_mul_lo_u32 v6, v1, s48
	v_mul_lo_u32 v9, v1, s49
	v_mul_hi_u32 v5, s47, v4
	v_add_nc_u32_e32 v5, v4, v5
	v_lshrrev_b32_e32 v5, s56, v5
	v_mul_hi_u32 v8, s58, v5
	v_mul_lo_u32 v10, v5, s46
	v_add_nc_u32_e32 v1, v5, v8
	v_mul_lo_u32 v8, v4, s43
	v_sub_nc_u32_e32 v4, v4, v10
	v_lshrrev_b32_e32 v1, s59, v1
	v_mul_lo_u32 v10, v4, s52
	v_mul_lo_u32 v4, v4, s53
	v_sub_nc_u32_e32 v3, v3, v8
	v_mul_lo_u32 v11, v1, s57
	v_mul_lo_u32 v8, v3, s50
	;; [unrolled: 1-line block ×3, first 2 shown]
	v_sub_nc_u32_e32 v5, v5, v11
	v_add3_u32 v0, v6, v0, v8
	v_mul_lo_u32 v11, v5, s54
	v_mul_lo_u32 v5, v5, s55
	v_add3_u32 v2, v9, v2, v3
	v_add3_u32 v0, v10, v0, v11
	v_add3_u32 v2, v4, v2, v5
	s_cbranch_scc0 .LBB6_98
	s_branch .LBB6_115
.LBB6_99:
                                        ; implicit-def: $vgpr0
                                        ; implicit-def: $vgpr2
	s_branch .LBB6_119
.LBB6_100:
	v_mov_b32_e32 v0, 0
	v_mov_b32_e32 v2, 0
	s_branch .LBB6_118
.LBB6_101:
	v_mov_b32_e32 v0, 0
	v_mov_b32_e32 v2, 0
	;; [unrolled: 1-line block ×3, first 2 shown]
	s_mov_b32 s36, 0
.LBB6_102:
	s_and_b32 s37, s37, 3
	s_cmp_eq_u32 s37, 0
	s_cbranch_scc1 .LBB6_105
; %bb.103:
	s_lshl_b32 s22, s36, 3
	s_mul_i32 s24, s36, 12
	s_add_u32 s22, s16, s22
	s_addc_u32 s23, s17, 0
	s_add_u32 s22, s22, 0xc4
	s_addc_u32 s23, s23, 0
	;; [unrolled: 2-line block ×3, first 2 shown]
	.p2align	6
.LBB6_104:                              ; =>This Inner Loop Header: Depth=1
	s_clause 0x1
	s_load_dwordx2 s[38:39], s[24:25], 0x4
	s_load_dword s36, s[24:25], 0xc
	s_load_dwordx2 s[40:41], s[22:23], 0x0
	s_add_u32 s24, s24, 12
	s_addc_u32 s25, s25, 0
	s_add_u32 s22, s22, 8
	s_addc_u32 s23, s23, 0
	s_add_i32 s37, s37, -1
	s_cmp_lg_u32 s37, 0
	s_waitcnt lgkmcnt(0)
	v_mul_hi_u32 v3, s39, v1
	v_add_nc_u32_e32 v3, v1, v3
	v_lshrrev_b32_e32 v4, s36, v3
	v_mul_lo_u32 v3, v4, s38
	v_sub_nc_u32_e32 v3, v1, v3
	v_mad_u64_u32 v[0:1], null, v3, s40, v[0:1]
	v_mad_u64_u32 v[2:3], null, v3, s41, v[2:3]
	v_mov_b32_e32 v1, v4
	s_cbranch_scc1 .LBB6_104
.LBB6_105:
	s_cbranch_execnz .LBB6_108
.LBB6_106:
	s_waitcnt lgkmcnt(0)
	v_mul_hi_u32 v0, s13, v7
	s_andn2_b32 vcc_lo, exec_lo, s30
	v_add_nc_u32_e32 v0, v7, v0
	v_lshrrev_b32_e32 v1, s14, v0
	v_mul_lo_u32 v0, v1, s12
	v_sub_nc_u32_e32 v2, v7, v0
	v_mul_lo_u32 v0, v2, s8
	v_mul_lo_u32 v2, v2, s9
	s_cbranch_vccnz .LBB6_108
; %bb.107:
	v_mul_hi_u32 v3, s18, v1
	v_add_nc_u32_e32 v3, v1, v3
	v_lshrrev_b32_e32 v3, s19, v3
	v_mul_lo_u32 v3, v3, s15
	v_sub_nc_u32_e32 v3, v1, v3
	v_mad_u64_u32 v[0:1], null, v3, s10, v[0:1]
	v_mad_u64_u32 v[2:3], null, v3, s11, v[2:3]
.LBB6_108:
	s_waitcnt lgkmcnt(0)
	global_load_dwordx2 v[1:2], v2, s[2:3]
	s_mov_b32 s22, exec_lo
	s_waitcnt vmcnt(0)
	v_cvt_f32_f64_e32 v3, v[1:2]
	v_cmpx_nlg_f32_e64 0x7f800000, |v3|
	s_cbranch_execz .LBB6_110
; %bb.109:
	v_mov_b32_e32 v3, 0
	v_mov_b32_e32 v4, 1.0
	global_store_dword v3, v4, s[4:5]
.LBB6_110:
	s_or_b32 exec_lo, exec_lo, s22
	v_mov_b32_e32 v3, 0
	v_add_nc_u32_e32 v7, 0x80, v7
	global_load_dword v5, v3, s[6:7]
	s_waitcnt vmcnt(0)
	v_cvt_f64_f32_e32 v[3:4], v5
	v_cmp_eq_f32_e32 vcc_lo, 1.0, v5
	v_mul_f64 v[3:4], v[1:2], v[3:4]
	v_cndmask_b32_e32 v2, v4, v2, vcc_lo
	v_cndmask_b32_e32 v1, v3, v1, vcc_lo
	global_store_dwordx2 v0, v[1:2], s[0:1]
	s_or_b32 exec_lo, exec_lo, s35
	s_mov_b32 s35, exec_lo
	v_cmpx_gt_i32_e64 s31, v7
	s_cbranch_execnz .LBB6_94
.LBB6_111:
	s_or_b32 exec_lo, exec_lo, s35
	s_mov_b32 s24, exec_lo
	v_cmpx_gt_i32_e64 s31, v7
	s_cbranch_execnz .LBB6_124
.LBB6_112:
	s_or_b32 exec_lo, exec_lo, s24
                                        ; implicit-def: $vgpr13
                                        ; implicit-def: $vgpr7
	s_waitcnt lgkmcnt(0)
	s_andn2_saveexec_b32 s0, s29
	s_cbranch_execnz .LBB6_8
.LBB6_113:
	s_endpgm
.LBB6_114:
	v_mov_b32_e32 v0, 0
	v_mov_b32_e32 v2, 0
	v_mov_b32_e32 v1, v7
	s_mov_b32 s36, 0
.LBB6_115:
	s_and_b32 s37, s37, 3
	s_cmp_eq_u32 s37, 0
	s_cbranch_scc1 .LBB6_118
; %bb.116:
	s_lshl_b32 s22, s36, 3
	s_mul_i32 s24, s36, 12
	s_add_u32 s22, s16, s22
	s_addc_u32 s23, s17, 0
	s_add_u32 s22, s22, 0xc4
	s_addc_u32 s23, s23, 0
	;; [unrolled: 2-line block ×3, first 2 shown]
	.p2align	6
.LBB6_117:                              ; =>This Inner Loop Header: Depth=1
	s_clause 0x1
	s_load_dwordx2 s[38:39], s[24:25], 0x4
	s_load_dword s36, s[24:25], 0xc
	s_load_dwordx2 s[40:41], s[22:23], 0x0
	s_add_u32 s24, s24, 12
	s_addc_u32 s25, s25, 0
	s_add_u32 s22, s22, 8
	s_addc_u32 s23, s23, 0
	s_add_i32 s37, s37, -1
	s_cmp_lg_u32 s37, 0
	s_waitcnt lgkmcnt(0)
	v_mul_hi_u32 v3, s39, v1
	v_add_nc_u32_e32 v3, v1, v3
	v_lshrrev_b32_e32 v4, s36, v3
	v_mul_lo_u32 v3, v4, s38
	v_sub_nc_u32_e32 v3, v1, v3
	v_mad_u64_u32 v[0:1], null, v3, s40, v[0:1]
	v_mad_u64_u32 v[2:3], null, v3, s41, v[2:3]
	v_mov_b32_e32 v1, v4
	s_cbranch_scc1 .LBB6_117
.LBB6_118:
	s_cbranch_execnz .LBB6_121
.LBB6_119:
	s_waitcnt lgkmcnt(0)
	v_mul_hi_u32 v0, s13, v7
	s_andn2_b32 vcc_lo, exec_lo, s30
	v_add_nc_u32_e32 v0, v7, v0
	v_lshrrev_b32_e32 v1, s14, v0
	v_mul_lo_u32 v0, v1, s12
	v_sub_nc_u32_e32 v2, v7, v0
	v_mul_lo_u32 v0, v2, s8
	v_mul_lo_u32 v2, v2, s9
	s_cbranch_vccnz .LBB6_121
; %bb.120:
	v_mul_hi_u32 v3, s18, v1
	v_add_nc_u32_e32 v3, v1, v3
	v_lshrrev_b32_e32 v3, s19, v3
	v_mul_lo_u32 v3, v3, s15
	v_sub_nc_u32_e32 v3, v1, v3
	v_mad_u64_u32 v[0:1], null, v3, s10, v[0:1]
	v_mad_u64_u32 v[2:3], null, v3, s11, v[2:3]
.LBB6_121:
	s_waitcnt lgkmcnt(0)
	global_load_dwordx2 v[1:2], v2, s[2:3]
	s_mov_b32 s22, exec_lo
	s_waitcnt vmcnt(0)
	v_cvt_f32_f64_e32 v3, v[1:2]
	v_cmpx_nlg_f32_e64 0x7f800000, |v3|
	s_cbranch_execz .LBB6_123
; %bb.122:
	v_mov_b32_e32 v3, 0
	v_mov_b32_e32 v4, 1.0
	global_store_dword v3, v4, s[4:5]
.LBB6_123:
	s_or_b32 exec_lo, exec_lo, s22
	v_mov_b32_e32 v3, 0
	v_add_nc_u32_e32 v7, 0x80, v7
	global_load_dword v5, v3, s[6:7]
	s_waitcnt vmcnt(0)
	v_cvt_f64_f32_e32 v[3:4], v5
	v_cmp_eq_f32_e32 vcc_lo, 1.0, v5
	v_mul_f64 v[3:4], v[1:2], v[3:4]
	v_cndmask_b32_e32 v2, v4, v2, vcc_lo
	v_cndmask_b32_e32 v1, v3, v1, vcc_lo
	global_store_dwordx2 v0, v[1:2], s[0:1]
	s_or_b32 exec_lo, exec_lo, s35
	s_mov_b32 s24, exec_lo
	v_cmpx_gt_i32_e64 s31, v7
	s_cbranch_execz .LBB6_112
.LBB6_124:
	s_andn2_b32 vcc_lo, exec_lo, s28
	s_cbranch_vccnz .LBB6_129
; %bb.125:
	s_andn2_b32 vcc_lo, exec_lo, s34
	s_cbranch_vccnz .LBB6_130
; %bb.126:
	s_add_i32 s33, s33, 1
	s_cmp_eq_u32 s27, 2
	s_cbranch_scc1 .LBB6_131
; %bb.127:
	v_mov_b32_e32 v2, 0
	v_mov_b32_e32 v0, 0
	;; [unrolled: 1-line block ×3, first 2 shown]
	s_and_b32 s25, s33, 28
	s_mov_b32 s31, 0
	s_mov_b64 s[22:23], s[16:17]
.LBB6_128:                              ; =>This Inner Loop Header: Depth=1
	s_clause 0x1
	s_load_dwordx8 s[36:43], s[22:23], 0x4
	s_load_dwordx4 s[52:55], s[22:23], 0x24
	s_load_dwordx8 s[44:51], s[20:21], 0x0
	s_add_u32 s22, s22, 48
	s_addc_u32 s23, s23, 0
	s_add_i32 s31, s31, 4
	s_add_u32 s20, s20, 32
	s_addc_u32 s21, s21, 0
	s_cmp_eq_u32 s25, s31
	s_waitcnt lgkmcnt(0)
	v_mul_hi_u32 v3, s37, v1
	v_add_nc_u32_e32 v3, v1, v3
	v_lshrrev_b32_e32 v3, s38, v3
	v_mul_hi_u32 v4, s40, v3
	v_mul_lo_u32 v6, v3, s36
	v_add_nc_u32_e32 v4, v3, v4
	v_sub_nc_u32_e32 v1, v1, v6
	v_lshrrev_b32_e32 v4, s41, v4
	v_mul_lo_u32 v6, v1, s44
	v_mul_lo_u32 v9, v1, s45
	v_mul_hi_u32 v5, s43, v4
	v_add_nc_u32_e32 v5, v4, v5
	v_lshrrev_b32_e32 v5, s52, v5
	v_mul_hi_u32 v8, s54, v5
	v_mul_lo_u32 v10, v5, s42
	v_add_nc_u32_e32 v1, v5, v8
	v_mul_lo_u32 v8, v4, s39
	v_sub_nc_u32_e32 v4, v4, v10
	v_lshrrev_b32_e32 v1, s55, v1
	v_mul_lo_u32 v10, v4, s48
	v_mul_lo_u32 v4, v4, s49
	v_sub_nc_u32_e32 v3, v3, v8
	v_mul_lo_u32 v11, v1, s53
	v_mul_lo_u32 v8, v3, s46
	;; [unrolled: 1-line block ×3, first 2 shown]
	v_sub_nc_u32_e32 v5, v5, v11
	v_add3_u32 v0, v6, v0, v8
	v_mul_lo_u32 v11, v5, s50
	v_mul_lo_u32 v5, v5, s51
	v_add3_u32 v2, v9, v2, v3
	v_add3_u32 v0, v10, v0, v11
	v_add3_u32 v2, v4, v2, v5
	s_cbranch_scc0 .LBB6_128
	s_branch .LBB6_132
.LBB6_129:
                                        ; implicit-def: $vgpr0
                                        ; implicit-def: $vgpr2
	s_branch .LBB6_136
.LBB6_130:
	v_mov_b32_e32 v0, 0
	v_mov_b32_e32 v2, 0
	s_branch .LBB6_135
.LBB6_131:
	v_mov_b32_e32 v0, 0
	v_mov_b32_e32 v2, 0
	;; [unrolled: 1-line block ×3, first 2 shown]
	s_mov_b32 s25, 0
.LBB6_132:
	s_and_b32 s31, s33, 3
	s_cmp_eq_u32 s31, 0
	s_cbranch_scc1 .LBB6_135
; %bb.133:
	s_lshl_b32 s20, s25, 3
	s_mul_i32 s22, s25, 12
	s_add_u32 s20, s16, s20
	s_addc_u32 s21, s17, 0
	s_add_u32 s20, s20, 0xc4
	s_addc_u32 s21, s21, 0
	;; [unrolled: 2-line block ×3, first 2 shown]
	.p2align	6
.LBB6_134:                              ; =>This Inner Loop Header: Depth=1
	s_clause 0x1
	s_load_dwordx2 s[34:35], s[22:23], 0x4
	s_load_dword s25, s[22:23], 0xc
	s_load_dwordx2 s[36:37], s[20:21], 0x0
	s_add_u32 s22, s22, 12
	s_addc_u32 s23, s23, 0
	s_add_u32 s20, s20, 8
	s_addc_u32 s21, s21, 0
	s_add_i32 s31, s31, -1
	s_cmp_lg_u32 s31, 0
	s_waitcnt lgkmcnt(0)
	v_mul_hi_u32 v3, s35, v1
	v_add_nc_u32_e32 v3, v1, v3
	v_lshrrev_b32_e32 v4, s25, v3
	v_mul_lo_u32 v3, v4, s34
	v_sub_nc_u32_e32 v3, v1, v3
	v_mad_u64_u32 v[0:1], null, v3, s36, v[0:1]
	v_mad_u64_u32 v[2:3], null, v3, s37, v[2:3]
	v_mov_b32_e32 v1, v4
	s_cbranch_scc1 .LBB6_134
.LBB6_135:
	s_cbranch_execnz .LBB6_138
.LBB6_136:
	s_waitcnt lgkmcnt(0)
	v_mul_hi_u32 v0, s13, v7
	s_andn2_b32 vcc_lo, exec_lo, s30
	v_add_nc_u32_e32 v0, v7, v0
	v_lshrrev_b32_e32 v1, s14, v0
	v_mul_lo_u32 v0, v1, s12
	v_sub_nc_u32_e32 v2, v7, v0
	v_mul_lo_u32 v0, v2, s8
	v_mul_lo_u32 v2, v2, s9
	s_cbranch_vccnz .LBB6_138
; %bb.137:
	v_mul_hi_u32 v3, s18, v1
	v_add_nc_u32_e32 v3, v1, v3
	v_lshrrev_b32_e32 v3, s19, v3
	v_mul_lo_u32 v3, v3, s15
	v_sub_nc_u32_e32 v3, v1, v3
	v_mad_u64_u32 v[0:1], null, v3, s10, v[0:1]
	v_mad_u64_u32 v[2:3], null, v3, s11, v[2:3]
.LBB6_138:
	s_waitcnt lgkmcnt(0)
	global_load_dwordx2 v[1:2], v2, s[2:3]
	s_mov_b32 s2, exec_lo
	s_waitcnt vmcnt(0)
	v_cvt_f32_f64_e32 v3, v[1:2]
	v_cmpx_nlg_f32_e64 0x7f800000, |v3|
	s_cbranch_execz .LBB6_140
; %bb.139:
	v_mov_b32_e32 v3, 0
	v_mov_b32_e32 v4, 1.0
	global_store_dword v3, v4, s[4:5]
.LBB6_140:
	s_or_b32 exec_lo, exec_lo, s2
	v_mov_b32_e32 v3, 0
	global_load_dword v5, v3, s[6:7]
	s_waitcnt vmcnt(0)
	v_cvt_f64_f32_e32 v[3:4], v5
	v_cmp_eq_f32_e32 vcc_lo, 1.0, v5
	v_mul_f64 v[3:4], v[1:2], v[3:4]
	v_cndmask_b32_e32 v2, v4, v2, vcc_lo
	v_cndmask_b32_e32 v1, v3, v1, vcc_lo
	global_store_dwordx2 v0, v[1:2], s[0:1]
	s_or_b32 exec_lo, exec_lo, s24
                                        ; implicit-def: $vgpr13
                                        ; implicit-def: $vgpr7
	s_andn2_saveexec_b32 s0, s29
	s_cbranch_execz .LBB6_113
	s_branch .LBB6_8
	.section	.rodata,"a",@progbits
	.p2align	6, 0x0
	.amdhsa_kernel _ZN2at6native32elementwise_kernel_manual_unrollILi128ELi4EZNS0_22gpu_kernel_impl_nocastIZZZNS0_12_GLOBAL__N_139_amp_non_finite_check_and_unscale_cuda_ERNS_6TensorES5_RKS4_ENKUlvE_clEvENKUlvE_clEvEUldE_EEvRNS_18TensorIteratorBaseERKT_EUlibE_EEviT1_
		.amdhsa_group_segment_fixed_size 0
		.amdhsa_private_segment_fixed_size 0
		.amdhsa_kernarg_size 368
		.amdhsa_user_sgpr_count 6
		.amdhsa_user_sgpr_private_segment_buffer 1
		.amdhsa_user_sgpr_dispatch_ptr 0
		.amdhsa_user_sgpr_queue_ptr 0
		.amdhsa_user_sgpr_kernarg_segment_ptr 1
		.amdhsa_user_sgpr_dispatch_id 0
		.amdhsa_user_sgpr_flat_scratch_init 0
		.amdhsa_user_sgpr_private_segment_size 0
		.amdhsa_wavefront_size32 1
		.amdhsa_uses_dynamic_stack 0
		.amdhsa_system_sgpr_private_segment_wavefront_offset 0
		.amdhsa_system_sgpr_workgroup_id_x 1
		.amdhsa_system_sgpr_workgroup_id_y 0
		.amdhsa_system_sgpr_workgroup_id_z 0
		.amdhsa_system_sgpr_workgroup_info 0
		.amdhsa_system_vgpr_workitem_id 0
		.amdhsa_next_free_vgpr 24
		.amdhsa_next_free_sgpr 60
		.amdhsa_reserve_vcc 1
		.amdhsa_reserve_flat_scratch 0
		.amdhsa_float_round_mode_32 0
		.amdhsa_float_round_mode_16_64 0
		.amdhsa_float_denorm_mode_32 3
		.amdhsa_float_denorm_mode_16_64 3
		.amdhsa_dx10_clamp 1
		.amdhsa_ieee_mode 1
		.amdhsa_fp16_overflow 0
		.amdhsa_workgroup_processor_mode 1
		.amdhsa_memory_ordered 1
		.amdhsa_forward_progress 1
		.amdhsa_shared_vgpr_count 0
		.amdhsa_exception_fp_ieee_invalid_op 0
		.amdhsa_exception_fp_denorm_src 0
		.amdhsa_exception_fp_ieee_div_zero 0
		.amdhsa_exception_fp_ieee_overflow 0
		.amdhsa_exception_fp_ieee_underflow 0
		.amdhsa_exception_fp_ieee_inexact 0
		.amdhsa_exception_int_div_zero 0
	.end_amdhsa_kernel
	.section	.text._ZN2at6native32elementwise_kernel_manual_unrollILi128ELi4EZNS0_22gpu_kernel_impl_nocastIZZZNS0_12_GLOBAL__N_139_amp_non_finite_check_and_unscale_cuda_ERNS_6TensorES5_RKS4_ENKUlvE_clEvENKUlvE_clEvEUldE_EEvRNS_18TensorIteratorBaseERKT_EUlibE_EEviT1_,"axG",@progbits,_ZN2at6native32elementwise_kernel_manual_unrollILi128ELi4EZNS0_22gpu_kernel_impl_nocastIZZZNS0_12_GLOBAL__N_139_amp_non_finite_check_and_unscale_cuda_ERNS_6TensorES5_RKS4_ENKUlvE_clEvENKUlvE_clEvEUldE_EEvRNS_18TensorIteratorBaseERKT_EUlibE_EEviT1_,comdat
.Lfunc_end6:
	.size	_ZN2at6native32elementwise_kernel_manual_unrollILi128ELi4EZNS0_22gpu_kernel_impl_nocastIZZZNS0_12_GLOBAL__N_139_amp_non_finite_check_and_unscale_cuda_ERNS_6TensorES5_RKS4_ENKUlvE_clEvENKUlvE_clEvEUldE_EEvRNS_18TensorIteratorBaseERKT_EUlibE_EEviT1_, .Lfunc_end6-_ZN2at6native32elementwise_kernel_manual_unrollILi128ELi4EZNS0_22gpu_kernel_impl_nocastIZZZNS0_12_GLOBAL__N_139_amp_non_finite_check_and_unscale_cuda_ERNS_6TensorES5_RKS4_ENKUlvE_clEvENKUlvE_clEvEUldE_EEvRNS_18TensorIteratorBaseERKT_EUlibE_EEviT1_
                                        ; -- End function
	.set _ZN2at6native32elementwise_kernel_manual_unrollILi128ELi4EZNS0_22gpu_kernel_impl_nocastIZZZNS0_12_GLOBAL__N_139_amp_non_finite_check_and_unscale_cuda_ERNS_6TensorES5_RKS4_ENKUlvE_clEvENKUlvE_clEvEUldE_EEvRNS_18TensorIteratorBaseERKT_EUlibE_EEviT1_.num_vgpr, 24
	.set _ZN2at6native32elementwise_kernel_manual_unrollILi128ELi4EZNS0_22gpu_kernel_impl_nocastIZZZNS0_12_GLOBAL__N_139_amp_non_finite_check_and_unscale_cuda_ERNS_6TensorES5_RKS4_ENKUlvE_clEvENKUlvE_clEvEUldE_EEvRNS_18TensorIteratorBaseERKT_EUlibE_EEviT1_.num_agpr, 0
	.set _ZN2at6native32elementwise_kernel_manual_unrollILi128ELi4EZNS0_22gpu_kernel_impl_nocastIZZZNS0_12_GLOBAL__N_139_amp_non_finite_check_and_unscale_cuda_ERNS_6TensorES5_RKS4_ENKUlvE_clEvENKUlvE_clEvEUldE_EEvRNS_18TensorIteratorBaseERKT_EUlibE_EEviT1_.numbered_sgpr, 60
	.set _ZN2at6native32elementwise_kernel_manual_unrollILi128ELi4EZNS0_22gpu_kernel_impl_nocastIZZZNS0_12_GLOBAL__N_139_amp_non_finite_check_and_unscale_cuda_ERNS_6TensorES5_RKS4_ENKUlvE_clEvENKUlvE_clEvEUldE_EEvRNS_18TensorIteratorBaseERKT_EUlibE_EEviT1_.num_named_barrier, 0
	.set _ZN2at6native32elementwise_kernel_manual_unrollILi128ELi4EZNS0_22gpu_kernel_impl_nocastIZZZNS0_12_GLOBAL__N_139_amp_non_finite_check_and_unscale_cuda_ERNS_6TensorES5_RKS4_ENKUlvE_clEvENKUlvE_clEvEUldE_EEvRNS_18TensorIteratorBaseERKT_EUlibE_EEviT1_.private_seg_size, 0
	.set _ZN2at6native32elementwise_kernel_manual_unrollILi128ELi4EZNS0_22gpu_kernel_impl_nocastIZZZNS0_12_GLOBAL__N_139_amp_non_finite_check_and_unscale_cuda_ERNS_6TensorES5_RKS4_ENKUlvE_clEvENKUlvE_clEvEUldE_EEvRNS_18TensorIteratorBaseERKT_EUlibE_EEviT1_.uses_vcc, 1
	.set _ZN2at6native32elementwise_kernel_manual_unrollILi128ELi4EZNS0_22gpu_kernel_impl_nocastIZZZNS0_12_GLOBAL__N_139_amp_non_finite_check_and_unscale_cuda_ERNS_6TensorES5_RKS4_ENKUlvE_clEvENKUlvE_clEvEUldE_EEvRNS_18TensorIteratorBaseERKT_EUlibE_EEviT1_.uses_flat_scratch, 0
	.set _ZN2at6native32elementwise_kernel_manual_unrollILi128ELi4EZNS0_22gpu_kernel_impl_nocastIZZZNS0_12_GLOBAL__N_139_amp_non_finite_check_and_unscale_cuda_ERNS_6TensorES5_RKS4_ENKUlvE_clEvENKUlvE_clEvEUldE_EEvRNS_18TensorIteratorBaseERKT_EUlibE_EEviT1_.has_dyn_sized_stack, 0
	.set _ZN2at6native32elementwise_kernel_manual_unrollILi128ELi4EZNS0_22gpu_kernel_impl_nocastIZZZNS0_12_GLOBAL__N_139_amp_non_finite_check_and_unscale_cuda_ERNS_6TensorES5_RKS4_ENKUlvE_clEvENKUlvE_clEvEUldE_EEvRNS_18TensorIteratorBaseERKT_EUlibE_EEviT1_.has_recursion, 0
	.set _ZN2at6native32elementwise_kernel_manual_unrollILi128ELi4EZNS0_22gpu_kernel_impl_nocastIZZZNS0_12_GLOBAL__N_139_amp_non_finite_check_and_unscale_cuda_ERNS_6TensorES5_RKS4_ENKUlvE_clEvENKUlvE_clEvEUldE_EEvRNS_18TensorIteratorBaseERKT_EUlibE_EEviT1_.has_indirect_call, 0
	.section	.AMDGPU.csdata,"",@progbits
; Kernel info:
; codeLenInByte = 6928
; TotalNumSgprs: 62
; NumVgprs: 24
; ScratchSize: 0
; MemoryBound: 0
; FloatMode: 240
; IeeeMode: 1
; LDSByteSize: 0 bytes/workgroup (compile time only)
; SGPRBlocks: 0
; VGPRBlocks: 2
; NumSGPRsForWavesPerEU: 62
; NumVGPRsForWavesPerEU: 24
; Occupancy: 16
; WaveLimiterHint : 1
; COMPUTE_PGM_RSRC2:SCRATCH_EN: 0
; COMPUTE_PGM_RSRC2:USER_SGPR: 6
; COMPUTE_PGM_RSRC2:TRAP_HANDLER: 0
; COMPUTE_PGM_RSRC2:TGID_X_EN: 1
; COMPUTE_PGM_RSRC2:TGID_Y_EN: 0
; COMPUTE_PGM_RSRC2:TGID_Z_EN: 0
; COMPUTE_PGM_RSRC2:TIDIG_COMP_CNT: 0
	.section	.text._ZN2at6native32elementwise_kernel_manual_unrollILi128ELi4EZNS0_15gpu_kernel_implIZZZNS0_12_GLOBAL__N_139_amp_non_finite_check_and_unscale_cuda_ERNS_6TensorES5_RKS4_ENKUlvE_clEvENKUlvE_clEvEUldE_EEvRNS_18TensorIteratorBaseERKT_EUlibE_EEviT1_,"axG",@progbits,_ZN2at6native32elementwise_kernel_manual_unrollILi128ELi4EZNS0_15gpu_kernel_implIZZZNS0_12_GLOBAL__N_139_amp_non_finite_check_and_unscale_cuda_ERNS_6TensorES5_RKS4_ENKUlvE_clEvENKUlvE_clEvEUldE_EEvRNS_18TensorIteratorBaseERKT_EUlibE_EEviT1_,comdat
	.globl	_ZN2at6native32elementwise_kernel_manual_unrollILi128ELi4EZNS0_15gpu_kernel_implIZZZNS0_12_GLOBAL__N_139_amp_non_finite_check_and_unscale_cuda_ERNS_6TensorES5_RKS4_ENKUlvE_clEvENKUlvE_clEvEUldE_EEvRNS_18TensorIteratorBaseERKT_EUlibE_EEviT1_ ; -- Begin function _ZN2at6native32elementwise_kernel_manual_unrollILi128ELi4EZNS0_15gpu_kernel_implIZZZNS0_12_GLOBAL__N_139_amp_non_finite_check_and_unscale_cuda_ERNS_6TensorES5_RKS4_ENKUlvE_clEvENKUlvE_clEvEUldE_EEvRNS_18TensorIteratorBaseERKT_EUlibE_EEviT1_
	.p2align	8
	.type	_ZN2at6native32elementwise_kernel_manual_unrollILi128ELi4EZNS0_15gpu_kernel_implIZZZNS0_12_GLOBAL__N_139_amp_non_finite_check_and_unscale_cuda_ERNS_6TensorES5_RKS4_ENKUlvE_clEvENKUlvE_clEvEUldE_EEvRNS_18TensorIteratorBaseERKT_EUlibE_EEviT1_,@function
_ZN2at6native32elementwise_kernel_manual_unrollILi128ELi4EZNS0_15gpu_kernel_implIZZZNS0_12_GLOBAL__N_139_amp_non_finite_check_and_unscale_cuda_ERNS_6TensorES5_RKS4_ENKUlvE_clEvENKUlvE_clEvEUldE_EEvRNS_18TensorIteratorBaseERKT_EUlibE_EEviT1_: ; @_ZN2at6native32elementwise_kernel_manual_unrollILi128ELi4EZNS0_15gpu_kernel_implIZZZNS0_12_GLOBAL__N_139_amp_non_finite_check_and_unscale_cuda_ERNS_6TensorES5_RKS4_ENKUlvE_clEvENKUlvE_clEvEUldE_EEvRNS_18TensorIteratorBaseERKT_EUlibE_EEviT1_
; %bb.0:
	s_clause 0x4
	s_load_dword s16, s[4:5], 0x0
	s_load_dword s1, s[4:5], 0x30
	s_load_dwordx4 s[8:11], s[4:5], 0x8
	s_load_dwordx2 s[2:3], s[4:5], 0x18
	s_load_dwordx4 s[12:15], s[4:5], 0x20
	v_lshl_or_b32 v16, s6, 9, v0
	s_mov_b32 s4, 0
	s_mov_b32 s7, 0
	s_mov_b32 s0, exec_lo
	v_or_b32_e32 v0, 0x180, v16
	s_waitcnt lgkmcnt(0)
	s_bfe_u32 s5, s1, 0x80008
	v_cmpx_le_i32_e64 s16, v0
	s_xor_b32 s6, exec_lo, s0
	s_cbranch_execz .LBB7_1039
; %bb.1:
	s_mov_b32 s21, -1
	s_mov_b32 s19, 0
	s_mov_b32 s17, 0
	s_mov_b32 s18, exec_lo
	v_cmpx_gt_i32_e64 s16, v16
	s_cbranch_execz .LBB7_254
; %bb.2:
	v_mul_lo_u32 v0, v16, s3
	s_and_b32 s0, 0xffff, s5
	s_cmp_lt_i32 s0, 11
	v_ashrrev_i32_e32 v1, 31, v0
	v_add_co_u32 v0, vcc_lo, s10, v0
	v_add_co_ci_u32_e64 v1, null, s11, v1, vcc_lo
	s_cbranch_scc1 .LBB7_9
; %bb.3:
	s_cmp_gt_i32 s0, 25
	s_cbranch_scc0 .LBB7_20
; %bb.4:
	s_cmp_gt_i32 s0, 28
	s_cbranch_scc0 .LBB7_23
	;; [unrolled: 3-line block ×4, first 2 shown]
; %bb.7:
	s_cmp_eq_u32 s0, 46
	s_mov_b32 s20, 0
	s_cbranch_scc0 .LBB7_29
; %bb.8:
	global_load_dword v2, v[0:1], off
	s_mov_b32 s7, -1
	s_waitcnt vmcnt(0)
	v_lshlrev_b32_e32 v2, 16, v2
	v_cvt_f64_f32_e32 v[2:3], v2
	s_branch .LBB7_31
.LBB7_9:
                                        ; implicit-def: $vgpr2_vgpr3
	s_cbranch_execnz .LBB7_204
.LBB7_10:
	s_andn2_b32 vcc_lo, exec_lo, s7
	s_cbranch_vccnz .LBB7_251
.LBB7_11:
	s_waitcnt vmcnt(0)
	v_cvt_f32_f64_e32 v0, v[2:3]
	s_mov_b32 s0, exec_lo
	v_cmpx_nlg_f32_e64 0x7f800000, |v0|
	s_cbranch_execz .LBB7_13
; %bb.12:
	v_mov_b32_e32 v0, 0
	v_mov_b32_e32 v1, 1.0
	global_store_dword v0, v1, s[12:13]
.LBB7_13:
	s_or_b32 exec_lo, exec_lo, s0
	v_mov_b32_e32 v0, 0
	v_mul_lo_u32 v5, v16, s2
	s_and_b32 s7, s1, 0xff
	s_cmp_lt_i32 s7, 11
	global_load_dword v4, v0, s[14:15]
	v_ashrrev_i32_e32 v6, 31, v5
	s_waitcnt vmcnt(0)
	v_cvt_f64_f32_e32 v[0:1], v4
	v_cmp_eq_f32_e32 vcc_lo, 1.0, v4
	v_add_co_u32 v4, s0, s8, v5
	v_add_co_ci_u32_e64 v5, null, s9, v6, s0
	v_mul_f64 v[0:1], v[2:3], v[0:1]
	v_cndmask_b32_e32 v1, v1, v3, vcc_lo
	v_cndmask_b32_e32 v0, v0, v2, vcc_lo
	s_cbranch_scc1 .LBB7_21
; %bb.14:
	s_and_b32 s20, 0xffff, s7
	s_cmp_gt_i32 s20, 25
	s_cbranch_scc0 .LBB7_24
; %bb.15:
	s_cmp_gt_i32 s20, 28
	s_cbranch_scc0 .LBB7_26
; %bb.16:
	;; [unrolled: 3-line block ×4, first 2 shown]
	s_mov_b32 s22, 0
	s_mov_b32 s0, -1
	s_cmp_eq_u32 s20, 46
	s_mov_b32 s21, 0
	s_cbranch_scc0 .LBB7_35
; %bb.19:
	v_cvt_f32_f64_e32 v2, v[0:1]
	s_mov_b32 s21, -1
	s_mov_b32 s0, 0
	v_bfe_u32 v3, v2, 16, 1
	v_cmp_o_f32_e32 vcc_lo, v2, v2
	v_add3_u32 v2, v2, v3, 0x7fff
	v_mov_b32_e32 v3, 0x7fc0
	v_cndmask_b32_sdwa v2, v3, v2, vcc_lo dst_sel:DWORD dst_unused:UNUSED_PAD src0_sel:DWORD src1_sel:WORD_1
	global_store_dword v[4:5], v2, off
	s_branch .LBB7_35
.LBB7_20:
                                        ; implicit-def: $vgpr2_vgpr3
	s_cbranch_execnz .LBB7_171
	s_branch .LBB7_203
.LBB7_21:
	s_mov_b32 s0, 0
	s_mov_b32 s21, 0
	s_cbranch_execnz .LBB7_104
.LBB7_22:
	s_andn2_b32 vcc_lo, exec_lo, s21
	s_cbranch_vccnz .LBB7_252
	s_branch .LBB7_142
.LBB7_23:
	s_mov_b32 s20, -1
                                        ; implicit-def: $vgpr2_vgpr3
	s_branch .LBB7_150
.LBB7_24:
	s_mov_b32 s22, -1
	s_mov_b32 s0, 0
	s_mov_b32 s21, 0
	s_branch .LBB7_62
.LBB7_25:
	s_mov_b32 s20, -1
                                        ; implicit-def: $vgpr2_vgpr3
	s_branch .LBB7_145
.LBB7_26:
	s_mov_b32 s22, -1
	s_mov_b32 s0, 0
	s_mov_b32 s21, 0
	s_branch .LBB7_45
.LBB7_27:
	s_mov_b32 s20, -1
	s_branch .LBB7_30
.LBB7_28:
	s_mov_b32 s22, -1
	s_mov_b32 s0, 0
	s_mov_b32 s21, 0
	s_branch .LBB7_41
.LBB7_29:
	s_mov_b32 s17, -1
.LBB7_30:
                                        ; implicit-def: $vgpr2_vgpr3
.LBB7_31:
	s_and_b32 vcc_lo, exec_lo, s20
	s_cbranch_vccz .LBB7_144
; %bb.32:
	s_cmp_eq_u32 s0, 44
	s_cbranch_scc0 .LBB7_143
; %bb.33:
	global_load_ubyte v4, v[0:1], off
	s_mov_b32 s17, 0
	s_mov_b32 s7, -1
	s_waitcnt vmcnt(0)
	v_lshlrev_b32_e32 v2, 23, v4
	v_cmp_ne_u32_e32 vcc_lo, 0xff, v4
	v_cvt_f64_f32_e32 v[2:3], v2
	v_cndmask_b32_e32 v2, 0x20000000, v2, vcc_lo
	v_cndmask_b32_e32 v3, 0x7ff80000, v3, vcc_lo
	v_cmp_ne_u32_e32 vcc_lo, 0, v4
	v_cndmask_b32_e32 v3, 0x38000000, v3, vcc_lo
	v_cndmask_b32_e32 v2, 0, v2, vcc_lo
	s_branch .LBB7_144
.LBB7_34:
	s_mov_b32 s22, -1
	s_mov_b32 s0, 0
	s_mov_b32 s21, 0
.LBB7_35:
	s_and_b32 vcc_lo, exec_lo, s22
	s_cbranch_vccz .LBB7_40
; %bb.36:
	s_cmp_eq_u32 s20, 44
	s_mov_b32 s0, -1
	s_cbranch_scc0 .LBB7_40
; %bb.37:
	v_cvt_f32_f64_e32 v2, v[0:1]
	v_mov_b32_e32 v3, 0xff
	s_mov_b32 s21, exec_lo
	v_bfe_u32 v6, v2, 23, 8
	v_cmpx_ne_u32_e32 0xff, v6
	s_cbranch_execz .LBB7_39
; %bb.38:
	v_and_b32_e32 v3, 0x400000, v2
	v_and_or_b32 v6, 0x3fffff, v2, v6
	v_lshrrev_b32_e32 v2, 23, v2
	v_cmp_ne_u32_e32 vcc_lo, 0, v3
	v_cmp_ne_u32_e64 s0, 0, v6
	s_and_b32 s0, vcc_lo, s0
	v_cndmask_b32_e64 v3, 0, 1, s0
	v_add_nc_u32_e32 v3, v2, v3
.LBB7_39:
	s_or_b32 exec_lo, exec_lo, s21
	s_mov_b32 s21, -1
	s_mov_b32 s0, 0
	global_store_byte v[4:5], v3, off
.LBB7_40:
	s_mov_b32 s22, 0
.LBB7_41:
	s_and_b32 vcc_lo, exec_lo, s22
	s_cbranch_vccz .LBB7_44
; %bb.42:
	s_cmp_eq_u32 s20, 29
	s_mov_b32 s0, -1
	s_cbranch_scc0 .LBB7_44
; %bb.43:
	v_trunc_f64_e32 v[2:3], v[0:1]
	s_mov_b32 s21, -1
	s_mov_b32 s0, 0
	s_mov_b32 s22, 0
	v_ldexp_f64 v[6:7], v[2:3], 0xffffffe0
	v_floor_f64_e32 v[6:7], v[6:7]
	v_fma_f64 v[2:3], 0xc1f00000, v[6:7], v[2:3]
	v_cvt_u32_f64_e32 v7, v[6:7]
	v_cvt_u32_f64_e32 v6, v[2:3]
	global_store_dwordx2 v[4:5], v[6:7], off
	s_branch .LBB7_45
.LBB7_44:
	s_mov_b32 s22, 0
.LBB7_45:
	s_and_b32 vcc_lo, exec_lo, s22
	s_cbranch_vccz .LBB7_61
; %bb.46:
	s_cmp_lt_i32 s20, 27
	s_mov_b32 s21, -1
	s_cbranch_scc1 .LBB7_52
; %bb.47:
	v_cvt_u32_f64_e32 v2, v[0:1]
	s_cmp_gt_i32 s20, 27
	s_cbranch_scc0 .LBB7_49
; %bb.48:
	s_mov_b32 s21, 0
	global_store_dword v[4:5], v2, off
.LBB7_49:
	s_andn2_b32 vcc_lo, exec_lo, s21
	s_cbranch_vccnz .LBB7_51
; %bb.50:
	global_store_short v[4:5], v2, off
.LBB7_51:
	s_mov_b32 s21, 0
.LBB7_52:
	s_andn2_b32 vcc_lo, exec_lo, s21
	s_cbranch_vccnz .LBB7_60
; %bb.53:
	v_cvt_f32_f64_e32 v2, v[0:1]
	v_mov_b32_e32 v6, 0x80
	s_mov_b32 s21, exec_lo
	v_and_b32_e32 v3, 0x7fffffff, v2
	v_cmpx_gt_u32_e32 0x43800000, v3
	s_cbranch_execz .LBB7_59
; %bb.54:
	v_cmp_lt_u32_e32 vcc_lo, 0x3bffffff, v3
	s_mov_b32 s22, 0
                                        ; implicit-def: $vgpr3
	s_and_saveexec_b32 s23, vcc_lo
	s_xor_b32 s23, exec_lo, s23
	s_cbranch_execz .LBB7_283
; %bb.55:
	v_bfe_u32 v3, v2, 20, 1
	s_mov_b32 s22, exec_lo
	v_add3_u32 v3, v2, v3, 0x487ffff
	v_lshrrev_b32_e32 v3, 20, v3
	s_andn2_saveexec_b32 s23, s23
	s_cbranch_execnz .LBB7_284
.LBB7_56:
	s_or_b32 exec_lo, exec_lo, s23
	v_mov_b32_e32 v6, 0
	s_and_saveexec_b32 s23, s22
.LBB7_57:
	v_lshrrev_b32_e32 v2, 24, v2
	v_and_or_b32 v6, 0x80, v2, v3
.LBB7_58:
	s_or_b32 exec_lo, exec_lo, s23
.LBB7_59:
	s_or_b32 exec_lo, exec_lo, s21
	global_store_byte v[4:5], v6, off
.LBB7_60:
	s_mov_b32 s21, -1
.LBB7_61:
	s_mov_b32 s22, 0
.LBB7_62:
	s_and_b32 vcc_lo, exec_lo, s22
	s_cbranch_vccz .LBB7_103
; %bb.63:
	s_cmp_gt_i32 s20, 22
	s_mov_b32 s22, -1
	s_cbranch_scc0 .LBB7_95
; %bb.64:
	s_cmp_lt_i32 s20, 24
	s_mov_b32 s21, -1
	s_cbranch_scc1 .LBB7_84
; %bb.65:
	s_cmp_gt_i32 s20, 24
	s_cbranch_scc0 .LBB7_73
; %bb.66:
	v_cvt_f32_f64_e32 v2, v[0:1]
	v_mov_b32_e32 v6, 0x80
	s_mov_b32 s21, exec_lo
	v_and_b32_e32 v3, 0x7fffffff, v2
	v_cmpx_gt_u32_e32 0x47800000, v3
	s_cbranch_execz .LBB7_72
; %bb.67:
	v_cmp_lt_u32_e32 vcc_lo, 0x37ffffff, v3
	s_mov_b32 s22, 0
                                        ; implicit-def: $vgpr3
	s_and_saveexec_b32 s23, vcc_lo
	s_xor_b32 s23, exec_lo, s23
	s_cbranch_execz .LBB7_287
; %bb.68:
	v_bfe_u32 v3, v2, 21, 1
	s_mov_b32 s22, exec_lo
	v_add3_u32 v3, v2, v3, 0x88fffff
	v_lshrrev_b32_e32 v3, 21, v3
	s_andn2_saveexec_b32 s23, s23
	s_cbranch_execnz .LBB7_288
.LBB7_69:
	s_or_b32 exec_lo, exec_lo, s23
	v_mov_b32_e32 v6, 0
	s_and_saveexec_b32 s23, s22
.LBB7_70:
	v_lshrrev_b32_e32 v2, 24, v2
	v_and_or_b32 v6, 0x80, v2, v3
.LBB7_71:
	s_or_b32 exec_lo, exec_lo, s23
.LBB7_72:
	s_or_b32 exec_lo, exec_lo, s21
	s_mov_b32 s21, 0
	global_store_byte v[4:5], v6, off
.LBB7_73:
	s_and_b32 vcc_lo, exec_lo, s21
	s_cbranch_vccz .LBB7_83
; %bb.74:
	v_cvt_f32_f64_e32 v2, v[0:1]
	s_mov_b32 s21, exec_lo
                                        ; implicit-def: $vgpr3
	v_and_b32_e32 v6, 0x7fffffff, v2
	v_cmpx_gt_u32_e32 0x43f00000, v6
	s_xor_b32 s21, exec_lo, s21
	s_cbranch_execz .LBB7_80
; %bb.75:
	s_mov_b32 s22, exec_lo
                                        ; implicit-def: $vgpr3
	v_cmpx_lt_u32_e32 0x3c7fffff, v6
	s_xor_b32 s22, exec_lo, s22
; %bb.76:
	v_bfe_u32 v3, v2, 20, 1
	v_add3_u32 v3, v2, v3, 0x407ffff
	v_and_b32_e32 v6, 0xff00000, v3
	v_lshrrev_b32_e32 v3, 20, v3
	v_cmp_ne_u32_e32 vcc_lo, 0x7f00000, v6
	v_cndmask_b32_e32 v3, 0x7e, v3, vcc_lo
; %bb.77:
	s_andn2_saveexec_b32 s22, s22
; %bb.78:
	v_add_f32_e64 v3, 0x46800000, |v2|
; %bb.79:
	s_or_b32 exec_lo, exec_lo, s22
                                        ; implicit-def: $vgpr6
.LBB7_80:
	s_andn2_saveexec_b32 s21, s21
; %bb.81:
	v_mov_b32_e32 v3, 0x7f
	v_cmp_lt_u32_e32 vcc_lo, 0x7f800000, v6
	v_cndmask_b32_e32 v3, 0x7e, v3, vcc_lo
; %bb.82:
	s_or_b32 exec_lo, exec_lo, s21
	v_lshrrev_b32_e32 v2, 24, v2
	v_and_or_b32 v2, 0x80, v2, v3
	global_store_byte v[4:5], v2, off
.LBB7_83:
	s_mov_b32 s21, 0
.LBB7_84:
	s_andn2_b32 vcc_lo, exec_lo, s21
	s_cbranch_vccnz .LBB7_94
; %bb.85:
	v_cvt_f32_f64_e32 v2, v[0:1]
	s_mov_b32 s21, exec_lo
                                        ; implicit-def: $vgpr3
	v_and_b32_e32 v6, 0x7fffffff, v2
	v_cmpx_gt_u32_e32 0x47800000, v6
	s_xor_b32 s21, exec_lo, s21
	s_cbranch_execz .LBB7_91
; %bb.86:
	s_mov_b32 s22, exec_lo
                                        ; implicit-def: $vgpr3
	v_cmpx_lt_u32_e32 0x387fffff, v6
	s_xor_b32 s22, exec_lo, s22
; %bb.87:
	v_bfe_u32 v3, v2, 21, 1
	v_add3_u32 v3, v2, v3, 0x80fffff
	v_lshrrev_b32_e32 v3, 21, v3
; %bb.88:
	s_andn2_saveexec_b32 s22, s22
; %bb.89:
	v_add_f32_e64 v3, 0x43000000, |v2|
; %bb.90:
	s_or_b32 exec_lo, exec_lo, s22
                                        ; implicit-def: $vgpr6
.LBB7_91:
	s_andn2_saveexec_b32 s21, s21
; %bb.92:
	v_mov_b32_e32 v3, 0x7f
	v_cmp_lt_u32_e32 vcc_lo, 0x7f800000, v6
	v_cndmask_b32_e32 v3, 0x7c, v3, vcc_lo
; %bb.93:
	s_or_b32 exec_lo, exec_lo, s21
	v_lshrrev_b32_e32 v2, 24, v2
	v_and_or_b32 v2, 0x80, v2, v3
	global_store_byte v[4:5], v2, off
.LBB7_94:
	s_mov_b32 s22, 0
	s_mov_b32 s21, -1
.LBB7_95:
	s_andn2_b32 vcc_lo, exec_lo, s22
	s_cbranch_vccnz .LBB7_103
; %bb.96:
	s_cmp_gt_i32 s20, 14
	s_mov_b32 s22, -1
	s_cbranch_scc0 .LBB7_100
; %bb.97:
	s_cmp_eq_u32 s20, 15
	s_mov_b32 s0, -1
	s_cbranch_scc0 .LBB7_99
; %bb.98:
	v_cvt_f32_f64_e32 v2, v[0:1]
	s_mov_b32 s21, -1
	s_mov_b32 s0, 0
	v_bfe_u32 v3, v2, 16, 1
	v_cmp_o_f32_e32 vcc_lo, v2, v2
	v_add3_u32 v2, v2, v3, 0x7fff
	v_mov_b32_e32 v3, 0x7fc0
	v_cndmask_b32_sdwa v2, v3, v2, vcc_lo dst_sel:DWORD dst_unused:UNUSED_PAD src0_sel:DWORD src1_sel:WORD_1
	global_store_short v[4:5], v2, off
.LBB7_99:
	s_mov_b32 s22, 0
.LBB7_100:
	s_and_b32 vcc_lo, exec_lo, s22
	s_cbranch_vccz .LBB7_103
; %bb.101:
	s_cmp_eq_u32 s20, 11
	s_mov_b32 s0, -1
	s_cbranch_scc0 .LBB7_103
; %bb.102:
	v_cmp_neq_f64_e32 vcc_lo, 0, v[0:1]
	s_mov_b32 s21, -1
	s_mov_b32 s0, 0
	v_cndmask_b32_e64 v2, 0, 1, vcc_lo
	global_store_byte v[4:5], v2, off
.LBB7_103:
	s_branch .LBB7_22
.LBB7_104:
	s_and_b32 s7, 0xffff, s7
	s_mov_b32 s20, -1
	s_cmp_lt_i32 s7, 5
	s_cbranch_scc1 .LBB7_125
; %bb.105:
	s_cmp_lt_i32 s7, 8
	s_cbranch_scc1 .LBB7_115
; %bb.106:
	;; [unrolled: 3-line block ×3, first 2 shown]
	s_cmp_gt_i32 s7, 9
	s_cbranch_scc0 .LBB7_109
; %bb.108:
	v_mov_b32_e32 v2, 0
	s_mov_b32 s20, 0
	v_mov_b32_e32 v3, v2
	global_store_dwordx4 v[4:5], v[0:3], off
.LBB7_109:
	s_andn2_b32 vcc_lo, exec_lo, s20
	s_cbranch_vccnz .LBB7_111
; %bb.110:
	v_cvt_f32_f64_e32 v2, v[0:1]
	v_mov_b32_e32 v3, 0
	global_store_dwordx2 v[4:5], v[2:3], off
.LBB7_111:
	s_mov_b32 s20, 0
.LBB7_112:
	s_andn2_b32 vcc_lo, exec_lo, s20
	s_cbranch_vccnz .LBB7_114
; %bb.113:
	v_and_or_b32 v2, 0x1ff, v1, v0
	v_lshrrev_b32_e32 v3, 8, v1
	v_bfe_u32 v6, v1, 20, 11
	v_cmp_ne_u32_e32 vcc_lo, 0, v2
	v_sub_nc_u32_e32 v7, 0x3f1, v6
	v_add_nc_u32_e32 v6, 0xfffffc10, v6
	v_cndmask_b32_e64 v2, 0, 1, vcc_lo
	v_and_or_b32 v2, 0xffe, v3, v2
	v_med3_i32 v3, v7, 0, 13
	v_or_b32_e32 v7, 0x1000, v2
	v_lshrrev_b32_e32 v8, v3, v7
	v_lshlrev_b32_e32 v3, v3, v8
	v_cmp_ne_u32_e32 vcc_lo, v3, v7
	v_lshl_or_b32 v7, v6, 12, v2
	v_cndmask_b32_e64 v3, 0, 1, vcc_lo
	v_cmp_gt_i32_e32 vcc_lo, 1, v6
	v_or_b32_e32 v3, v8, v3
	v_cndmask_b32_e32 v3, v7, v3, vcc_lo
	v_and_b32_e32 v7, 7, v3
	v_lshrrev_b32_e32 v3, 2, v3
	v_cmp_lt_i32_e32 vcc_lo, 5, v7
	v_cndmask_b32_e64 v8, 0, 1, vcc_lo
	v_cmp_eq_u32_e32 vcc_lo, 3, v7
	v_cndmask_b32_e64 v7, 0, 1, vcc_lo
	v_cmp_ne_u32_e32 vcc_lo, 0, v2
	v_or_b32_e32 v7, v7, v8
	v_mov_b32_e32 v8, 0x7e00
	v_add_nc_u32_e32 v3, v3, v7
	v_cndmask_b32_e32 v2, 0x7c00, v8, vcc_lo
	v_cmp_gt_i32_e32 vcc_lo, 31, v6
	v_cndmask_b32_e32 v3, 0x7c00, v3, vcc_lo
	v_cmp_eq_u32_e32 vcc_lo, 0x40f, v6
	v_cndmask_b32_e32 v2, v3, v2, vcc_lo
	v_lshrrev_b32_e32 v3, 16, v1
	v_and_or_b32 v2, 0x8000, v3, v2
	v_and_b32_e32 v2, 0xffff, v2
	global_store_dword v[4:5], v2, off
.LBB7_114:
	s_mov_b32 s20, 0
.LBB7_115:
	s_andn2_b32 vcc_lo, exec_lo, s20
	s_cbranch_vccnz .LBB7_124
; %bb.116:
	s_cmp_lt_i32 s7, 6
	s_mov_b32 s20, -1
	s_cbranch_scc1 .LBB7_122
; %bb.117:
	s_cmp_gt_i32 s7, 6
	s_cbranch_scc0 .LBB7_119
; %bb.118:
	s_mov_b32 s20, 0
	global_store_dwordx2 v[4:5], v[0:1], off
.LBB7_119:
	s_andn2_b32 vcc_lo, exec_lo, s20
	s_cbranch_vccnz .LBB7_121
; %bb.120:
	v_cvt_f32_f64_e32 v2, v[0:1]
	global_store_dword v[4:5], v2, off
.LBB7_121:
	s_mov_b32 s20, 0
.LBB7_122:
	s_andn2_b32 vcc_lo, exec_lo, s20
	s_cbranch_vccnz .LBB7_124
; %bb.123:
	v_and_or_b32 v2, 0x1ff, v1, v0
	v_lshrrev_b32_e32 v3, 8, v1
	v_bfe_u32 v6, v1, 20, 11
	v_cmp_ne_u32_e32 vcc_lo, 0, v2
	v_sub_nc_u32_e32 v7, 0x3f1, v6
	v_add_nc_u32_e32 v6, 0xfffffc10, v6
	v_cndmask_b32_e64 v2, 0, 1, vcc_lo
	v_and_or_b32 v2, 0xffe, v3, v2
	v_med3_i32 v3, v7, 0, 13
	v_or_b32_e32 v7, 0x1000, v2
	v_lshrrev_b32_e32 v8, v3, v7
	v_lshlrev_b32_e32 v3, v3, v8
	v_cmp_ne_u32_e32 vcc_lo, v3, v7
	v_lshl_or_b32 v7, v6, 12, v2
	v_cndmask_b32_e64 v3, 0, 1, vcc_lo
	v_cmp_gt_i32_e32 vcc_lo, 1, v6
	v_or_b32_e32 v3, v8, v3
	v_cndmask_b32_e32 v3, v7, v3, vcc_lo
	v_and_b32_e32 v7, 7, v3
	v_lshrrev_b32_e32 v3, 2, v3
	v_cmp_lt_i32_e32 vcc_lo, 5, v7
	v_cndmask_b32_e64 v8, 0, 1, vcc_lo
	v_cmp_eq_u32_e32 vcc_lo, 3, v7
	v_cndmask_b32_e64 v7, 0, 1, vcc_lo
	v_cmp_ne_u32_e32 vcc_lo, 0, v2
	v_or_b32_e32 v7, v7, v8
	v_mov_b32_e32 v8, 0x7e00
	v_add_nc_u32_e32 v3, v3, v7
	v_cndmask_b32_e32 v2, 0x7c00, v8, vcc_lo
	v_cmp_gt_i32_e32 vcc_lo, 31, v6
	v_cndmask_b32_e32 v3, 0x7c00, v3, vcc_lo
	v_cmp_eq_u32_e32 vcc_lo, 0x40f, v6
	v_cndmask_b32_e32 v2, v3, v2, vcc_lo
	v_lshrrev_b32_e32 v3, 16, v1
	v_and_or_b32 v2, 0x8000, v3, v2
	global_store_short v[4:5], v2, off
.LBB7_124:
	s_mov_b32 s20, 0
.LBB7_125:
	s_andn2_b32 vcc_lo, exec_lo, s20
	s_cbranch_vccnz .LBB7_141
; %bb.126:
	s_cmp_lt_i32 s7, 2
	s_mov_b32 s20, -1
	s_cbranch_scc1 .LBB7_136
; %bb.127:
	s_cmp_lt_i32 s7, 3
	s_cbranch_scc1 .LBB7_133
; %bb.128:
	s_cmp_gt_i32 s7, 3
	s_cbranch_scc0 .LBB7_130
; %bb.129:
	v_trunc_f64_e32 v[2:3], v[0:1]
	s_mov_b32 s20, 0
	v_ldexp_f64 v[6:7], v[2:3], 0xffffffe0
	v_floor_f64_e32 v[6:7], v[6:7]
	v_fma_f64 v[2:3], 0xc1f00000, v[6:7], v[2:3]
	v_cvt_i32_f64_e32 v7, v[6:7]
	v_cvt_u32_f64_e32 v6, v[2:3]
	global_store_dwordx2 v[4:5], v[6:7], off
.LBB7_130:
	s_andn2_b32 vcc_lo, exec_lo, s20
	s_cbranch_vccnz .LBB7_132
; %bb.131:
	v_cvt_i32_f64_e32 v2, v[0:1]
	global_store_dword v[4:5], v2, off
.LBB7_132:
	s_mov_b32 s20, 0
.LBB7_133:
	s_andn2_b32 vcc_lo, exec_lo, s20
	s_cbranch_vccnz .LBB7_135
; %bb.134:
	v_cvt_i32_f64_e32 v2, v[0:1]
	global_store_short v[4:5], v2, off
.LBB7_135:
	s_mov_b32 s20, 0
.LBB7_136:
	s_andn2_b32 vcc_lo, exec_lo, s20
	s_cbranch_vccnz .LBB7_141
; %bb.137:
	s_cmp_gt_i32 s7, 0
	s_mov_b32 s7, -1
	s_cbranch_scc0 .LBB7_139
; %bb.138:
	v_cvt_i32_f64_e32 v2, v[0:1]
	s_mov_b32 s7, 0
	global_store_byte v[4:5], v2, off
.LBB7_139:
	s_andn2_b32 vcc_lo, exec_lo, s7
	s_cbranch_vccnz .LBB7_141
; %bb.140:
	v_trunc_f64_e32 v[0:1], v[0:1]
	v_ldexp_f64 v[2:3], v[0:1], 0xffffffe0
	v_floor_f64_e32 v[2:3], v[2:3]
	v_fma_f64 v[0:1], 0xc1f00000, v[2:3], v[0:1]
	v_cvt_u32_f64_e32 v0, v[0:1]
	global_store_byte v[4:5], v0, off
.LBB7_141:
.LBB7_142:
	v_add_nc_u32_e32 v16, 0x80, v16
	s_mov_b32 s20, -1
	s_branch .LBB7_253
.LBB7_143:
	s_mov_b32 s17, -1
                                        ; implicit-def: $vgpr2_vgpr3
.LBB7_144:
	s_mov_b32 s20, 0
.LBB7_145:
	s_and_b32 vcc_lo, exec_lo, s20
	s_cbranch_vccz .LBB7_149
; %bb.146:
	s_cmp_eq_u32 s0, 29
	s_cbranch_scc0 .LBB7_148
; %bb.147:
	global_load_dwordx2 v[2:3], v[0:1], off
	s_mov_b32 s7, -1
	s_mov_b32 s17, 0
	s_mov_b32 s20, 0
	s_waitcnt vmcnt(0)
	v_cvt_f64_u32_e32 v[3:4], v3
	v_cvt_f64_u32_e32 v[5:6], v2
	v_ldexp_f64 v[3:4], v[3:4], 32
	v_add_f64 v[2:3], v[3:4], v[5:6]
	s_branch .LBB7_150
.LBB7_148:
	s_mov_b32 s17, -1
                                        ; implicit-def: $vgpr2_vgpr3
.LBB7_149:
	s_mov_b32 s20, 0
.LBB7_150:
	s_and_b32 vcc_lo, exec_lo, s20
	s_cbranch_vccz .LBB7_170
; %bb.151:
	s_cmp_lt_i32 s0, 27
	s_cbranch_scc1 .LBB7_154
; %bb.152:
	s_cmp_gt_i32 s0, 27
	s_cbranch_scc0 .LBB7_155
; %bb.153:
	global_load_dword v2, v[0:1], off
	s_mov_b32 s7, 0
	s_waitcnt vmcnt(0)
	v_cvt_f64_u32_e32 v[2:3], v2
	s_branch .LBB7_156
.LBB7_154:
	s_mov_b32 s7, -1
                                        ; implicit-def: $vgpr2_vgpr3
	s_branch .LBB7_159
.LBB7_155:
	s_mov_b32 s7, -1
                                        ; implicit-def: $vgpr2_vgpr3
.LBB7_156:
	s_andn2_b32 vcc_lo, exec_lo, s7
	s_cbranch_vccnz .LBB7_158
; %bb.157:
	global_load_ushort v2, v[0:1], off
	s_waitcnt vmcnt(0)
	v_cvt_f64_u32_e32 v[2:3], v2
.LBB7_158:
	s_mov_b32 s7, 0
.LBB7_159:
	s_andn2_b32 vcc_lo, exec_lo, s7
	s_cbranch_vccnz .LBB7_169
; %bb.160:
	global_load_ubyte v4, v[0:1], off
	s_mov_b32 s7, 0
	s_mov_b32 s20, exec_lo
	s_waitcnt vmcnt(0)
	v_cmpx_lt_i16_e32 0x7f, v4
	s_xor_b32 s20, exec_lo, s20
	s_cbranch_execz .LBB7_164
; %bb.161:
	s_mov_b32 s7, -1
	s_mov_b32 s21, exec_lo
	v_cmpx_eq_u16_e32 0x80, v4
; %bb.162:
	s_xor_b32 s7, exec_lo, -1
; %bb.163:
	s_or_b32 exec_lo, exec_lo, s21
	s_and_b32 s7, s7, exec_lo
.LBB7_164:
	s_or_saveexec_b32 s20, s20
	v_bfrev_b32_e32 v2, 4
	v_mov_b32_e32 v3, 0x7ff80000
	s_xor_b32 exec_lo, exec_lo, s20
; %bb.165:
	v_cmp_ne_u16_e32 vcc_lo, 0, v4
	v_mov_b32_e32 v2, 0
	v_mov_b32_e32 v3, 0
	s_andn2_b32 s7, s7, exec_lo
	s_and_b32 s21, vcc_lo, exec_lo
	s_or_b32 s7, s7, s21
; %bb.166:
	s_or_b32 exec_lo, exec_lo, s20
	s_and_saveexec_b32 s20, s7
	s_cbranch_execz .LBB7_168
; %bb.167:
	v_and_b32_e32 v2, 0xffff, v4
	v_lshlrev_b32_e32 v4, 24, v4
	v_and_b32_e32 v3, 7, v2
	v_bfe_u32 v7, v2, 3, 4
	v_ffbh_u32_e32 v5, v3
	v_cmp_eq_u32_e32 vcc_lo, 0, v7
	v_min_u32_e32 v5, 32, v5
	v_subrev_nc_u32_e32 v6, 28, v5
	v_sub_nc_u32_e32 v5, 29, v5
	v_lshlrev_b32_e32 v2, v6, v2
	v_cndmask_b32_e32 v5, v7, v5, vcc_lo
	v_and_b32_e32 v2, 7, v2
	v_cndmask_b32_e32 v2, v3, v2, vcc_lo
	v_and_b32_e32 v3, 0x80000000, v4
	v_lshl_add_u32 v4, v5, 23, 0x3b800000
	v_lshlrev_b32_e32 v2, 20, v2
	v_or3_b32 v2, v3, v4, v2
	v_cvt_f64_f32_e32 v[2:3], v2
.LBB7_168:
	s_or_b32 exec_lo, exec_lo, s20
.LBB7_169:
	s_mov_b32 s7, -1
.LBB7_170:
	s_branch .LBB7_203
.LBB7_171:
	s_cmp_gt_i32 s0, 22
	s_cbranch_scc0 .LBB7_183
; %bb.172:
	s_cmp_lt_i32 s0, 24
	s_cbranch_scc1 .LBB7_184
; %bb.173:
	s_cmp_gt_i32 s0, 24
	s_cbranch_scc0 .LBB7_185
; %bb.174:
	global_load_ubyte v4, v[0:1], off
	s_mov_b32 s7, 0
	s_mov_b32 s20, exec_lo
	s_waitcnt vmcnt(0)
	v_cmpx_lt_i16_e32 0x7f, v4
	s_xor_b32 s20, exec_lo, s20
	s_cbranch_execz .LBB7_178
; %bb.175:
	s_mov_b32 s7, -1
	s_mov_b32 s21, exec_lo
	v_cmpx_eq_u16_e32 0x80, v4
; %bb.176:
	s_xor_b32 s7, exec_lo, -1
; %bb.177:
	s_or_b32 exec_lo, exec_lo, s21
	s_and_b32 s7, s7, exec_lo
.LBB7_178:
	s_or_saveexec_b32 s20, s20
	v_bfrev_b32_e32 v2, 4
	v_mov_b32_e32 v3, 0x7ff80000
	s_xor_b32 exec_lo, exec_lo, s20
; %bb.179:
	v_cmp_ne_u16_e32 vcc_lo, 0, v4
	v_mov_b32_e32 v2, 0
	v_mov_b32_e32 v3, 0
	s_andn2_b32 s7, s7, exec_lo
	s_and_b32 s21, vcc_lo, exec_lo
	s_or_b32 s7, s7, s21
; %bb.180:
	s_or_b32 exec_lo, exec_lo, s20
	s_and_saveexec_b32 s20, s7
	s_cbranch_execz .LBB7_182
; %bb.181:
	v_and_b32_e32 v2, 0xffff, v4
	v_lshlrev_b32_e32 v4, 24, v4
	v_and_b32_e32 v3, 3, v2
	v_bfe_u32 v7, v2, 2, 5
	v_ffbh_u32_e32 v5, v3
	v_cmp_eq_u32_e32 vcc_lo, 0, v7
	v_min_u32_e32 v5, 32, v5
	v_subrev_nc_u32_e32 v6, 29, v5
	v_sub_nc_u32_e32 v5, 30, v5
	v_lshlrev_b32_e32 v2, v6, v2
	v_cndmask_b32_e32 v5, v7, v5, vcc_lo
	v_and_b32_e32 v2, 3, v2
	v_cndmask_b32_e32 v2, v3, v2, vcc_lo
	v_and_b32_e32 v3, 0x80000000, v4
	v_lshl_add_u32 v4, v5, 23, 0x37800000
	v_lshlrev_b32_e32 v2, 21, v2
	v_or3_b32 v2, v3, v4, v2
	v_cvt_f64_f32_e32 v[2:3], v2
.LBB7_182:
	s_or_b32 exec_lo, exec_lo, s20
	s_mov_b32 s7, 0
	s_branch .LBB7_186
.LBB7_183:
	s_mov_b32 s20, -1
                                        ; implicit-def: $vgpr2_vgpr3
	s_branch .LBB7_192
.LBB7_184:
	s_mov_b32 s7, -1
                                        ; implicit-def: $vgpr2_vgpr3
	s_branch .LBB7_189
.LBB7_185:
	s_mov_b32 s7, -1
                                        ; implicit-def: $vgpr2_vgpr3
.LBB7_186:
	s_and_b32 vcc_lo, exec_lo, s7
	s_cbranch_vccz .LBB7_188
; %bb.187:
	global_load_ubyte v2, v[0:1], off
	s_waitcnt vmcnt(0)
	v_lshlrev_b32_e32 v2, 24, v2
	v_and_b32_e32 v3, 0x7f000000, v2
	v_ffbh_u32_e32 v4, v3
	v_add_nc_u32_e32 v6, 0x1000000, v3
	v_cmp_ne_u32_e32 vcc_lo, 0, v3
	v_min_u32_e32 v4, 32, v4
	v_sub_nc_u32_e64 v4, v4, 4 clamp
	v_lshlrev_b32_e32 v5, v4, v3
	v_lshlrev_b32_e32 v4, 23, v4
	v_lshrrev_b32_e32 v5, 4, v5
	v_sub_nc_u32_e32 v4, v5, v4
	v_ashrrev_i32_e32 v5, 8, v6
	v_add_nc_u32_e32 v4, 0x3c000000, v4
	v_and_or_b32 v4, 0x7f800000, v5, v4
	v_cndmask_b32_e32 v3, 0, v4, vcc_lo
	v_and_or_b32 v2, 0x80000000, v2, v3
	v_cvt_f64_f32_e32 v[2:3], v2
.LBB7_188:
	s_mov_b32 s7, 0
.LBB7_189:
	s_andn2_b32 vcc_lo, exec_lo, s7
	s_cbranch_vccnz .LBB7_191
; %bb.190:
	global_load_ubyte v2, v[0:1], off
	s_waitcnt vmcnt(0)
	v_lshlrev_b32_e32 v3, 25, v2
	v_lshlrev_b16 v2, 8, v2
	v_lshrrev_b32_e32 v4, 4, v3
	v_and_or_b32 v5, 0x7f00, v2, 0.5
	v_cmp_gt_u32_e32 vcc_lo, 0x8000000, v3
	v_bfe_i32 v2, v2, 0, 16
	v_or_b32_e32 v4, 0x70000000, v4
	v_add_f32_e32 v5, -0.5, v5
	v_mul_f32_e32 v4, 0x7800000, v4
	v_cndmask_b32_e32 v3, v4, v5, vcc_lo
	v_and_or_b32 v2, 0x80000000, v2, v3
	v_cvt_f64_f32_e32 v[2:3], v2
.LBB7_191:
	s_mov_b32 s20, 0
	s_mov_b32 s7, -1
.LBB7_192:
	s_andn2_b32 vcc_lo, exec_lo, s20
	s_cbranch_vccnz .LBB7_203
; %bb.193:
	s_cmp_gt_i32 s0, 14
	s_cbranch_scc0 .LBB7_196
; %bb.194:
	s_cmp_eq_u32 s0, 15
	s_cbranch_scc0 .LBB7_197
; %bb.195:
	global_load_ushort v2, v[0:1], off
	s_mov_b32 s7, -1
	s_mov_b32 s17, 0
	s_waitcnt vmcnt(0)
	v_lshlrev_b32_e32 v2, 16, v2
	v_cvt_f64_f32_e32 v[2:3], v2
	s_branch .LBB7_198
.LBB7_196:
	s_mov_b32 s20, -1
                                        ; implicit-def: $vgpr2_vgpr3
	s_branch .LBB7_199
.LBB7_197:
	s_mov_b32 s17, -1
                                        ; implicit-def: $vgpr2_vgpr3
.LBB7_198:
	s_mov_b32 s20, 0
.LBB7_199:
	s_and_b32 vcc_lo, exec_lo, s20
	s_cbranch_vccz .LBB7_203
; %bb.200:
	s_cmp_eq_u32 s0, 11
	s_cbranch_scc0 .LBB7_202
; %bb.201:
	global_load_ubyte v2, v[0:1], off
	s_mov_b32 s17, 0
	s_mov_b32 s7, -1
	s_waitcnt vmcnt(0)
	v_cmp_ne_u16_e32 vcc_lo, 0, v2
	v_mov_b32_e32 v2, 0
	v_cndmask_b32_e64 v3, 0, 0x3ff00000, vcc_lo
	s_branch .LBB7_203
.LBB7_202:
	s_mov_b32 s17, -1
                                        ; implicit-def: $vgpr2_vgpr3
.LBB7_203:
	s_branch .LBB7_10
.LBB7_204:
	s_cmp_lt_i32 s0, 5
	s_cbranch_scc1 .LBB7_209
; %bb.205:
	s_cmp_lt_i32 s0, 8
	s_cbranch_scc1 .LBB7_210
; %bb.206:
	s_cmp_lt_i32 s0, 9
	s_cbranch_scc1 .LBB7_211
; %bb.207:
	s_cmp_gt_i32 s0, 9
	s_cbranch_scc0 .LBB7_212
; %bb.208:
	global_load_dwordx2 v[2:3], v[0:1], off
	s_mov_b32 s7, 0
	s_branch .LBB7_213
.LBB7_209:
                                        ; implicit-def: $vgpr2_vgpr3
	s_branch .LBB7_231
.LBB7_210:
	s_mov_b32 s7, -1
                                        ; implicit-def: $vgpr2_vgpr3
	s_branch .LBB7_219
.LBB7_211:
	s_mov_b32 s7, -1
                                        ; implicit-def: $vgpr2_vgpr3
	s_branch .LBB7_216
.LBB7_212:
	s_mov_b32 s7, -1
                                        ; implicit-def: $vgpr2_vgpr3
.LBB7_213:
	s_andn2_b32 vcc_lo, exec_lo, s7
	s_cbranch_vccnz .LBB7_215
; %bb.214:
	global_load_dword v2, v[0:1], off
	s_waitcnt vmcnt(0)
	v_cvt_f64_f32_e32 v[2:3], v2
.LBB7_215:
	s_mov_b32 s7, 0
.LBB7_216:
	s_andn2_b32 vcc_lo, exec_lo, s7
	s_cbranch_vccnz .LBB7_218
; %bb.217:
	global_load_dword v2, v[0:1], off
	s_waitcnt vmcnt(0)
	v_cvt_f32_f16_e32 v2, v2
	v_cvt_f64_f32_e32 v[2:3], v2
.LBB7_218:
	s_mov_b32 s7, 0
.LBB7_219:
	s_andn2_b32 vcc_lo, exec_lo, s7
	s_cbranch_vccnz .LBB7_230
; %bb.220:
	s_cmp_lt_i32 s0, 6
	s_cbranch_scc1 .LBB7_223
; %bb.221:
	s_cmp_gt_i32 s0, 6
	s_cbranch_scc0 .LBB7_224
; %bb.222:
	global_load_dwordx2 v[2:3], v[0:1], off
	s_mov_b32 s7, 0
	s_branch .LBB7_225
.LBB7_223:
	s_mov_b32 s7, -1
                                        ; implicit-def: $vgpr2_vgpr3
	s_branch .LBB7_228
.LBB7_224:
	s_mov_b32 s7, -1
                                        ; implicit-def: $vgpr2_vgpr3
.LBB7_225:
	s_andn2_b32 vcc_lo, exec_lo, s7
	s_cbranch_vccnz .LBB7_227
; %bb.226:
	global_load_dword v2, v[0:1], off
	s_waitcnt vmcnt(0)
	v_cvt_f64_f32_e32 v[2:3], v2
.LBB7_227:
	s_mov_b32 s7, 0
.LBB7_228:
	s_andn2_b32 vcc_lo, exec_lo, s7
	s_cbranch_vccnz .LBB7_230
; %bb.229:
	global_load_ushort v2, v[0:1], off
	s_waitcnt vmcnt(0)
	v_cvt_f32_f16_e32 v2, v2
	v_cvt_f64_f32_e32 v[2:3], v2
.LBB7_230:
	s_cbranch_execnz .LBB7_250
.LBB7_231:
	s_cmp_lt_i32 s0, 2
	s_cbranch_scc1 .LBB7_235
; %bb.232:
	s_cmp_lt_i32 s0, 3
	s_cbranch_scc1 .LBB7_236
; %bb.233:
	s_cmp_gt_i32 s0, 3
	s_cbranch_scc0 .LBB7_237
; %bb.234:
	global_load_dwordx2 v[2:3], v[0:1], off
	s_mov_b32 s7, 0
	s_waitcnt vmcnt(0)
	v_cvt_f64_i32_e32 v[3:4], v3
	v_cvt_f64_u32_e32 v[5:6], v2
	v_ldexp_f64 v[3:4], v[3:4], 32
	v_add_f64 v[2:3], v[3:4], v[5:6]
	s_branch .LBB7_238
.LBB7_235:
	s_mov_b32 s7, -1
                                        ; implicit-def: $vgpr2_vgpr3
	s_branch .LBB7_244
.LBB7_236:
	s_mov_b32 s7, -1
                                        ; implicit-def: $vgpr2_vgpr3
	s_branch .LBB7_241
.LBB7_237:
	s_mov_b32 s7, -1
                                        ; implicit-def: $vgpr2_vgpr3
.LBB7_238:
	s_andn2_b32 vcc_lo, exec_lo, s7
	s_cbranch_vccnz .LBB7_240
; %bb.239:
	global_load_dword v2, v[0:1], off
	s_waitcnt vmcnt(0)
	v_cvt_f64_i32_e32 v[2:3], v2
.LBB7_240:
	s_mov_b32 s7, 0
.LBB7_241:
	s_andn2_b32 vcc_lo, exec_lo, s7
	s_cbranch_vccnz .LBB7_243
; %bb.242:
	global_load_sshort v2, v[0:1], off
	s_waitcnt vmcnt(0)
	v_cvt_f64_i32_e32 v[2:3], v2
.LBB7_243:
	s_mov_b32 s7, 0
.LBB7_244:
	s_andn2_b32 vcc_lo, exec_lo, s7
	s_cbranch_vccnz .LBB7_250
; %bb.245:
	s_cmp_gt_i32 s0, 0
	s_mov_b32 s0, 0
	s_cbranch_scc0 .LBB7_247
; %bb.246:
	global_load_sbyte v2, v[0:1], off
	s_waitcnt vmcnt(0)
	v_cvt_f64_i32_e32 v[2:3], v2
	s_branch .LBB7_248
.LBB7_247:
	s_mov_b32 s0, -1
                                        ; implicit-def: $vgpr2_vgpr3
.LBB7_248:
	s_andn2_b32 vcc_lo, exec_lo, s0
	s_cbranch_vccnz .LBB7_250
; %bb.249:
	global_load_ubyte v0, v[0:1], off
	s_waitcnt vmcnt(0)
	v_cvt_f64_u32_e32 v[2:3], v0
.LBB7_250:
	s_branch .LBB7_11
.LBB7_251:
	s_mov_b32 s0, 0
.LBB7_252:
	s_mov_b32 s20, 0
                                        ; implicit-def: $vgpr16
.LBB7_253:
	s_and_b32 s7, s0, exec_lo
	s_and_b32 s17, s17, exec_lo
	s_orn2_b32 s21, s20, exec_lo
.LBB7_254:
	s_or_b32 exec_lo, exec_lo, s18
	s_mov_b32 s20, 0
	s_mov_b32 s0, 0
                                        ; implicit-def: $vgpr0_vgpr1
                                        ; implicit-def: $vgpr2_vgpr3
	s_and_saveexec_b32 s18, s21
	s_cbranch_execz .LBB7_263
; %bb.255:
	s_mov_b32 s0, -1
	s_mov_b32 s19, s17
	s_mov_b32 s20, s7
	s_mov_b32 s21, exec_lo
	v_cmpx_gt_i32_e64 s16, v16
	s_cbranch_execz .LBB7_519
; %bb.256:
	v_mul_lo_u32 v0, v16, s3
	s_and_b32 s0, 0xffff, s5
	s_cmp_lt_i32 s0, 11
	v_ashrrev_i32_e32 v1, 31, v0
	v_add_co_u32 v0, vcc_lo, s10, v0
	v_add_co_ci_u32_e64 v1, null, s11, v1, vcc_lo
	s_cbranch_scc1 .LBB7_266
; %bb.257:
	s_cmp_gt_i32 s0, 25
	s_cbranch_scc0 .LBB7_277
; %bb.258:
	s_cmp_gt_i32 s0, 28
	s_cbranch_scc0 .LBB7_279
	;; [unrolled: 3-line block ×4, first 2 shown]
; %bb.261:
	s_cmp_eq_u32 s0, 46
	s_mov_b32 s22, 0
	s_cbranch_scc0 .LBB7_289
; %bb.262:
	global_load_dword v2, v[0:1], off
	s_mov_b32 s20, -1
	s_mov_b32 s19, 0
	s_waitcnt vmcnt(0)
	v_lshlrev_b32_e32 v2, 16, v2
	v_cvt_f64_f32_e32 v[2:3], v2
	s_branch .LBB7_291
.LBB7_263:
	s_or_b32 exec_lo, exec_lo, s18
	s_mov_b32 s16, 0
	s_and_saveexec_b32 s18, s17
	s_cbranch_execnz .LBB7_869
.LBB7_264:
	s_or_b32 exec_lo, exec_lo, s18
	s_and_saveexec_b32 s17, s19
	s_xor_b32 s17, exec_lo, s17
	s_cbranch_execz .LBB7_870
.LBB7_265:
	global_load_ubyte v2, v[0:1], off
	s_or_b32 s0, s0, exec_lo
	s_waitcnt vmcnt(0)
	v_cmp_ne_u16_e32 vcc_lo, 0, v2
	v_mov_b32_e32 v2, 0
	v_cndmask_b32_e64 v3, 0, 0x3ff00000, vcc_lo
	s_or_b32 exec_lo, exec_lo, s17
	s_and_saveexec_b32 s17, s20
	s_cbranch_execz .LBB7_916
	s_branch .LBB7_871
.LBB7_266:
	s_mov_b32 s20, 0
	s_mov_b32 s19, s17
                                        ; implicit-def: $vgpr2_vgpr3
	s_cbranch_execnz .LBB7_468
.LBB7_267:
	s_andn2_b32 vcc_lo, exec_lo, s20
	s_cbranch_vccnz .LBB7_516
.LBB7_268:
	s_waitcnt vmcnt(0)
	v_cvt_f32_f64_e32 v0, v[2:3]
	s_mov_b32 s0, exec_lo
	v_cmpx_nlg_f32_e64 0x7f800000, |v0|
	s_cbranch_execz .LBB7_270
; %bb.269:
	v_mov_b32_e32 v0, 0
	v_mov_b32_e32 v1, 1.0
	global_store_dword v0, v1, s[12:13]
.LBB7_270:
	s_or_b32 exec_lo, exec_lo, s0
	v_mov_b32_e32 v0, 0
	v_mul_lo_u32 v5, v16, s2
	s_and_b32 s20, s1, 0xff
	s_cmp_lt_i32 s20, 11
	global_load_dword v4, v0, s[14:15]
	v_ashrrev_i32_e32 v6, 31, v5
	s_waitcnt vmcnt(0)
	v_cvt_f64_f32_e32 v[0:1], v4
	v_cmp_eq_f32_e32 vcc_lo, 1.0, v4
	v_add_co_u32 v4, s0, s8, v5
	v_add_co_ci_u32_e64 v5, null, s9, v6, s0
	v_mul_f64 v[0:1], v[2:3], v[0:1]
	v_cndmask_b32_e32 v1, v1, v3, vcc_lo
	v_cndmask_b32_e32 v0, v0, v2, vcc_lo
	s_cbranch_scc1 .LBB7_278
; %bb.271:
	s_and_b32 s22, 0xffff, s20
	s_cmp_gt_i32 s22, 25
	s_cbranch_scc0 .LBB7_280
; %bb.272:
	s_cmp_gt_i32 s22, 28
	s_cbranch_scc0 .LBB7_282
; %bb.273:
	;; [unrolled: 3-line block ×4, first 2 shown]
	s_mov_b32 s24, 0
	s_mov_b32 s0, -1
	s_cmp_eq_u32 s22, 46
	s_mov_b32 s23, 0
	s_cbranch_scc0 .LBB7_295
; %bb.276:
	v_cvt_f32_f64_e32 v2, v[0:1]
	s_mov_b32 s23, -1
	s_mov_b32 s0, 0
	v_bfe_u32 v3, v2, 16, 1
	v_cmp_o_f32_e32 vcc_lo, v2, v2
	v_add3_u32 v2, v2, v3, 0x7fff
	v_mov_b32_e32 v3, 0x7fc0
	v_cndmask_b32_sdwa v2, v3, v2, vcc_lo dst_sel:DWORD dst_unused:UNUSED_PAD src0_sel:DWORD src1_sel:WORD_1
	global_store_dword v[4:5], v2, off
	s_branch .LBB7_295
.LBB7_277:
	s_mov_b32 s22, -1
	s_mov_b32 s20, 0
	s_mov_b32 s19, s17
                                        ; implicit-def: $vgpr2_vgpr3
	s_branch .LBB7_434
.LBB7_278:
	s_mov_b32 s22, -1
	s_mov_b32 s23, 0
	s_mov_b32 s0, s7
	s_branch .LBB7_364
.LBB7_279:
	s_mov_b32 s22, -1
	s_mov_b32 s20, 0
	s_mov_b32 s19, s17
                                        ; implicit-def: $vgpr2_vgpr3
	s_branch .LBB7_413
.LBB7_280:
	s_mov_b32 s24, -1
	s_mov_b32 s23, 0
	s_mov_b32 s0, s7
	s_branch .LBB7_322
.LBB7_281:
	s_mov_b32 s22, -1
	s_mov_b32 s20, 0
	s_mov_b32 s19, s17
                                        ; implicit-def: $vgpr2_vgpr3
	s_branch .LBB7_408
.LBB7_282:
	s_mov_b32 s24, -1
	s_mov_b32 s23, 0
	s_mov_b32 s0, s7
	s_branch .LBB7_305
.LBB7_283:
	s_andn2_saveexec_b32 s23, s23
	s_cbranch_execz .LBB7_56
.LBB7_284:
	v_add_f32_e64 v3, 0x46000000, |v2|
	s_andn2_b32 s22, s22, exec_lo
	v_and_b32_e32 v3, 0xff, v3
	v_cmp_ne_u32_e32 vcc_lo, 0, v3
	s_and_b32 s24, vcc_lo, exec_lo
	s_or_b32 s22, s22, s24
	s_or_b32 exec_lo, exec_lo, s23
	v_mov_b32_e32 v6, 0
	s_and_saveexec_b32 s23, s22
	s_cbranch_execnz .LBB7_57
	s_branch .LBB7_58
.LBB7_285:
	s_mov_b32 s22, -1
	s_mov_b32 s20, 0
	s_mov_b32 s19, s17
	s_branch .LBB7_290
.LBB7_286:
	s_mov_b32 s24, -1
	s_mov_b32 s23, 0
	s_mov_b32 s0, s7
	s_branch .LBB7_301
.LBB7_287:
	s_andn2_saveexec_b32 s23, s23
	s_cbranch_execz .LBB7_69
.LBB7_288:
	v_add_f32_e64 v3, 0x42800000, |v2|
	s_andn2_b32 s22, s22, exec_lo
	v_and_b32_e32 v3, 0xff, v3
	v_cmp_ne_u32_e32 vcc_lo, 0, v3
	s_and_b32 s24, vcc_lo, exec_lo
	s_or_b32 s22, s22, s24
	s_or_b32 exec_lo, exec_lo, s23
	v_mov_b32_e32 v6, 0
	s_and_saveexec_b32 s23, s22
	s_cbranch_execnz .LBB7_70
	s_branch .LBB7_71
.LBB7_289:
	s_mov_b32 s19, -1
	s_mov_b32 s20, 0
.LBB7_290:
                                        ; implicit-def: $vgpr2_vgpr3
.LBB7_291:
	s_and_b32 vcc_lo, exec_lo, s22
	s_cbranch_vccz .LBB7_407
; %bb.292:
	s_cmp_eq_u32 s0, 44
	s_cbranch_scc0 .LBB7_406
; %bb.293:
	global_load_ubyte v4, v[0:1], off
	s_mov_b32 s19, 0
	s_mov_b32 s20, -1
	s_waitcnt vmcnt(0)
	v_lshlrev_b32_e32 v2, 23, v4
	v_cmp_ne_u32_e32 vcc_lo, 0xff, v4
	v_cvt_f64_f32_e32 v[2:3], v2
	v_cndmask_b32_e32 v2, 0x20000000, v2, vcc_lo
	v_cndmask_b32_e32 v3, 0x7ff80000, v3, vcc_lo
	v_cmp_ne_u32_e32 vcc_lo, 0, v4
	v_cndmask_b32_e32 v3, 0x38000000, v3, vcc_lo
	v_cndmask_b32_e32 v2, 0, v2, vcc_lo
	s_branch .LBB7_407
.LBB7_294:
	s_mov_b32 s24, -1
	s_mov_b32 s23, 0
	s_mov_b32 s0, s7
.LBB7_295:
	s_and_b32 vcc_lo, exec_lo, s24
	s_cbranch_vccz .LBB7_300
; %bb.296:
	s_cmp_eq_u32 s22, 44
	s_mov_b32 s0, -1
	s_cbranch_scc0 .LBB7_300
; %bb.297:
	v_cvt_f32_f64_e32 v2, v[0:1]
	v_mov_b32_e32 v3, 0xff
	s_mov_b32 s23, exec_lo
	v_bfe_u32 v6, v2, 23, 8
	v_cmpx_ne_u32_e32 0xff, v6
	s_cbranch_execz .LBB7_299
; %bb.298:
	v_and_b32_e32 v3, 0x400000, v2
	v_and_or_b32 v6, 0x3fffff, v2, v6
	v_lshrrev_b32_e32 v2, 23, v2
	v_cmp_ne_u32_e32 vcc_lo, 0, v3
	v_cmp_ne_u32_e64 s0, 0, v6
	s_and_b32 s0, vcc_lo, s0
	v_cndmask_b32_e64 v3, 0, 1, s0
	v_add_nc_u32_e32 v3, v2, v3
.LBB7_299:
	s_or_b32 exec_lo, exec_lo, s23
	s_mov_b32 s23, -1
	s_mov_b32 s0, 0
	global_store_byte v[4:5], v3, off
.LBB7_300:
	s_mov_b32 s24, 0
.LBB7_301:
	s_and_b32 vcc_lo, exec_lo, s24
	s_cbranch_vccz .LBB7_304
; %bb.302:
	s_cmp_eq_u32 s22, 29
	s_mov_b32 s0, -1
	s_cbranch_scc0 .LBB7_304
; %bb.303:
	v_trunc_f64_e32 v[2:3], v[0:1]
	s_mov_b32 s23, -1
	s_mov_b32 s0, 0
	s_mov_b32 s24, 0
	v_ldexp_f64 v[6:7], v[2:3], 0xffffffe0
	v_floor_f64_e32 v[6:7], v[6:7]
	v_fma_f64 v[2:3], 0xc1f00000, v[6:7], v[2:3]
	v_cvt_u32_f64_e32 v7, v[6:7]
	v_cvt_u32_f64_e32 v6, v[2:3]
	global_store_dwordx2 v[4:5], v[6:7], off
	s_branch .LBB7_305
.LBB7_304:
	s_mov_b32 s24, 0
.LBB7_305:
	s_and_b32 vcc_lo, exec_lo, s24
	s_cbranch_vccz .LBB7_321
; %bb.306:
	s_cmp_lt_i32 s22, 27
	s_mov_b32 s23, -1
	s_cbranch_scc1 .LBB7_312
; %bb.307:
	v_cvt_u32_f64_e32 v2, v[0:1]
	s_cmp_gt_i32 s22, 27
	s_cbranch_scc0 .LBB7_309
; %bb.308:
	s_mov_b32 s23, 0
	global_store_dword v[4:5], v2, off
.LBB7_309:
	s_andn2_b32 vcc_lo, exec_lo, s23
	s_cbranch_vccnz .LBB7_311
; %bb.310:
	global_store_short v[4:5], v2, off
.LBB7_311:
	s_mov_b32 s23, 0
.LBB7_312:
	s_andn2_b32 vcc_lo, exec_lo, s23
	s_cbranch_vccnz .LBB7_320
; %bb.313:
	v_cvt_f32_f64_e32 v2, v[0:1]
	v_mov_b32_e32 v6, 0x80
	s_mov_b32 s23, exec_lo
	v_and_b32_e32 v3, 0x7fffffff, v2
	v_cmpx_gt_u32_e32 0x43800000, v3
	s_cbranch_execz .LBB7_319
; %bb.314:
	v_cmp_lt_u32_e32 vcc_lo, 0x3bffffff, v3
	s_mov_b32 s24, 0
                                        ; implicit-def: $vgpr3
	s_and_saveexec_b32 s25, vcc_lo
	s_xor_b32 s25, exec_lo, s25
	s_cbranch_execz .LBB7_532
; %bb.315:
	v_bfe_u32 v3, v2, 20, 1
	s_mov_b32 s24, exec_lo
	v_add3_u32 v3, v2, v3, 0x487ffff
	v_lshrrev_b32_e32 v3, 20, v3
	s_andn2_saveexec_b32 s25, s25
	s_cbranch_execnz .LBB7_533
.LBB7_316:
	s_or_b32 exec_lo, exec_lo, s25
	v_mov_b32_e32 v6, 0
	s_and_saveexec_b32 s25, s24
.LBB7_317:
	v_lshrrev_b32_e32 v2, 24, v2
	v_and_or_b32 v6, 0x80, v2, v3
.LBB7_318:
	s_or_b32 exec_lo, exec_lo, s25
.LBB7_319:
	s_or_b32 exec_lo, exec_lo, s23
	global_store_byte v[4:5], v6, off
.LBB7_320:
	s_mov_b32 s23, -1
.LBB7_321:
	s_mov_b32 s24, 0
.LBB7_322:
	s_and_b32 vcc_lo, exec_lo, s24
	s_cbranch_vccz .LBB7_363
; %bb.323:
	s_cmp_gt_i32 s22, 22
	s_mov_b32 s24, -1
	s_cbranch_scc0 .LBB7_355
; %bb.324:
	s_cmp_lt_i32 s22, 24
	s_mov_b32 s23, -1
	s_cbranch_scc1 .LBB7_344
; %bb.325:
	s_cmp_gt_i32 s22, 24
	s_cbranch_scc0 .LBB7_333
; %bb.326:
	v_cvt_f32_f64_e32 v2, v[0:1]
	v_mov_b32_e32 v6, 0x80
	s_mov_b32 s23, exec_lo
	v_and_b32_e32 v3, 0x7fffffff, v2
	v_cmpx_gt_u32_e32 0x47800000, v3
	s_cbranch_execz .LBB7_332
; %bb.327:
	v_cmp_lt_u32_e32 vcc_lo, 0x37ffffff, v3
	s_mov_b32 s24, 0
                                        ; implicit-def: $vgpr3
	s_and_saveexec_b32 s25, vcc_lo
	s_xor_b32 s25, exec_lo, s25
	s_cbranch_execz .LBB7_535
; %bb.328:
	v_bfe_u32 v3, v2, 21, 1
	s_mov_b32 s24, exec_lo
	v_add3_u32 v3, v2, v3, 0x88fffff
	v_lshrrev_b32_e32 v3, 21, v3
	s_andn2_saveexec_b32 s25, s25
	s_cbranch_execnz .LBB7_536
.LBB7_329:
	s_or_b32 exec_lo, exec_lo, s25
	v_mov_b32_e32 v6, 0
	s_and_saveexec_b32 s25, s24
.LBB7_330:
	v_lshrrev_b32_e32 v2, 24, v2
	v_and_or_b32 v6, 0x80, v2, v3
.LBB7_331:
	s_or_b32 exec_lo, exec_lo, s25
.LBB7_332:
	s_or_b32 exec_lo, exec_lo, s23
	s_mov_b32 s23, 0
	global_store_byte v[4:5], v6, off
.LBB7_333:
	s_and_b32 vcc_lo, exec_lo, s23
	s_cbranch_vccz .LBB7_343
; %bb.334:
	v_cvt_f32_f64_e32 v2, v[0:1]
	s_mov_b32 s23, exec_lo
                                        ; implicit-def: $vgpr3
	v_and_b32_e32 v6, 0x7fffffff, v2
	v_cmpx_gt_u32_e32 0x43f00000, v6
	s_xor_b32 s23, exec_lo, s23
	s_cbranch_execz .LBB7_340
; %bb.335:
	s_mov_b32 s24, exec_lo
                                        ; implicit-def: $vgpr3
	v_cmpx_lt_u32_e32 0x3c7fffff, v6
	s_xor_b32 s24, exec_lo, s24
; %bb.336:
	v_bfe_u32 v3, v2, 20, 1
	v_add3_u32 v3, v2, v3, 0x407ffff
	v_and_b32_e32 v6, 0xff00000, v3
	v_lshrrev_b32_e32 v3, 20, v3
	v_cmp_ne_u32_e32 vcc_lo, 0x7f00000, v6
	v_cndmask_b32_e32 v3, 0x7e, v3, vcc_lo
; %bb.337:
	s_andn2_saveexec_b32 s24, s24
; %bb.338:
	v_add_f32_e64 v3, 0x46800000, |v2|
; %bb.339:
	s_or_b32 exec_lo, exec_lo, s24
                                        ; implicit-def: $vgpr6
.LBB7_340:
	s_andn2_saveexec_b32 s23, s23
; %bb.341:
	v_mov_b32_e32 v3, 0x7f
	v_cmp_lt_u32_e32 vcc_lo, 0x7f800000, v6
	v_cndmask_b32_e32 v3, 0x7e, v3, vcc_lo
; %bb.342:
	s_or_b32 exec_lo, exec_lo, s23
	v_lshrrev_b32_e32 v2, 24, v2
	v_and_or_b32 v2, 0x80, v2, v3
	global_store_byte v[4:5], v2, off
.LBB7_343:
	s_mov_b32 s23, 0
.LBB7_344:
	s_andn2_b32 vcc_lo, exec_lo, s23
	s_cbranch_vccnz .LBB7_354
; %bb.345:
	v_cvt_f32_f64_e32 v2, v[0:1]
	s_mov_b32 s23, exec_lo
                                        ; implicit-def: $vgpr3
	v_and_b32_e32 v6, 0x7fffffff, v2
	v_cmpx_gt_u32_e32 0x47800000, v6
	s_xor_b32 s23, exec_lo, s23
	s_cbranch_execz .LBB7_351
; %bb.346:
	s_mov_b32 s24, exec_lo
                                        ; implicit-def: $vgpr3
	v_cmpx_lt_u32_e32 0x387fffff, v6
	s_xor_b32 s24, exec_lo, s24
; %bb.347:
	v_bfe_u32 v3, v2, 21, 1
	v_add3_u32 v3, v2, v3, 0x80fffff
	v_lshrrev_b32_e32 v3, 21, v3
; %bb.348:
	s_andn2_saveexec_b32 s24, s24
; %bb.349:
	v_add_f32_e64 v3, 0x43000000, |v2|
; %bb.350:
	s_or_b32 exec_lo, exec_lo, s24
                                        ; implicit-def: $vgpr6
.LBB7_351:
	s_andn2_saveexec_b32 s23, s23
; %bb.352:
	v_mov_b32_e32 v3, 0x7f
	v_cmp_lt_u32_e32 vcc_lo, 0x7f800000, v6
	v_cndmask_b32_e32 v3, 0x7c, v3, vcc_lo
; %bb.353:
	s_or_b32 exec_lo, exec_lo, s23
	v_lshrrev_b32_e32 v2, 24, v2
	v_and_or_b32 v2, 0x80, v2, v3
	global_store_byte v[4:5], v2, off
.LBB7_354:
	s_mov_b32 s24, 0
	s_mov_b32 s23, -1
.LBB7_355:
	s_andn2_b32 vcc_lo, exec_lo, s24
	s_cbranch_vccnz .LBB7_363
; %bb.356:
	s_cmp_gt_i32 s22, 14
	s_mov_b32 s24, -1
	s_cbranch_scc0 .LBB7_360
; %bb.357:
	s_cmp_eq_u32 s22, 15
	s_mov_b32 s0, -1
	s_cbranch_scc0 .LBB7_359
; %bb.358:
	v_cvt_f32_f64_e32 v2, v[0:1]
	s_mov_b32 s23, -1
	s_mov_b32 s0, 0
	v_bfe_u32 v3, v2, 16, 1
	v_cmp_o_f32_e32 vcc_lo, v2, v2
	v_add3_u32 v2, v2, v3, 0x7fff
	v_mov_b32_e32 v3, 0x7fc0
	v_cndmask_b32_sdwa v2, v3, v2, vcc_lo dst_sel:DWORD dst_unused:UNUSED_PAD src0_sel:DWORD src1_sel:WORD_1
	global_store_short v[4:5], v2, off
.LBB7_359:
	s_mov_b32 s24, 0
.LBB7_360:
	s_and_b32 vcc_lo, exec_lo, s24
	s_cbranch_vccz .LBB7_363
; %bb.361:
	s_cmp_eq_u32 s22, 11
	s_mov_b32 s0, -1
	s_cbranch_scc0 .LBB7_363
; %bb.362:
	v_cmp_neq_f64_e32 vcc_lo, 0, v[0:1]
	s_mov_b32 s23, -1
	s_mov_b32 s0, 0
	v_cndmask_b32_e64 v2, 0, 1, vcc_lo
	global_store_byte v[4:5], v2, off
.LBB7_363:
	s_mov_b32 s22, 0
.LBB7_364:
	s_and_b32 vcc_lo, exec_lo, s22
	s_cbranch_vccz .LBB7_403
; %bb.365:
	s_and_b32 s20, 0xffff, s20
	s_mov_b32 s22, -1
	s_cmp_lt_i32 s20, 5
	s_cbranch_scc1 .LBB7_386
; %bb.366:
	s_cmp_lt_i32 s20, 8
	s_cbranch_scc1 .LBB7_376
; %bb.367:
	;; [unrolled: 3-line block ×3, first 2 shown]
	s_cmp_gt_i32 s20, 9
	s_cbranch_scc0 .LBB7_370
; %bb.369:
	v_mov_b32_e32 v2, 0
	s_mov_b32 s22, 0
	v_mov_b32_e32 v3, v2
	global_store_dwordx4 v[4:5], v[0:3], off
.LBB7_370:
	s_andn2_b32 vcc_lo, exec_lo, s22
	s_cbranch_vccnz .LBB7_372
; %bb.371:
	v_cvt_f32_f64_e32 v2, v[0:1]
	v_mov_b32_e32 v3, 0
	global_store_dwordx2 v[4:5], v[2:3], off
.LBB7_372:
	s_mov_b32 s22, 0
.LBB7_373:
	s_andn2_b32 vcc_lo, exec_lo, s22
	s_cbranch_vccnz .LBB7_375
; %bb.374:
	v_and_or_b32 v2, 0x1ff, v1, v0
	v_lshrrev_b32_e32 v3, 8, v1
	v_bfe_u32 v6, v1, 20, 11
	v_cmp_ne_u32_e32 vcc_lo, 0, v2
	v_sub_nc_u32_e32 v7, 0x3f1, v6
	v_add_nc_u32_e32 v6, 0xfffffc10, v6
	v_cndmask_b32_e64 v2, 0, 1, vcc_lo
	v_and_or_b32 v2, 0xffe, v3, v2
	v_med3_i32 v3, v7, 0, 13
	v_or_b32_e32 v7, 0x1000, v2
	v_lshrrev_b32_e32 v8, v3, v7
	v_lshlrev_b32_e32 v3, v3, v8
	v_cmp_ne_u32_e32 vcc_lo, v3, v7
	v_lshl_or_b32 v7, v6, 12, v2
	v_cndmask_b32_e64 v3, 0, 1, vcc_lo
	v_cmp_gt_i32_e32 vcc_lo, 1, v6
	v_or_b32_e32 v3, v8, v3
	v_cndmask_b32_e32 v3, v7, v3, vcc_lo
	v_and_b32_e32 v7, 7, v3
	v_lshrrev_b32_e32 v3, 2, v3
	v_cmp_lt_i32_e32 vcc_lo, 5, v7
	v_cndmask_b32_e64 v8, 0, 1, vcc_lo
	v_cmp_eq_u32_e32 vcc_lo, 3, v7
	v_cndmask_b32_e64 v7, 0, 1, vcc_lo
	v_cmp_ne_u32_e32 vcc_lo, 0, v2
	v_or_b32_e32 v7, v7, v8
	v_mov_b32_e32 v8, 0x7e00
	v_add_nc_u32_e32 v3, v3, v7
	v_cndmask_b32_e32 v2, 0x7c00, v8, vcc_lo
	v_cmp_gt_i32_e32 vcc_lo, 31, v6
	v_cndmask_b32_e32 v3, 0x7c00, v3, vcc_lo
	v_cmp_eq_u32_e32 vcc_lo, 0x40f, v6
	v_cndmask_b32_e32 v2, v3, v2, vcc_lo
	v_lshrrev_b32_e32 v3, 16, v1
	v_and_or_b32 v2, 0x8000, v3, v2
	v_and_b32_e32 v2, 0xffff, v2
	global_store_dword v[4:5], v2, off
.LBB7_375:
	s_mov_b32 s22, 0
.LBB7_376:
	s_andn2_b32 vcc_lo, exec_lo, s22
	s_cbranch_vccnz .LBB7_385
; %bb.377:
	s_cmp_lt_i32 s20, 6
	s_mov_b32 s22, -1
	s_cbranch_scc1 .LBB7_383
; %bb.378:
	s_cmp_gt_i32 s20, 6
	s_cbranch_scc0 .LBB7_380
; %bb.379:
	s_mov_b32 s22, 0
	global_store_dwordx2 v[4:5], v[0:1], off
.LBB7_380:
	s_andn2_b32 vcc_lo, exec_lo, s22
	s_cbranch_vccnz .LBB7_382
; %bb.381:
	v_cvt_f32_f64_e32 v2, v[0:1]
	global_store_dword v[4:5], v2, off
.LBB7_382:
	s_mov_b32 s22, 0
.LBB7_383:
	s_andn2_b32 vcc_lo, exec_lo, s22
	s_cbranch_vccnz .LBB7_385
; %bb.384:
	v_and_or_b32 v2, 0x1ff, v1, v0
	v_lshrrev_b32_e32 v3, 8, v1
	v_bfe_u32 v6, v1, 20, 11
	v_cmp_ne_u32_e32 vcc_lo, 0, v2
	v_sub_nc_u32_e32 v7, 0x3f1, v6
	v_add_nc_u32_e32 v6, 0xfffffc10, v6
	v_cndmask_b32_e64 v2, 0, 1, vcc_lo
	v_and_or_b32 v2, 0xffe, v3, v2
	v_med3_i32 v3, v7, 0, 13
	v_or_b32_e32 v7, 0x1000, v2
	v_lshrrev_b32_e32 v8, v3, v7
	v_lshlrev_b32_e32 v3, v3, v8
	v_cmp_ne_u32_e32 vcc_lo, v3, v7
	v_lshl_or_b32 v7, v6, 12, v2
	v_cndmask_b32_e64 v3, 0, 1, vcc_lo
	v_cmp_gt_i32_e32 vcc_lo, 1, v6
	v_or_b32_e32 v3, v8, v3
	v_cndmask_b32_e32 v3, v7, v3, vcc_lo
	v_and_b32_e32 v7, 7, v3
	v_lshrrev_b32_e32 v3, 2, v3
	v_cmp_lt_i32_e32 vcc_lo, 5, v7
	v_cndmask_b32_e64 v8, 0, 1, vcc_lo
	v_cmp_eq_u32_e32 vcc_lo, 3, v7
	v_cndmask_b32_e64 v7, 0, 1, vcc_lo
	v_cmp_ne_u32_e32 vcc_lo, 0, v2
	v_or_b32_e32 v7, v7, v8
	v_mov_b32_e32 v8, 0x7e00
	v_add_nc_u32_e32 v3, v3, v7
	v_cndmask_b32_e32 v2, 0x7c00, v8, vcc_lo
	v_cmp_gt_i32_e32 vcc_lo, 31, v6
	v_cndmask_b32_e32 v3, 0x7c00, v3, vcc_lo
	v_cmp_eq_u32_e32 vcc_lo, 0x40f, v6
	v_cndmask_b32_e32 v2, v3, v2, vcc_lo
	v_lshrrev_b32_e32 v3, 16, v1
	v_and_or_b32 v2, 0x8000, v3, v2
	global_store_short v[4:5], v2, off
.LBB7_385:
	s_mov_b32 s22, 0
.LBB7_386:
	s_andn2_b32 vcc_lo, exec_lo, s22
	s_cbranch_vccnz .LBB7_402
; %bb.387:
	s_cmp_lt_i32 s20, 2
	s_mov_b32 s22, -1
	s_cbranch_scc1 .LBB7_397
; %bb.388:
	s_cmp_lt_i32 s20, 3
	s_cbranch_scc1 .LBB7_394
; %bb.389:
	s_cmp_gt_i32 s20, 3
	s_cbranch_scc0 .LBB7_391
; %bb.390:
	v_trunc_f64_e32 v[2:3], v[0:1]
	s_mov_b32 s22, 0
	v_ldexp_f64 v[6:7], v[2:3], 0xffffffe0
	v_floor_f64_e32 v[6:7], v[6:7]
	v_fma_f64 v[2:3], 0xc1f00000, v[6:7], v[2:3]
	v_cvt_i32_f64_e32 v7, v[6:7]
	v_cvt_u32_f64_e32 v6, v[2:3]
	global_store_dwordx2 v[4:5], v[6:7], off
.LBB7_391:
	s_andn2_b32 vcc_lo, exec_lo, s22
	s_cbranch_vccnz .LBB7_393
; %bb.392:
	v_cvt_i32_f64_e32 v2, v[0:1]
	global_store_dword v[4:5], v2, off
.LBB7_393:
	s_mov_b32 s22, 0
.LBB7_394:
	s_andn2_b32 vcc_lo, exec_lo, s22
	s_cbranch_vccnz .LBB7_396
; %bb.395:
	v_cvt_i32_f64_e32 v2, v[0:1]
	global_store_short v[4:5], v2, off
.LBB7_396:
	s_mov_b32 s22, 0
.LBB7_397:
	s_andn2_b32 vcc_lo, exec_lo, s22
	s_cbranch_vccnz .LBB7_402
; %bb.398:
	s_cmp_gt_i32 s20, 0
	s_mov_b32 s20, -1
	s_cbranch_scc0 .LBB7_400
; %bb.399:
	v_cvt_i32_f64_e32 v2, v[0:1]
	s_mov_b32 s20, 0
	global_store_byte v[4:5], v2, off
.LBB7_400:
	s_andn2_b32 vcc_lo, exec_lo, s20
	s_cbranch_vccnz .LBB7_402
; %bb.401:
	v_trunc_f64_e32 v[0:1], v[0:1]
	v_ldexp_f64 v[2:3], v[0:1], 0xffffffe0
	v_floor_f64_e32 v[2:3], v[2:3]
	v_fma_f64 v[0:1], 0xc1f00000, v[2:3], v[0:1]
	v_cvt_u32_f64_e32 v0, v[0:1]
	global_store_byte v[4:5], v0, off
.LBB7_402:
	s_mov_b32 s23, -1
.LBB7_403:
	s_andn2_b32 vcc_lo, exec_lo, s23
	s_cbranch_vccnz .LBB7_405
; %bb.404:
	v_add_nc_u32_e32 v16, 0x80, v16
	s_mov_b32 s22, -1
	s_branch .LBB7_518
.LBB7_405:
	s_mov_b32 s22, 0
	s_branch .LBB7_517
.LBB7_406:
	s_mov_b32 s19, -1
                                        ; implicit-def: $vgpr2_vgpr3
.LBB7_407:
	s_mov_b32 s22, 0
.LBB7_408:
	s_and_b32 vcc_lo, exec_lo, s22
	s_cbranch_vccz .LBB7_412
; %bb.409:
	s_cmp_eq_u32 s0, 29
	s_cbranch_scc0 .LBB7_411
; %bb.410:
	global_load_dwordx2 v[2:3], v[0:1], off
	s_mov_b32 s20, -1
	s_mov_b32 s19, 0
	s_mov_b32 s22, 0
	s_waitcnt vmcnt(0)
	v_cvt_f64_u32_e32 v[3:4], v3
	v_cvt_f64_u32_e32 v[5:6], v2
	v_ldexp_f64 v[3:4], v[3:4], 32
	v_add_f64 v[2:3], v[3:4], v[5:6]
	s_branch .LBB7_413
.LBB7_411:
	s_mov_b32 s19, -1
                                        ; implicit-def: $vgpr2_vgpr3
.LBB7_412:
	s_mov_b32 s22, 0
.LBB7_413:
	s_and_b32 vcc_lo, exec_lo, s22
	s_cbranch_vccz .LBB7_433
; %bb.414:
	s_cmp_lt_i32 s0, 27
	s_cbranch_scc1 .LBB7_417
; %bb.415:
	s_cmp_gt_i32 s0, 27
	s_cbranch_scc0 .LBB7_418
; %bb.416:
	global_load_dword v2, v[0:1], off
	s_mov_b32 s20, 0
	s_waitcnt vmcnt(0)
	v_cvt_f64_u32_e32 v[2:3], v2
	s_branch .LBB7_419
.LBB7_417:
	s_mov_b32 s20, -1
                                        ; implicit-def: $vgpr2_vgpr3
	s_branch .LBB7_422
.LBB7_418:
	s_mov_b32 s20, -1
                                        ; implicit-def: $vgpr2_vgpr3
.LBB7_419:
	s_andn2_b32 vcc_lo, exec_lo, s20
	s_cbranch_vccnz .LBB7_421
; %bb.420:
	global_load_ushort v2, v[0:1], off
	s_waitcnt vmcnt(0)
	v_cvt_f64_u32_e32 v[2:3], v2
.LBB7_421:
	s_mov_b32 s20, 0
.LBB7_422:
	s_andn2_b32 vcc_lo, exec_lo, s20
	s_cbranch_vccnz .LBB7_432
; %bb.423:
	global_load_ubyte v4, v[0:1], off
	s_mov_b32 s20, 0
	s_mov_b32 s22, exec_lo
	s_waitcnt vmcnt(0)
	v_cmpx_lt_i16_e32 0x7f, v4
	s_xor_b32 s22, exec_lo, s22
	s_cbranch_execz .LBB7_427
; %bb.424:
	s_mov_b32 s20, -1
	s_mov_b32 s23, exec_lo
	v_cmpx_eq_u16_e32 0x80, v4
; %bb.425:
	s_xor_b32 s20, exec_lo, -1
; %bb.426:
	s_or_b32 exec_lo, exec_lo, s23
	s_and_b32 s20, s20, exec_lo
.LBB7_427:
	s_or_saveexec_b32 s22, s22
	v_bfrev_b32_e32 v2, 4
	v_mov_b32_e32 v3, 0x7ff80000
	s_xor_b32 exec_lo, exec_lo, s22
; %bb.428:
	v_cmp_ne_u16_e32 vcc_lo, 0, v4
	v_mov_b32_e32 v2, 0
	v_mov_b32_e32 v3, 0
	s_andn2_b32 s20, s20, exec_lo
	s_and_b32 s23, vcc_lo, exec_lo
	s_or_b32 s20, s20, s23
; %bb.429:
	s_or_b32 exec_lo, exec_lo, s22
	s_and_saveexec_b32 s22, s20
	s_cbranch_execz .LBB7_431
; %bb.430:
	v_and_b32_e32 v2, 0xffff, v4
	v_lshlrev_b32_e32 v4, 24, v4
	v_and_b32_e32 v3, 7, v2
	v_bfe_u32 v7, v2, 3, 4
	v_ffbh_u32_e32 v5, v3
	v_cmp_eq_u32_e32 vcc_lo, 0, v7
	v_min_u32_e32 v5, 32, v5
	v_subrev_nc_u32_e32 v6, 28, v5
	v_sub_nc_u32_e32 v5, 29, v5
	v_lshlrev_b32_e32 v2, v6, v2
	v_cndmask_b32_e32 v5, v7, v5, vcc_lo
	v_and_b32_e32 v2, 7, v2
	v_cndmask_b32_e32 v2, v3, v2, vcc_lo
	v_and_b32_e32 v3, 0x80000000, v4
	v_lshl_add_u32 v4, v5, 23, 0x3b800000
	v_lshlrev_b32_e32 v2, 20, v2
	v_or3_b32 v2, v3, v4, v2
	v_cvt_f64_f32_e32 v[2:3], v2
.LBB7_431:
	s_or_b32 exec_lo, exec_lo, s22
.LBB7_432:
	s_mov_b32 s20, -1
.LBB7_433:
	s_mov_b32 s22, 0
.LBB7_434:
	s_and_b32 vcc_lo, exec_lo, s22
	s_cbranch_vccz .LBB7_467
; %bb.435:
	s_cmp_gt_i32 s0, 22
	s_cbranch_scc0 .LBB7_447
; %bb.436:
	s_cmp_lt_i32 s0, 24
	s_cbranch_scc1 .LBB7_448
; %bb.437:
	s_cmp_gt_i32 s0, 24
	s_cbranch_scc0 .LBB7_449
; %bb.438:
	global_load_ubyte v4, v[0:1], off
	s_mov_b32 s20, 0
	s_mov_b32 s22, exec_lo
	s_waitcnt vmcnt(0)
	v_cmpx_lt_i16_e32 0x7f, v4
	s_xor_b32 s22, exec_lo, s22
	s_cbranch_execz .LBB7_442
; %bb.439:
	s_mov_b32 s20, -1
	s_mov_b32 s23, exec_lo
	v_cmpx_eq_u16_e32 0x80, v4
; %bb.440:
	s_xor_b32 s20, exec_lo, -1
; %bb.441:
	s_or_b32 exec_lo, exec_lo, s23
	s_and_b32 s20, s20, exec_lo
.LBB7_442:
	s_or_saveexec_b32 s22, s22
	v_bfrev_b32_e32 v2, 4
	v_mov_b32_e32 v3, 0x7ff80000
	s_xor_b32 exec_lo, exec_lo, s22
; %bb.443:
	v_cmp_ne_u16_e32 vcc_lo, 0, v4
	v_mov_b32_e32 v2, 0
	v_mov_b32_e32 v3, 0
	s_andn2_b32 s20, s20, exec_lo
	s_and_b32 s23, vcc_lo, exec_lo
	s_or_b32 s20, s20, s23
; %bb.444:
	s_or_b32 exec_lo, exec_lo, s22
	s_and_saveexec_b32 s22, s20
	s_cbranch_execz .LBB7_446
; %bb.445:
	v_and_b32_e32 v2, 0xffff, v4
	v_lshlrev_b32_e32 v4, 24, v4
	v_and_b32_e32 v3, 3, v2
	v_bfe_u32 v7, v2, 2, 5
	v_ffbh_u32_e32 v5, v3
	v_cmp_eq_u32_e32 vcc_lo, 0, v7
	v_min_u32_e32 v5, 32, v5
	v_subrev_nc_u32_e32 v6, 29, v5
	v_sub_nc_u32_e32 v5, 30, v5
	v_lshlrev_b32_e32 v2, v6, v2
	v_cndmask_b32_e32 v5, v7, v5, vcc_lo
	v_and_b32_e32 v2, 3, v2
	v_cndmask_b32_e32 v2, v3, v2, vcc_lo
	v_and_b32_e32 v3, 0x80000000, v4
	v_lshl_add_u32 v4, v5, 23, 0x37800000
	v_lshlrev_b32_e32 v2, 21, v2
	v_or3_b32 v2, v3, v4, v2
	v_cvt_f64_f32_e32 v[2:3], v2
.LBB7_446:
	s_or_b32 exec_lo, exec_lo, s22
	s_mov_b32 s20, 0
	s_branch .LBB7_450
.LBB7_447:
	s_mov_b32 s22, -1
                                        ; implicit-def: $vgpr2_vgpr3
	s_branch .LBB7_456
.LBB7_448:
	s_mov_b32 s20, -1
                                        ; implicit-def: $vgpr2_vgpr3
	s_branch .LBB7_453
.LBB7_449:
	s_mov_b32 s20, -1
                                        ; implicit-def: $vgpr2_vgpr3
.LBB7_450:
	s_and_b32 vcc_lo, exec_lo, s20
	s_cbranch_vccz .LBB7_452
; %bb.451:
	global_load_ubyte v2, v[0:1], off
	s_waitcnt vmcnt(0)
	v_lshlrev_b32_e32 v2, 24, v2
	v_and_b32_e32 v3, 0x7f000000, v2
	v_ffbh_u32_e32 v4, v3
	v_add_nc_u32_e32 v6, 0x1000000, v3
	v_cmp_ne_u32_e32 vcc_lo, 0, v3
	v_min_u32_e32 v4, 32, v4
	v_sub_nc_u32_e64 v4, v4, 4 clamp
	v_lshlrev_b32_e32 v5, v4, v3
	v_lshlrev_b32_e32 v4, 23, v4
	v_lshrrev_b32_e32 v5, 4, v5
	v_sub_nc_u32_e32 v4, v5, v4
	v_ashrrev_i32_e32 v5, 8, v6
	v_add_nc_u32_e32 v4, 0x3c000000, v4
	v_and_or_b32 v4, 0x7f800000, v5, v4
	v_cndmask_b32_e32 v3, 0, v4, vcc_lo
	v_and_or_b32 v2, 0x80000000, v2, v3
	v_cvt_f64_f32_e32 v[2:3], v2
.LBB7_452:
	s_mov_b32 s20, 0
.LBB7_453:
	s_andn2_b32 vcc_lo, exec_lo, s20
	s_cbranch_vccnz .LBB7_455
; %bb.454:
	global_load_ubyte v2, v[0:1], off
	s_waitcnt vmcnt(0)
	v_lshlrev_b32_e32 v3, 25, v2
	v_lshlrev_b16 v2, 8, v2
	v_lshrrev_b32_e32 v4, 4, v3
	v_and_or_b32 v5, 0x7f00, v2, 0.5
	v_cmp_gt_u32_e32 vcc_lo, 0x8000000, v3
	v_bfe_i32 v2, v2, 0, 16
	v_or_b32_e32 v4, 0x70000000, v4
	v_add_f32_e32 v5, -0.5, v5
	v_mul_f32_e32 v4, 0x7800000, v4
	v_cndmask_b32_e32 v3, v4, v5, vcc_lo
	v_and_or_b32 v2, 0x80000000, v2, v3
	v_cvt_f64_f32_e32 v[2:3], v2
.LBB7_455:
	s_mov_b32 s22, 0
	s_mov_b32 s20, -1
.LBB7_456:
	s_andn2_b32 vcc_lo, exec_lo, s22
	s_cbranch_vccnz .LBB7_467
; %bb.457:
	s_cmp_gt_i32 s0, 14
	s_cbranch_scc0 .LBB7_460
; %bb.458:
	s_cmp_eq_u32 s0, 15
	s_cbranch_scc0 .LBB7_461
; %bb.459:
	global_load_ushort v2, v[0:1], off
	s_mov_b32 s20, -1
	s_mov_b32 s19, 0
	s_waitcnt vmcnt(0)
	v_lshlrev_b32_e32 v2, 16, v2
	v_cvt_f64_f32_e32 v[2:3], v2
	s_branch .LBB7_462
.LBB7_460:
	s_mov_b32 s22, -1
                                        ; implicit-def: $vgpr2_vgpr3
	s_branch .LBB7_463
.LBB7_461:
	s_mov_b32 s19, -1
                                        ; implicit-def: $vgpr2_vgpr3
.LBB7_462:
	s_mov_b32 s22, 0
.LBB7_463:
	s_and_b32 vcc_lo, exec_lo, s22
	s_cbranch_vccz .LBB7_467
; %bb.464:
	s_cmp_eq_u32 s0, 11
	s_cbranch_scc0 .LBB7_466
; %bb.465:
	global_load_ubyte v2, v[0:1], off
	s_mov_b32 s19, 0
	s_mov_b32 s20, -1
	s_waitcnt vmcnt(0)
	v_cmp_ne_u16_e32 vcc_lo, 0, v2
	v_mov_b32_e32 v2, 0
	v_cndmask_b32_e64 v3, 0, 0x3ff00000, vcc_lo
	s_branch .LBB7_467
.LBB7_466:
	s_mov_b32 s19, -1
                                        ; implicit-def: $vgpr2_vgpr3
.LBB7_467:
	s_branch .LBB7_267
.LBB7_468:
	s_cmp_lt_i32 s0, 5
	s_cbranch_scc1 .LBB7_473
; %bb.469:
	s_cmp_lt_i32 s0, 8
	s_cbranch_scc1 .LBB7_474
; %bb.470:
	;; [unrolled: 3-line block ×3, first 2 shown]
	s_cmp_gt_i32 s0, 9
	s_cbranch_scc0 .LBB7_476
; %bb.472:
	global_load_dwordx2 v[2:3], v[0:1], off
	s_mov_b32 s20, 0
	s_branch .LBB7_477
.LBB7_473:
	s_mov_b32 s20, -1
                                        ; implicit-def: $vgpr2_vgpr3
	s_branch .LBB7_495
.LBB7_474:
	s_mov_b32 s20, -1
                                        ; implicit-def: $vgpr2_vgpr3
	s_branch .LBB7_483
.LBB7_475:
	s_mov_b32 s20, -1
                                        ; implicit-def: $vgpr2_vgpr3
	s_branch .LBB7_480
.LBB7_476:
	s_mov_b32 s20, -1
                                        ; implicit-def: $vgpr2_vgpr3
.LBB7_477:
	s_andn2_b32 vcc_lo, exec_lo, s20
	s_cbranch_vccnz .LBB7_479
; %bb.478:
	global_load_dword v2, v[0:1], off
	s_waitcnt vmcnt(0)
	v_cvt_f64_f32_e32 v[2:3], v2
.LBB7_479:
	s_mov_b32 s20, 0
.LBB7_480:
	s_andn2_b32 vcc_lo, exec_lo, s20
	s_cbranch_vccnz .LBB7_482
; %bb.481:
	global_load_dword v2, v[0:1], off
	s_waitcnt vmcnt(0)
	v_cvt_f32_f16_e32 v2, v2
	v_cvt_f64_f32_e32 v[2:3], v2
.LBB7_482:
	s_mov_b32 s20, 0
.LBB7_483:
	s_andn2_b32 vcc_lo, exec_lo, s20
	s_cbranch_vccnz .LBB7_494
; %bb.484:
	s_cmp_lt_i32 s0, 6
	s_cbranch_scc1 .LBB7_487
; %bb.485:
	s_cmp_gt_i32 s0, 6
	s_cbranch_scc0 .LBB7_488
; %bb.486:
	global_load_dwordx2 v[2:3], v[0:1], off
	s_mov_b32 s20, 0
	s_branch .LBB7_489
.LBB7_487:
	s_mov_b32 s20, -1
                                        ; implicit-def: $vgpr2_vgpr3
	s_branch .LBB7_492
.LBB7_488:
	s_mov_b32 s20, -1
                                        ; implicit-def: $vgpr2_vgpr3
.LBB7_489:
	s_andn2_b32 vcc_lo, exec_lo, s20
	s_cbranch_vccnz .LBB7_491
; %bb.490:
	global_load_dword v2, v[0:1], off
	s_waitcnt vmcnt(0)
	v_cvt_f64_f32_e32 v[2:3], v2
.LBB7_491:
	s_mov_b32 s20, 0
.LBB7_492:
	s_andn2_b32 vcc_lo, exec_lo, s20
	s_cbranch_vccnz .LBB7_494
; %bb.493:
	global_load_ushort v2, v[0:1], off
	s_waitcnt vmcnt(0)
	v_cvt_f32_f16_e32 v2, v2
	v_cvt_f64_f32_e32 v[2:3], v2
.LBB7_494:
	s_mov_b32 s20, 0
.LBB7_495:
	s_andn2_b32 vcc_lo, exec_lo, s20
	s_cbranch_vccnz .LBB7_515
; %bb.496:
	s_cmp_lt_i32 s0, 2
	s_cbranch_scc1 .LBB7_500
; %bb.497:
	s_cmp_lt_i32 s0, 3
	s_cbranch_scc1 .LBB7_501
; %bb.498:
	s_cmp_gt_i32 s0, 3
	s_cbranch_scc0 .LBB7_502
; %bb.499:
	global_load_dwordx2 v[2:3], v[0:1], off
	s_mov_b32 s20, 0
	s_waitcnt vmcnt(0)
	v_cvt_f64_i32_e32 v[3:4], v3
	v_cvt_f64_u32_e32 v[5:6], v2
	v_ldexp_f64 v[3:4], v[3:4], 32
	v_add_f64 v[2:3], v[3:4], v[5:6]
	s_branch .LBB7_503
.LBB7_500:
	s_mov_b32 s20, -1
                                        ; implicit-def: $vgpr2_vgpr3
	s_branch .LBB7_509
.LBB7_501:
	s_mov_b32 s20, -1
                                        ; implicit-def: $vgpr2_vgpr3
	s_branch .LBB7_506
.LBB7_502:
	s_mov_b32 s20, -1
                                        ; implicit-def: $vgpr2_vgpr3
.LBB7_503:
	s_andn2_b32 vcc_lo, exec_lo, s20
	s_cbranch_vccnz .LBB7_505
; %bb.504:
	global_load_dword v2, v[0:1], off
	s_waitcnt vmcnt(0)
	v_cvt_f64_i32_e32 v[2:3], v2
.LBB7_505:
	s_mov_b32 s20, 0
.LBB7_506:
	s_andn2_b32 vcc_lo, exec_lo, s20
	s_cbranch_vccnz .LBB7_508
; %bb.507:
	global_load_sshort v2, v[0:1], off
	s_waitcnt vmcnt(0)
	v_cvt_f64_i32_e32 v[2:3], v2
.LBB7_508:
	s_mov_b32 s20, 0
.LBB7_509:
	s_andn2_b32 vcc_lo, exec_lo, s20
	s_cbranch_vccnz .LBB7_515
; %bb.510:
	s_cmp_gt_i32 s0, 0
	s_mov_b32 s0, 0
	s_cbranch_scc0 .LBB7_512
; %bb.511:
	global_load_sbyte v2, v[0:1], off
	s_waitcnt vmcnt(0)
	v_cvt_f64_i32_e32 v[2:3], v2
	s_branch .LBB7_513
.LBB7_512:
	s_mov_b32 s0, -1
                                        ; implicit-def: $vgpr2_vgpr3
.LBB7_513:
	s_andn2_b32 vcc_lo, exec_lo, s0
	s_cbranch_vccnz .LBB7_515
; %bb.514:
	global_load_ubyte v0, v[0:1], off
	s_waitcnt vmcnt(0)
	v_cvt_f64_u32_e32 v[2:3], v0
.LBB7_515:
	s_branch .LBB7_268
.LBB7_516:
	s_mov_b32 s22, 0
	s_mov_b32 s0, s7
.LBB7_517:
                                        ; implicit-def: $vgpr16
.LBB7_518:
	s_andn2_b32 s20, s7, exec_lo
	s_and_b32 s0, s0, exec_lo
	s_andn2_b32 s23, s17, exec_lo
	s_and_b32 s19, s19, exec_lo
	s_or_b32 s20, s20, s0
	s_or_b32 s19, s23, s19
	s_orn2_b32 s0, s22, exec_lo
.LBB7_519:
	s_or_b32 exec_lo, exec_lo, s21
	s_mov_b32 s22, 0
	s_mov_b32 s23, 0
	s_mov_b32 s24, 0
                                        ; implicit-def: $vgpr0_vgpr1
                                        ; implicit-def: $vgpr2_vgpr3
	s_and_saveexec_b32 s21, s0
	s_cbranch_execz .LBB7_868
; %bb.520:
	s_mov_b32 s24, -1
	s_mov_b32 s0, s19
	s_mov_b32 s23, s20
	s_mov_b32 s22, exec_lo
	v_cmpx_gt_i32_e64 s16, v16
	s_cbranch_execz .LBB7_782
; %bb.521:
	v_mul_lo_u32 v0, v16, s3
	s_and_b32 s0, 0xffff, s5
	s_cmp_lt_i32 s0, 11
	v_ashrrev_i32_e32 v1, 31, v0
	v_add_co_u32 v0, vcc_lo, s10, v0
	v_add_co_ci_u32_e64 v1, null, s11, v1, vcc_lo
	s_cbranch_scc1 .LBB7_528
; %bb.522:
	s_cmp_gt_i32 s0, 25
	s_cbranch_scc0 .LBB7_529
; %bb.523:
	s_cmp_gt_i32 s0, 28
	s_cbranch_scc0 .LBB7_530
	;; [unrolled: 3-line block ×4, first 2 shown]
; %bb.526:
	s_cmp_eq_u32 s0, 46
	s_mov_b32 s25, 0
	s_cbranch_scc0 .LBB7_537
; %bb.527:
	global_load_dword v2, v[0:1], off
	s_mov_b32 s23, 0
	s_waitcnt vmcnt(0)
	v_lshlrev_b32_e32 v2, 16, v2
	v_cvt_f64_f32_e32 v[2:3], v2
	s_branch .LBB7_539
.LBB7_528:
	s_mov_b32 s25, -1
	s_mov_b32 s24, 0
	s_mov_b32 s23, s19
                                        ; implicit-def: $vgpr2_vgpr3
	s_branch .LBB7_604
.LBB7_529:
	s_mov_b32 s25, -1
	s_mov_b32 s24, 0
	s_mov_b32 s23, s19
                                        ; implicit-def: $vgpr2_vgpr3
	s_branch .LBB7_570
.LBB7_530:
	s_mov_b32 s25, -1
	s_mov_b32 s24, 0
	s_mov_b32 s23, s19
                                        ; implicit-def: $vgpr2_vgpr3
	s_branch .LBB7_549
.LBB7_531:
	s_mov_b32 s25, -1
	s_mov_b32 s24, 0
	s_mov_b32 s23, s19
                                        ; implicit-def: $vgpr2_vgpr3
	s_branch .LBB7_544
.LBB7_532:
	s_andn2_saveexec_b32 s25, s25
	s_cbranch_execz .LBB7_316
.LBB7_533:
	v_add_f32_e64 v3, 0x46000000, |v2|
	s_andn2_b32 s24, s24, exec_lo
	v_and_b32_e32 v3, 0xff, v3
	v_cmp_ne_u32_e32 vcc_lo, 0, v3
	s_and_b32 s26, vcc_lo, exec_lo
	s_or_b32 s24, s24, s26
	s_or_b32 exec_lo, exec_lo, s25
	v_mov_b32_e32 v6, 0
	s_and_saveexec_b32 s25, s24
	s_cbranch_execnz .LBB7_317
	s_branch .LBB7_318
.LBB7_534:
	s_mov_b32 s25, -1
	s_mov_b32 s24, 0
	s_mov_b32 s23, s19
	s_branch .LBB7_538
.LBB7_535:
	s_andn2_saveexec_b32 s25, s25
	s_cbranch_execz .LBB7_329
.LBB7_536:
	v_add_f32_e64 v3, 0x42800000, |v2|
	s_andn2_b32 s24, s24, exec_lo
	v_and_b32_e32 v3, 0xff, v3
	v_cmp_ne_u32_e32 vcc_lo, 0, v3
	s_and_b32 s26, vcc_lo, exec_lo
	s_or_b32 s24, s24, s26
	s_or_b32 exec_lo, exec_lo, s25
	v_mov_b32_e32 v6, 0
	s_and_saveexec_b32 s25, s24
	s_cbranch_execnz .LBB7_330
	s_branch .LBB7_331
.LBB7_537:
	s_mov_b32 s23, -1
	s_mov_b32 s24, 0
.LBB7_538:
                                        ; implicit-def: $vgpr2_vgpr3
.LBB7_539:
	s_and_b32 vcc_lo, exec_lo, s25
	s_cbranch_vccz .LBB7_543
; %bb.540:
	s_cmp_eq_u32 s0, 44
	s_cbranch_scc0 .LBB7_542
; %bb.541:
	global_load_ubyte v4, v[0:1], off
	s_mov_b32 s23, 0
	s_mov_b32 s24, -1
	s_waitcnt vmcnt(0)
	v_lshlrev_b32_e32 v2, 23, v4
	v_cmp_ne_u32_e32 vcc_lo, 0xff, v4
	v_cvt_f64_f32_e32 v[2:3], v2
	v_cndmask_b32_e32 v2, 0x20000000, v2, vcc_lo
	v_cndmask_b32_e32 v3, 0x7ff80000, v3, vcc_lo
	v_cmp_ne_u32_e32 vcc_lo, 0, v4
	v_cndmask_b32_e32 v3, 0x38000000, v3, vcc_lo
	v_cndmask_b32_e32 v2, 0, v2, vcc_lo
	s_branch .LBB7_543
.LBB7_542:
	s_mov_b32 s23, -1
                                        ; implicit-def: $vgpr2_vgpr3
.LBB7_543:
	s_mov_b32 s25, 0
.LBB7_544:
	s_and_b32 vcc_lo, exec_lo, s25
	s_cbranch_vccz .LBB7_548
; %bb.545:
	s_cmp_eq_u32 s0, 29
	s_cbranch_scc0 .LBB7_547
; %bb.546:
	global_load_dwordx2 v[2:3], v[0:1], off
	s_mov_b32 s24, -1
	s_mov_b32 s23, 0
	s_mov_b32 s25, 0
	s_waitcnt vmcnt(0)
	v_cvt_f64_u32_e32 v[3:4], v3
	v_cvt_f64_u32_e32 v[5:6], v2
	v_ldexp_f64 v[3:4], v[3:4], 32
	v_add_f64 v[2:3], v[3:4], v[5:6]
	s_branch .LBB7_549
.LBB7_547:
	s_mov_b32 s23, -1
                                        ; implicit-def: $vgpr2_vgpr3
.LBB7_548:
	s_mov_b32 s25, 0
.LBB7_549:
	s_and_b32 vcc_lo, exec_lo, s25
	s_cbranch_vccz .LBB7_569
; %bb.550:
	s_cmp_lt_i32 s0, 27
	s_cbranch_scc1 .LBB7_553
; %bb.551:
	s_cmp_gt_i32 s0, 27
	s_cbranch_scc0 .LBB7_554
; %bb.552:
	global_load_dword v2, v[0:1], off
	s_mov_b32 s24, 0
	s_waitcnt vmcnt(0)
	v_cvt_f64_u32_e32 v[2:3], v2
	s_branch .LBB7_555
.LBB7_553:
	s_mov_b32 s24, -1
                                        ; implicit-def: $vgpr2_vgpr3
	s_branch .LBB7_558
.LBB7_554:
	s_mov_b32 s24, -1
                                        ; implicit-def: $vgpr2_vgpr3
.LBB7_555:
	s_andn2_b32 vcc_lo, exec_lo, s24
	s_cbranch_vccnz .LBB7_557
; %bb.556:
	global_load_ushort v2, v[0:1], off
	s_waitcnt vmcnt(0)
	v_cvt_f64_u32_e32 v[2:3], v2
.LBB7_557:
	s_mov_b32 s24, 0
.LBB7_558:
	s_andn2_b32 vcc_lo, exec_lo, s24
	s_cbranch_vccnz .LBB7_568
; %bb.559:
	global_load_ubyte v4, v[0:1], off
	s_mov_b32 s24, 0
	s_mov_b32 s25, exec_lo
	s_waitcnt vmcnt(0)
	v_cmpx_lt_i16_e32 0x7f, v4
	s_xor_b32 s25, exec_lo, s25
	s_cbranch_execz .LBB7_563
; %bb.560:
	s_mov_b32 s24, -1
	s_mov_b32 s26, exec_lo
	v_cmpx_eq_u16_e32 0x80, v4
; %bb.561:
	s_xor_b32 s24, exec_lo, -1
; %bb.562:
	s_or_b32 exec_lo, exec_lo, s26
	s_and_b32 s24, s24, exec_lo
.LBB7_563:
	s_or_saveexec_b32 s25, s25
	v_bfrev_b32_e32 v2, 4
	v_mov_b32_e32 v3, 0x7ff80000
	s_xor_b32 exec_lo, exec_lo, s25
; %bb.564:
	v_cmp_ne_u16_e32 vcc_lo, 0, v4
	v_mov_b32_e32 v2, 0
	v_mov_b32_e32 v3, 0
	s_andn2_b32 s24, s24, exec_lo
	s_and_b32 s26, vcc_lo, exec_lo
	s_or_b32 s24, s24, s26
; %bb.565:
	s_or_b32 exec_lo, exec_lo, s25
	s_and_saveexec_b32 s25, s24
	s_cbranch_execz .LBB7_567
; %bb.566:
	v_and_b32_e32 v2, 0xffff, v4
	v_lshlrev_b32_e32 v4, 24, v4
	v_and_b32_e32 v3, 7, v2
	v_bfe_u32 v7, v2, 3, 4
	v_ffbh_u32_e32 v5, v3
	v_cmp_eq_u32_e32 vcc_lo, 0, v7
	v_min_u32_e32 v5, 32, v5
	v_subrev_nc_u32_e32 v6, 28, v5
	v_sub_nc_u32_e32 v5, 29, v5
	v_lshlrev_b32_e32 v2, v6, v2
	v_cndmask_b32_e32 v5, v7, v5, vcc_lo
	v_and_b32_e32 v2, 7, v2
	v_cndmask_b32_e32 v2, v3, v2, vcc_lo
	v_and_b32_e32 v3, 0x80000000, v4
	v_lshl_add_u32 v4, v5, 23, 0x3b800000
	v_lshlrev_b32_e32 v2, 20, v2
	v_or3_b32 v2, v3, v4, v2
	v_cvt_f64_f32_e32 v[2:3], v2
.LBB7_567:
	s_or_b32 exec_lo, exec_lo, s25
.LBB7_568:
	s_mov_b32 s24, -1
.LBB7_569:
	s_mov_b32 s25, 0
.LBB7_570:
	s_and_b32 vcc_lo, exec_lo, s25
	s_cbranch_vccz .LBB7_603
; %bb.571:
	s_cmp_gt_i32 s0, 22
	s_cbranch_scc0 .LBB7_583
; %bb.572:
	s_cmp_lt_i32 s0, 24
	s_cbranch_scc1 .LBB7_584
; %bb.573:
	s_cmp_gt_i32 s0, 24
	s_cbranch_scc0 .LBB7_585
; %bb.574:
	global_load_ubyte v4, v[0:1], off
	s_mov_b32 s24, 0
	s_mov_b32 s25, exec_lo
	s_waitcnt vmcnt(0)
	v_cmpx_lt_i16_e32 0x7f, v4
	s_xor_b32 s25, exec_lo, s25
	s_cbranch_execz .LBB7_578
; %bb.575:
	s_mov_b32 s24, -1
	s_mov_b32 s26, exec_lo
	v_cmpx_eq_u16_e32 0x80, v4
; %bb.576:
	s_xor_b32 s24, exec_lo, -1
; %bb.577:
	s_or_b32 exec_lo, exec_lo, s26
	s_and_b32 s24, s24, exec_lo
.LBB7_578:
	s_or_saveexec_b32 s25, s25
	v_bfrev_b32_e32 v2, 4
	v_mov_b32_e32 v3, 0x7ff80000
	s_xor_b32 exec_lo, exec_lo, s25
; %bb.579:
	v_cmp_ne_u16_e32 vcc_lo, 0, v4
	v_mov_b32_e32 v2, 0
	v_mov_b32_e32 v3, 0
	s_andn2_b32 s24, s24, exec_lo
	s_and_b32 s26, vcc_lo, exec_lo
	s_or_b32 s24, s24, s26
; %bb.580:
	s_or_b32 exec_lo, exec_lo, s25
	s_and_saveexec_b32 s25, s24
	s_cbranch_execz .LBB7_582
; %bb.581:
	v_and_b32_e32 v2, 0xffff, v4
	v_lshlrev_b32_e32 v4, 24, v4
	v_and_b32_e32 v3, 3, v2
	v_bfe_u32 v7, v2, 2, 5
	v_ffbh_u32_e32 v5, v3
	v_cmp_eq_u32_e32 vcc_lo, 0, v7
	v_min_u32_e32 v5, 32, v5
	v_subrev_nc_u32_e32 v6, 29, v5
	v_sub_nc_u32_e32 v5, 30, v5
	v_lshlrev_b32_e32 v2, v6, v2
	v_cndmask_b32_e32 v5, v7, v5, vcc_lo
	v_and_b32_e32 v2, 3, v2
	v_cndmask_b32_e32 v2, v3, v2, vcc_lo
	v_and_b32_e32 v3, 0x80000000, v4
	v_lshl_add_u32 v4, v5, 23, 0x37800000
	v_lshlrev_b32_e32 v2, 21, v2
	v_or3_b32 v2, v3, v4, v2
	v_cvt_f64_f32_e32 v[2:3], v2
.LBB7_582:
	s_or_b32 exec_lo, exec_lo, s25
	s_mov_b32 s24, 0
	s_branch .LBB7_586
.LBB7_583:
	s_mov_b32 s25, -1
                                        ; implicit-def: $vgpr2_vgpr3
	s_branch .LBB7_592
.LBB7_584:
	s_mov_b32 s24, -1
                                        ; implicit-def: $vgpr2_vgpr3
	s_branch .LBB7_589
.LBB7_585:
	s_mov_b32 s24, -1
                                        ; implicit-def: $vgpr2_vgpr3
.LBB7_586:
	s_and_b32 vcc_lo, exec_lo, s24
	s_cbranch_vccz .LBB7_588
; %bb.587:
	global_load_ubyte v2, v[0:1], off
	s_waitcnt vmcnt(0)
	v_lshlrev_b32_e32 v2, 24, v2
	v_and_b32_e32 v3, 0x7f000000, v2
	v_ffbh_u32_e32 v4, v3
	v_add_nc_u32_e32 v6, 0x1000000, v3
	v_cmp_ne_u32_e32 vcc_lo, 0, v3
	v_min_u32_e32 v4, 32, v4
	v_sub_nc_u32_e64 v4, v4, 4 clamp
	v_lshlrev_b32_e32 v5, v4, v3
	v_lshlrev_b32_e32 v4, 23, v4
	v_lshrrev_b32_e32 v5, 4, v5
	v_sub_nc_u32_e32 v4, v5, v4
	v_ashrrev_i32_e32 v5, 8, v6
	v_add_nc_u32_e32 v4, 0x3c000000, v4
	v_and_or_b32 v4, 0x7f800000, v5, v4
	v_cndmask_b32_e32 v3, 0, v4, vcc_lo
	v_and_or_b32 v2, 0x80000000, v2, v3
	v_cvt_f64_f32_e32 v[2:3], v2
.LBB7_588:
	s_mov_b32 s24, 0
.LBB7_589:
	s_andn2_b32 vcc_lo, exec_lo, s24
	s_cbranch_vccnz .LBB7_591
; %bb.590:
	global_load_ubyte v2, v[0:1], off
	s_waitcnt vmcnt(0)
	v_lshlrev_b32_e32 v3, 25, v2
	v_lshlrev_b16 v2, 8, v2
	v_lshrrev_b32_e32 v4, 4, v3
	v_and_or_b32 v5, 0x7f00, v2, 0.5
	v_cmp_gt_u32_e32 vcc_lo, 0x8000000, v3
	v_bfe_i32 v2, v2, 0, 16
	v_or_b32_e32 v4, 0x70000000, v4
	v_add_f32_e32 v5, -0.5, v5
	v_mul_f32_e32 v4, 0x7800000, v4
	v_cndmask_b32_e32 v3, v4, v5, vcc_lo
	v_and_or_b32 v2, 0x80000000, v2, v3
	v_cvt_f64_f32_e32 v[2:3], v2
.LBB7_591:
	s_mov_b32 s25, 0
	s_mov_b32 s24, -1
.LBB7_592:
	s_andn2_b32 vcc_lo, exec_lo, s25
	s_cbranch_vccnz .LBB7_603
; %bb.593:
	s_cmp_gt_i32 s0, 14
	s_cbranch_scc0 .LBB7_596
; %bb.594:
	s_cmp_eq_u32 s0, 15
	s_cbranch_scc0 .LBB7_597
; %bb.595:
	global_load_ushort v2, v[0:1], off
	s_mov_b32 s24, -1
	s_mov_b32 s23, 0
	s_waitcnt vmcnt(0)
	v_lshlrev_b32_e32 v2, 16, v2
	v_cvt_f64_f32_e32 v[2:3], v2
	s_branch .LBB7_598
.LBB7_596:
	s_mov_b32 s25, -1
                                        ; implicit-def: $vgpr2_vgpr3
	s_branch .LBB7_599
.LBB7_597:
	s_mov_b32 s23, -1
                                        ; implicit-def: $vgpr2_vgpr3
.LBB7_598:
	s_mov_b32 s25, 0
.LBB7_599:
	s_and_b32 vcc_lo, exec_lo, s25
	s_cbranch_vccz .LBB7_603
; %bb.600:
	s_cmp_eq_u32 s0, 11
	s_cbranch_scc0 .LBB7_602
; %bb.601:
	global_load_ubyte v2, v[0:1], off
	s_mov_b32 s23, 0
	s_mov_b32 s24, -1
	s_waitcnt vmcnt(0)
	v_cmp_ne_u16_e32 vcc_lo, 0, v2
	v_mov_b32_e32 v2, 0
	v_cndmask_b32_e64 v3, 0, 0x3ff00000, vcc_lo
	s_branch .LBB7_603
.LBB7_602:
	s_mov_b32 s23, -1
                                        ; implicit-def: $vgpr2_vgpr3
.LBB7_603:
	s_mov_b32 s25, 0
.LBB7_604:
	s_and_b32 vcc_lo, exec_lo, s25
	s_cbranch_vccz .LBB7_653
; %bb.605:
	s_cmp_lt_i32 s0, 5
	s_cbranch_scc1 .LBB7_610
; %bb.606:
	s_cmp_lt_i32 s0, 8
	s_cbranch_scc1 .LBB7_611
	;; [unrolled: 3-line block ×3, first 2 shown]
; %bb.608:
	s_cmp_gt_i32 s0, 9
	s_cbranch_scc0 .LBB7_613
; %bb.609:
	global_load_dwordx2 v[2:3], v[0:1], off
	s_mov_b32 s24, 0
	s_branch .LBB7_614
.LBB7_610:
	s_mov_b32 s24, -1
                                        ; implicit-def: $vgpr2_vgpr3
	s_branch .LBB7_632
.LBB7_611:
	s_mov_b32 s24, -1
                                        ; implicit-def: $vgpr2_vgpr3
	s_branch .LBB7_620
.LBB7_612:
	s_mov_b32 s24, -1
                                        ; implicit-def: $vgpr2_vgpr3
	s_branch .LBB7_617
.LBB7_613:
	s_mov_b32 s24, -1
                                        ; implicit-def: $vgpr2_vgpr3
.LBB7_614:
	s_andn2_b32 vcc_lo, exec_lo, s24
	s_cbranch_vccnz .LBB7_616
; %bb.615:
	global_load_dword v2, v[0:1], off
	s_waitcnt vmcnt(0)
	v_cvt_f64_f32_e32 v[2:3], v2
.LBB7_616:
	s_mov_b32 s24, 0
.LBB7_617:
	s_andn2_b32 vcc_lo, exec_lo, s24
	s_cbranch_vccnz .LBB7_619
; %bb.618:
	global_load_dword v2, v[0:1], off
	s_waitcnt vmcnt(0)
	v_cvt_f32_f16_e32 v2, v2
	v_cvt_f64_f32_e32 v[2:3], v2
.LBB7_619:
	s_mov_b32 s24, 0
.LBB7_620:
	s_andn2_b32 vcc_lo, exec_lo, s24
	s_cbranch_vccnz .LBB7_631
; %bb.621:
	s_cmp_lt_i32 s0, 6
	s_cbranch_scc1 .LBB7_624
; %bb.622:
	s_cmp_gt_i32 s0, 6
	s_cbranch_scc0 .LBB7_625
; %bb.623:
	global_load_dwordx2 v[2:3], v[0:1], off
	s_mov_b32 s24, 0
	s_branch .LBB7_626
.LBB7_624:
	s_mov_b32 s24, -1
                                        ; implicit-def: $vgpr2_vgpr3
	s_branch .LBB7_629
.LBB7_625:
	s_mov_b32 s24, -1
                                        ; implicit-def: $vgpr2_vgpr3
.LBB7_626:
	s_andn2_b32 vcc_lo, exec_lo, s24
	s_cbranch_vccnz .LBB7_628
; %bb.627:
	global_load_dword v2, v[0:1], off
	s_waitcnt vmcnt(0)
	v_cvt_f64_f32_e32 v[2:3], v2
.LBB7_628:
	s_mov_b32 s24, 0
.LBB7_629:
	s_andn2_b32 vcc_lo, exec_lo, s24
	s_cbranch_vccnz .LBB7_631
; %bb.630:
	global_load_ushort v2, v[0:1], off
	s_waitcnt vmcnt(0)
	v_cvt_f32_f16_e32 v2, v2
	v_cvt_f64_f32_e32 v[2:3], v2
.LBB7_631:
	s_mov_b32 s24, 0
.LBB7_632:
	s_andn2_b32 vcc_lo, exec_lo, s24
	s_cbranch_vccnz .LBB7_652
; %bb.633:
	s_cmp_lt_i32 s0, 2
	s_cbranch_scc1 .LBB7_637
; %bb.634:
	s_cmp_lt_i32 s0, 3
	s_cbranch_scc1 .LBB7_638
; %bb.635:
	s_cmp_gt_i32 s0, 3
	s_cbranch_scc0 .LBB7_639
; %bb.636:
	global_load_dwordx2 v[2:3], v[0:1], off
	s_mov_b32 s24, 0
	s_waitcnt vmcnt(0)
	v_cvt_f64_i32_e32 v[3:4], v3
	v_cvt_f64_u32_e32 v[5:6], v2
	v_ldexp_f64 v[3:4], v[3:4], 32
	v_add_f64 v[2:3], v[3:4], v[5:6]
	s_branch .LBB7_640
.LBB7_637:
	s_mov_b32 s24, -1
                                        ; implicit-def: $vgpr2_vgpr3
	s_branch .LBB7_646
.LBB7_638:
	s_mov_b32 s24, -1
                                        ; implicit-def: $vgpr2_vgpr3
	s_branch .LBB7_643
.LBB7_639:
	s_mov_b32 s24, -1
                                        ; implicit-def: $vgpr2_vgpr3
.LBB7_640:
	s_andn2_b32 vcc_lo, exec_lo, s24
	s_cbranch_vccnz .LBB7_642
; %bb.641:
	global_load_dword v2, v[0:1], off
	s_waitcnt vmcnt(0)
	v_cvt_f64_i32_e32 v[2:3], v2
.LBB7_642:
	s_mov_b32 s24, 0
.LBB7_643:
	s_andn2_b32 vcc_lo, exec_lo, s24
	s_cbranch_vccnz .LBB7_645
; %bb.644:
	global_load_sshort v2, v[0:1], off
	s_waitcnt vmcnt(0)
	v_cvt_f64_i32_e32 v[2:3], v2
.LBB7_645:
	s_mov_b32 s24, 0
.LBB7_646:
	s_andn2_b32 vcc_lo, exec_lo, s24
	s_cbranch_vccnz .LBB7_652
; %bb.647:
	s_cmp_gt_i32 s0, 0
	s_mov_b32 s0, 0
	s_cbranch_scc0 .LBB7_649
; %bb.648:
	global_load_sbyte v2, v[0:1], off
	s_waitcnt vmcnt(0)
	v_cvt_f64_i32_e32 v[2:3], v2
	s_branch .LBB7_650
.LBB7_649:
	s_mov_b32 s0, -1
                                        ; implicit-def: $vgpr2_vgpr3
.LBB7_650:
	s_andn2_b32 vcc_lo, exec_lo, s0
	s_cbranch_vccnz .LBB7_652
; %bb.651:
	global_load_ubyte v0, v[0:1], off
	s_waitcnt vmcnt(0)
	v_cvt_f64_u32_e32 v[2:3], v0
.LBB7_652:
	s_mov_b32 s24, -1
.LBB7_653:
	s_andn2_b32 vcc_lo, exec_lo, s24
	s_cbranch_vccnz .LBB7_663
; %bb.654:
	s_waitcnt vmcnt(0)
	v_cvt_f32_f64_e32 v0, v[2:3]
	s_mov_b32 s0, exec_lo
	v_cmpx_nlg_f32_e64 0x7f800000, |v0|
	s_cbranch_execz .LBB7_656
; %bb.655:
	v_mov_b32_e32 v0, 0
	v_mov_b32_e32 v1, 1.0
	global_store_dword v0, v1, s[12:13]
.LBB7_656:
	s_or_b32 exec_lo, exec_lo, s0
	v_mov_b32_e32 v0, 0
	v_mul_lo_u32 v5, v16, s2
	s_and_b32 s24, s1, 0xff
	s_cmp_lt_i32 s24, 11
	global_load_dword v4, v0, s[14:15]
	v_ashrrev_i32_e32 v6, 31, v5
	s_waitcnt vmcnt(0)
	v_cvt_f64_f32_e32 v[0:1], v4
	v_cmp_eq_f32_e32 vcc_lo, 1.0, v4
	v_add_co_u32 v4, s0, s8, v5
	v_add_co_ci_u32_e64 v5, null, s9, v6, s0
	v_mul_f64 v[0:1], v[2:3], v[0:1]
	v_cndmask_b32_e32 v1, v1, v3, vcc_lo
	v_cndmask_b32_e32 v0, v0, v2, vcc_lo
	s_cbranch_scc1 .LBB7_664
; %bb.657:
	s_and_b32 s25, 0xffff, s24
	s_cmp_gt_i32 s25, 25
	s_cbranch_scc0 .LBB7_665
; %bb.658:
	s_cmp_gt_i32 s25, 28
	s_cbranch_scc0 .LBB7_666
; %bb.659:
	;; [unrolled: 3-line block ×4, first 2 shown]
	s_mov_b32 s27, 0
	s_mov_b32 s0, -1
	s_cmp_eq_u32 s25, 46
	s_mov_b32 s26, 0
	s_cbranch_scc0 .LBB7_669
; %bb.662:
	v_cvt_f32_f64_e32 v2, v[0:1]
	s_mov_b32 s26, -1
	s_mov_b32 s0, 0
	v_bfe_u32 v3, v2, 16, 1
	v_cmp_o_f32_e32 vcc_lo, v2, v2
	v_add3_u32 v2, v2, v3, 0x7fff
	v_mov_b32_e32 v3, 0x7fc0
	v_cndmask_b32_sdwa v2, v3, v2, vcc_lo dst_sel:DWORD dst_unused:UNUSED_PAD src0_sel:DWORD src1_sel:WORD_1
	global_store_dword v[4:5], v2, off
	s_branch .LBB7_669
.LBB7_663:
	s_mov_b32 s24, 0
	s_mov_b32 s0, s20
	s_branch .LBB7_780
.LBB7_664:
	s_mov_b32 s25, -1
	s_mov_b32 s26, 0
	s_mov_b32 s0, s20
	s_branch .LBB7_738
.LBB7_665:
	s_mov_b32 s27, -1
	s_mov_b32 s26, 0
	s_mov_b32 s0, s20
	s_branch .LBB7_696
.LBB7_666:
	s_mov_b32 s27, -1
	s_mov_b32 s26, 0
	s_mov_b32 s0, s20
	s_branch .LBB7_679
.LBB7_667:
	s_mov_b32 s27, -1
	s_mov_b32 s26, 0
	s_mov_b32 s0, s20
	s_branch .LBB7_675
.LBB7_668:
	s_mov_b32 s27, -1
	s_mov_b32 s26, 0
	s_mov_b32 s0, s20
.LBB7_669:
	s_and_b32 vcc_lo, exec_lo, s27
	s_cbranch_vccz .LBB7_674
; %bb.670:
	s_cmp_eq_u32 s25, 44
	s_mov_b32 s0, -1
	s_cbranch_scc0 .LBB7_674
; %bb.671:
	v_cvt_f32_f64_e32 v2, v[0:1]
	v_mov_b32_e32 v3, 0xff
	s_mov_b32 s26, exec_lo
	v_bfe_u32 v6, v2, 23, 8
	v_cmpx_ne_u32_e32 0xff, v6
	s_cbranch_execz .LBB7_673
; %bb.672:
	v_and_b32_e32 v3, 0x400000, v2
	v_and_or_b32 v6, 0x3fffff, v2, v6
	v_lshrrev_b32_e32 v2, 23, v2
	v_cmp_ne_u32_e32 vcc_lo, 0, v3
	v_cmp_ne_u32_e64 s0, 0, v6
	s_and_b32 s0, vcc_lo, s0
	v_cndmask_b32_e64 v3, 0, 1, s0
	v_add_nc_u32_e32 v3, v2, v3
.LBB7_673:
	s_or_b32 exec_lo, exec_lo, s26
	s_mov_b32 s26, -1
	s_mov_b32 s0, 0
	global_store_byte v[4:5], v3, off
.LBB7_674:
	s_mov_b32 s27, 0
.LBB7_675:
	s_and_b32 vcc_lo, exec_lo, s27
	s_cbranch_vccz .LBB7_678
; %bb.676:
	s_cmp_eq_u32 s25, 29
	s_mov_b32 s0, -1
	s_cbranch_scc0 .LBB7_678
; %bb.677:
	v_trunc_f64_e32 v[2:3], v[0:1]
	s_mov_b32 s26, -1
	s_mov_b32 s0, 0
	s_mov_b32 s27, 0
	v_ldexp_f64 v[6:7], v[2:3], 0xffffffe0
	v_floor_f64_e32 v[6:7], v[6:7]
	v_fma_f64 v[2:3], 0xc1f00000, v[6:7], v[2:3]
	v_cvt_u32_f64_e32 v7, v[6:7]
	v_cvt_u32_f64_e32 v6, v[2:3]
	global_store_dwordx2 v[4:5], v[6:7], off
	s_branch .LBB7_679
.LBB7_678:
	s_mov_b32 s27, 0
.LBB7_679:
	s_and_b32 vcc_lo, exec_lo, s27
	s_cbranch_vccz .LBB7_695
; %bb.680:
	s_cmp_lt_i32 s25, 27
	s_mov_b32 s26, -1
	s_cbranch_scc1 .LBB7_686
; %bb.681:
	v_cvt_u32_f64_e32 v2, v[0:1]
	s_cmp_gt_i32 s25, 27
	s_cbranch_scc0 .LBB7_683
; %bb.682:
	s_mov_b32 s26, 0
	global_store_dword v[4:5], v2, off
.LBB7_683:
	s_andn2_b32 vcc_lo, exec_lo, s26
	s_cbranch_vccnz .LBB7_685
; %bb.684:
	global_store_short v[4:5], v2, off
.LBB7_685:
	s_mov_b32 s26, 0
.LBB7_686:
	s_andn2_b32 vcc_lo, exec_lo, s26
	s_cbranch_vccnz .LBB7_694
; %bb.687:
	v_cvt_f32_f64_e32 v2, v[0:1]
	v_mov_b32_e32 v6, 0x80
	s_mov_b32 s26, exec_lo
	v_and_b32_e32 v3, 0x7fffffff, v2
	v_cmpx_gt_u32_e32 0x43800000, v3
	s_cbranch_execz .LBB7_693
; %bb.688:
	v_cmp_lt_u32_e32 vcc_lo, 0x3bffffff, v3
	s_mov_b32 s27, 0
                                        ; implicit-def: $vgpr3
	s_and_saveexec_b32 s28, vcc_lo
	s_xor_b32 s28, exec_lo, s28
	s_cbranch_execz .LBB7_795
; %bb.689:
	v_bfe_u32 v3, v2, 20, 1
	s_mov_b32 s27, exec_lo
	v_add3_u32 v3, v2, v3, 0x487ffff
	v_lshrrev_b32_e32 v3, 20, v3
	s_andn2_saveexec_b32 s28, s28
	s_cbranch_execnz .LBB7_796
.LBB7_690:
	s_or_b32 exec_lo, exec_lo, s28
	v_mov_b32_e32 v6, 0
	s_and_saveexec_b32 s28, s27
.LBB7_691:
	v_lshrrev_b32_e32 v2, 24, v2
	v_and_or_b32 v6, 0x80, v2, v3
.LBB7_692:
	s_or_b32 exec_lo, exec_lo, s28
.LBB7_693:
	s_or_b32 exec_lo, exec_lo, s26
	global_store_byte v[4:5], v6, off
.LBB7_694:
	s_mov_b32 s26, -1
.LBB7_695:
	s_mov_b32 s27, 0
.LBB7_696:
	s_and_b32 vcc_lo, exec_lo, s27
	s_cbranch_vccz .LBB7_737
; %bb.697:
	s_cmp_gt_i32 s25, 22
	s_mov_b32 s27, -1
	s_cbranch_scc0 .LBB7_729
; %bb.698:
	s_cmp_lt_i32 s25, 24
	s_mov_b32 s26, -1
	s_cbranch_scc1 .LBB7_718
; %bb.699:
	s_cmp_gt_i32 s25, 24
	s_cbranch_scc0 .LBB7_707
; %bb.700:
	v_cvt_f32_f64_e32 v2, v[0:1]
	v_mov_b32_e32 v6, 0x80
	s_mov_b32 s26, exec_lo
	v_and_b32_e32 v3, 0x7fffffff, v2
	v_cmpx_gt_u32_e32 0x47800000, v3
	s_cbranch_execz .LBB7_706
; %bb.701:
	v_cmp_lt_u32_e32 vcc_lo, 0x37ffffff, v3
	s_mov_b32 s27, 0
                                        ; implicit-def: $vgpr3
	s_and_saveexec_b32 s28, vcc_lo
	s_xor_b32 s28, exec_lo, s28
	s_cbranch_execz .LBB7_798
; %bb.702:
	v_bfe_u32 v3, v2, 21, 1
	s_mov_b32 s27, exec_lo
	v_add3_u32 v3, v2, v3, 0x88fffff
	v_lshrrev_b32_e32 v3, 21, v3
	s_andn2_saveexec_b32 s28, s28
	s_cbranch_execnz .LBB7_799
.LBB7_703:
	s_or_b32 exec_lo, exec_lo, s28
	v_mov_b32_e32 v6, 0
	s_and_saveexec_b32 s28, s27
.LBB7_704:
	v_lshrrev_b32_e32 v2, 24, v2
	v_and_or_b32 v6, 0x80, v2, v3
.LBB7_705:
	s_or_b32 exec_lo, exec_lo, s28
.LBB7_706:
	s_or_b32 exec_lo, exec_lo, s26
	s_mov_b32 s26, 0
	global_store_byte v[4:5], v6, off
.LBB7_707:
	s_and_b32 vcc_lo, exec_lo, s26
	s_cbranch_vccz .LBB7_717
; %bb.708:
	v_cvt_f32_f64_e32 v2, v[0:1]
	s_mov_b32 s26, exec_lo
                                        ; implicit-def: $vgpr3
	v_and_b32_e32 v6, 0x7fffffff, v2
	v_cmpx_gt_u32_e32 0x43f00000, v6
	s_xor_b32 s26, exec_lo, s26
	s_cbranch_execz .LBB7_714
; %bb.709:
	s_mov_b32 s27, exec_lo
                                        ; implicit-def: $vgpr3
	v_cmpx_lt_u32_e32 0x3c7fffff, v6
	s_xor_b32 s27, exec_lo, s27
; %bb.710:
	v_bfe_u32 v3, v2, 20, 1
	v_add3_u32 v3, v2, v3, 0x407ffff
	v_and_b32_e32 v6, 0xff00000, v3
	v_lshrrev_b32_e32 v3, 20, v3
	v_cmp_ne_u32_e32 vcc_lo, 0x7f00000, v6
	v_cndmask_b32_e32 v3, 0x7e, v3, vcc_lo
; %bb.711:
	s_andn2_saveexec_b32 s27, s27
; %bb.712:
	v_add_f32_e64 v3, 0x46800000, |v2|
; %bb.713:
	s_or_b32 exec_lo, exec_lo, s27
                                        ; implicit-def: $vgpr6
.LBB7_714:
	s_andn2_saveexec_b32 s26, s26
; %bb.715:
	v_mov_b32_e32 v3, 0x7f
	v_cmp_lt_u32_e32 vcc_lo, 0x7f800000, v6
	v_cndmask_b32_e32 v3, 0x7e, v3, vcc_lo
; %bb.716:
	s_or_b32 exec_lo, exec_lo, s26
	v_lshrrev_b32_e32 v2, 24, v2
	v_and_or_b32 v2, 0x80, v2, v3
	global_store_byte v[4:5], v2, off
.LBB7_717:
	s_mov_b32 s26, 0
.LBB7_718:
	s_andn2_b32 vcc_lo, exec_lo, s26
	s_cbranch_vccnz .LBB7_728
; %bb.719:
	v_cvt_f32_f64_e32 v2, v[0:1]
	s_mov_b32 s26, exec_lo
                                        ; implicit-def: $vgpr3
	v_and_b32_e32 v6, 0x7fffffff, v2
	v_cmpx_gt_u32_e32 0x47800000, v6
	s_xor_b32 s26, exec_lo, s26
	s_cbranch_execz .LBB7_725
; %bb.720:
	s_mov_b32 s27, exec_lo
                                        ; implicit-def: $vgpr3
	v_cmpx_lt_u32_e32 0x387fffff, v6
	s_xor_b32 s27, exec_lo, s27
; %bb.721:
	v_bfe_u32 v3, v2, 21, 1
	v_add3_u32 v3, v2, v3, 0x80fffff
	v_lshrrev_b32_e32 v3, 21, v3
; %bb.722:
	s_andn2_saveexec_b32 s27, s27
; %bb.723:
	v_add_f32_e64 v3, 0x43000000, |v2|
; %bb.724:
	s_or_b32 exec_lo, exec_lo, s27
                                        ; implicit-def: $vgpr6
.LBB7_725:
	s_andn2_saveexec_b32 s26, s26
; %bb.726:
	v_mov_b32_e32 v3, 0x7f
	v_cmp_lt_u32_e32 vcc_lo, 0x7f800000, v6
	v_cndmask_b32_e32 v3, 0x7c, v3, vcc_lo
; %bb.727:
	s_or_b32 exec_lo, exec_lo, s26
	v_lshrrev_b32_e32 v2, 24, v2
	v_and_or_b32 v2, 0x80, v2, v3
	global_store_byte v[4:5], v2, off
.LBB7_728:
	s_mov_b32 s27, 0
	s_mov_b32 s26, -1
.LBB7_729:
	s_andn2_b32 vcc_lo, exec_lo, s27
	s_cbranch_vccnz .LBB7_737
; %bb.730:
	s_cmp_gt_i32 s25, 14
	s_mov_b32 s27, -1
	s_cbranch_scc0 .LBB7_734
; %bb.731:
	s_cmp_eq_u32 s25, 15
	s_mov_b32 s0, -1
	s_cbranch_scc0 .LBB7_733
; %bb.732:
	v_cvt_f32_f64_e32 v2, v[0:1]
	s_mov_b32 s26, -1
	s_mov_b32 s0, 0
	v_bfe_u32 v3, v2, 16, 1
	v_cmp_o_f32_e32 vcc_lo, v2, v2
	v_add3_u32 v2, v2, v3, 0x7fff
	v_mov_b32_e32 v3, 0x7fc0
	v_cndmask_b32_sdwa v2, v3, v2, vcc_lo dst_sel:DWORD dst_unused:UNUSED_PAD src0_sel:DWORD src1_sel:WORD_1
	global_store_short v[4:5], v2, off
.LBB7_733:
	s_mov_b32 s27, 0
.LBB7_734:
	s_and_b32 vcc_lo, exec_lo, s27
	s_cbranch_vccz .LBB7_737
; %bb.735:
	s_cmp_eq_u32 s25, 11
	s_mov_b32 s0, -1
	s_cbranch_scc0 .LBB7_737
; %bb.736:
	v_cmp_neq_f64_e32 vcc_lo, 0, v[0:1]
	s_mov_b32 s26, -1
	s_mov_b32 s0, 0
	v_cndmask_b32_e64 v2, 0, 1, vcc_lo
	global_store_byte v[4:5], v2, off
.LBB7_737:
	s_mov_b32 s25, 0
.LBB7_738:
	s_and_b32 vcc_lo, exec_lo, s25
	s_cbranch_vccz .LBB7_777
; %bb.739:
	s_and_b32 s24, 0xffff, s24
	s_mov_b32 s25, -1
	s_cmp_lt_i32 s24, 5
	s_cbranch_scc1 .LBB7_760
; %bb.740:
	s_cmp_lt_i32 s24, 8
	s_cbranch_scc1 .LBB7_750
; %bb.741:
	;; [unrolled: 3-line block ×3, first 2 shown]
	s_cmp_gt_i32 s24, 9
	s_cbranch_scc0 .LBB7_744
; %bb.743:
	v_mov_b32_e32 v2, 0
	s_mov_b32 s25, 0
	v_mov_b32_e32 v3, v2
	global_store_dwordx4 v[4:5], v[0:3], off
.LBB7_744:
	s_andn2_b32 vcc_lo, exec_lo, s25
	s_cbranch_vccnz .LBB7_746
; %bb.745:
	v_cvt_f32_f64_e32 v2, v[0:1]
	v_mov_b32_e32 v3, 0
	global_store_dwordx2 v[4:5], v[2:3], off
.LBB7_746:
	s_mov_b32 s25, 0
.LBB7_747:
	s_andn2_b32 vcc_lo, exec_lo, s25
	s_cbranch_vccnz .LBB7_749
; %bb.748:
	v_and_or_b32 v2, 0x1ff, v1, v0
	v_lshrrev_b32_e32 v3, 8, v1
	v_bfe_u32 v6, v1, 20, 11
	v_cmp_ne_u32_e32 vcc_lo, 0, v2
	v_sub_nc_u32_e32 v7, 0x3f1, v6
	v_add_nc_u32_e32 v6, 0xfffffc10, v6
	v_cndmask_b32_e64 v2, 0, 1, vcc_lo
	v_and_or_b32 v2, 0xffe, v3, v2
	v_med3_i32 v3, v7, 0, 13
	v_or_b32_e32 v7, 0x1000, v2
	v_lshrrev_b32_e32 v8, v3, v7
	v_lshlrev_b32_e32 v3, v3, v8
	v_cmp_ne_u32_e32 vcc_lo, v3, v7
	v_lshl_or_b32 v7, v6, 12, v2
	v_cndmask_b32_e64 v3, 0, 1, vcc_lo
	v_cmp_gt_i32_e32 vcc_lo, 1, v6
	v_or_b32_e32 v3, v8, v3
	v_cndmask_b32_e32 v3, v7, v3, vcc_lo
	v_and_b32_e32 v7, 7, v3
	v_lshrrev_b32_e32 v3, 2, v3
	v_cmp_lt_i32_e32 vcc_lo, 5, v7
	v_cndmask_b32_e64 v8, 0, 1, vcc_lo
	v_cmp_eq_u32_e32 vcc_lo, 3, v7
	v_cndmask_b32_e64 v7, 0, 1, vcc_lo
	v_cmp_ne_u32_e32 vcc_lo, 0, v2
	v_or_b32_e32 v7, v7, v8
	v_mov_b32_e32 v8, 0x7e00
	v_add_nc_u32_e32 v3, v3, v7
	v_cndmask_b32_e32 v2, 0x7c00, v8, vcc_lo
	v_cmp_gt_i32_e32 vcc_lo, 31, v6
	v_cndmask_b32_e32 v3, 0x7c00, v3, vcc_lo
	v_cmp_eq_u32_e32 vcc_lo, 0x40f, v6
	v_cndmask_b32_e32 v2, v3, v2, vcc_lo
	v_lshrrev_b32_e32 v3, 16, v1
	v_and_or_b32 v2, 0x8000, v3, v2
	v_and_b32_e32 v2, 0xffff, v2
	global_store_dword v[4:5], v2, off
.LBB7_749:
	s_mov_b32 s25, 0
.LBB7_750:
	s_andn2_b32 vcc_lo, exec_lo, s25
	s_cbranch_vccnz .LBB7_759
; %bb.751:
	s_cmp_lt_i32 s24, 6
	s_mov_b32 s25, -1
	s_cbranch_scc1 .LBB7_757
; %bb.752:
	s_cmp_gt_i32 s24, 6
	s_cbranch_scc0 .LBB7_754
; %bb.753:
	s_mov_b32 s25, 0
	global_store_dwordx2 v[4:5], v[0:1], off
.LBB7_754:
	s_andn2_b32 vcc_lo, exec_lo, s25
	s_cbranch_vccnz .LBB7_756
; %bb.755:
	v_cvt_f32_f64_e32 v2, v[0:1]
	global_store_dword v[4:5], v2, off
.LBB7_756:
	s_mov_b32 s25, 0
.LBB7_757:
	s_andn2_b32 vcc_lo, exec_lo, s25
	s_cbranch_vccnz .LBB7_759
; %bb.758:
	v_and_or_b32 v2, 0x1ff, v1, v0
	v_lshrrev_b32_e32 v3, 8, v1
	v_bfe_u32 v6, v1, 20, 11
	v_cmp_ne_u32_e32 vcc_lo, 0, v2
	v_sub_nc_u32_e32 v7, 0x3f1, v6
	v_add_nc_u32_e32 v6, 0xfffffc10, v6
	v_cndmask_b32_e64 v2, 0, 1, vcc_lo
	v_and_or_b32 v2, 0xffe, v3, v2
	v_med3_i32 v3, v7, 0, 13
	v_or_b32_e32 v7, 0x1000, v2
	v_lshrrev_b32_e32 v8, v3, v7
	v_lshlrev_b32_e32 v3, v3, v8
	v_cmp_ne_u32_e32 vcc_lo, v3, v7
	v_lshl_or_b32 v7, v6, 12, v2
	v_cndmask_b32_e64 v3, 0, 1, vcc_lo
	v_cmp_gt_i32_e32 vcc_lo, 1, v6
	v_or_b32_e32 v3, v8, v3
	v_cndmask_b32_e32 v3, v7, v3, vcc_lo
	v_and_b32_e32 v7, 7, v3
	v_lshrrev_b32_e32 v3, 2, v3
	v_cmp_lt_i32_e32 vcc_lo, 5, v7
	v_cndmask_b32_e64 v8, 0, 1, vcc_lo
	v_cmp_eq_u32_e32 vcc_lo, 3, v7
	v_cndmask_b32_e64 v7, 0, 1, vcc_lo
	v_cmp_ne_u32_e32 vcc_lo, 0, v2
	v_or_b32_e32 v7, v7, v8
	v_mov_b32_e32 v8, 0x7e00
	v_add_nc_u32_e32 v3, v3, v7
	v_cndmask_b32_e32 v2, 0x7c00, v8, vcc_lo
	v_cmp_gt_i32_e32 vcc_lo, 31, v6
	v_cndmask_b32_e32 v3, 0x7c00, v3, vcc_lo
	v_cmp_eq_u32_e32 vcc_lo, 0x40f, v6
	v_cndmask_b32_e32 v2, v3, v2, vcc_lo
	v_lshrrev_b32_e32 v3, 16, v1
	v_and_or_b32 v2, 0x8000, v3, v2
	global_store_short v[4:5], v2, off
.LBB7_759:
	s_mov_b32 s25, 0
.LBB7_760:
	s_andn2_b32 vcc_lo, exec_lo, s25
	s_cbranch_vccnz .LBB7_776
; %bb.761:
	s_cmp_lt_i32 s24, 2
	s_mov_b32 s25, -1
	s_cbranch_scc1 .LBB7_771
; %bb.762:
	s_cmp_lt_i32 s24, 3
	s_cbranch_scc1 .LBB7_768
; %bb.763:
	s_cmp_gt_i32 s24, 3
	s_cbranch_scc0 .LBB7_765
; %bb.764:
	v_trunc_f64_e32 v[2:3], v[0:1]
	s_mov_b32 s25, 0
	v_ldexp_f64 v[6:7], v[2:3], 0xffffffe0
	v_floor_f64_e32 v[6:7], v[6:7]
	v_fma_f64 v[2:3], 0xc1f00000, v[6:7], v[2:3]
	v_cvt_i32_f64_e32 v7, v[6:7]
	v_cvt_u32_f64_e32 v6, v[2:3]
	global_store_dwordx2 v[4:5], v[6:7], off
.LBB7_765:
	s_andn2_b32 vcc_lo, exec_lo, s25
	s_cbranch_vccnz .LBB7_767
; %bb.766:
	v_cvt_i32_f64_e32 v2, v[0:1]
	global_store_dword v[4:5], v2, off
.LBB7_767:
	s_mov_b32 s25, 0
.LBB7_768:
	s_andn2_b32 vcc_lo, exec_lo, s25
	s_cbranch_vccnz .LBB7_770
; %bb.769:
	v_cvt_i32_f64_e32 v2, v[0:1]
	global_store_short v[4:5], v2, off
.LBB7_770:
	s_mov_b32 s25, 0
.LBB7_771:
	s_andn2_b32 vcc_lo, exec_lo, s25
	s_cbranch_vccnz .LBB7_776
; %bb.772:
	s_cmp_gt_i32 s24, 0
	s_mov_b32 s24, -1
	s_cbranch_scc0 .LBB7_774
; %bb.773:
	v_cvt_i32_f64_e32 v2, v[0:1]
	s_mov_b32 s24, 0
	global_store_byte v[4:5], v2, off
.LBB7_774:
	s_andn2_b32 vcc_lo, exec_lo, s24
	s_cbranch_vccnz .LBB7_776
; %bb.775:
	v_trunc_f64_e32 v[0:1], v[0:1]
	v_ldexp_f64 v[2:3], v[0:1], 0xffffffe0
	v_floor_f64_e32 v[2:3], v[2:3]
	v_fma_f64 v[0:1], 0xc1f00000, v[2:3], v[0:1]
	v_cvt_u32_f64_e32 v0, v[0:1]
	global_store_byte v[4:5], v0, off
.LBB7_776:
	s_mov_b32 s26, -1
.LBB7_777:
	s_andn2_b32 vcc_lo, exec_lo, s26
	s_cbranch_vccnz .LBB7_779
; %bb.778:
	v_add_nc_u32_e32 v16, 0x80, v16
	s_mov_b32 s24, -1
	s_branch .LBB7_781
.LBB7_779:
	s_mov_b32 s24, 0
.LBB7_780:
                                        ; implicit-def: $vgpr16
.LBB7_781:
	s_andn2_b32 s25, s20, exec_lo
	s_and_b32 s0, s0, exec_lo
	s_andn2_b32 s26, s19, exec_lo
	s_and_b32 s27, s23, exec_lo
	s_or_b32 s23, s25, s0
	s_or_b32 s0, s26, s27
	s_orn2_b32 s24, s24, exec_lo
.LBB7_782:
	s_or_b32 exec_lo, exec_lo, s22
	s_mov_b32 s25, 0
	s_mov_b32 s26, 0
	;; [unrolled: 1-line block ×3, first 2 shown]
                                        ; implicit-def: $vgpr0_vgpr1
                                        ; implicit-def: $vgpr2_vgpr3
	s_and_saveexec_b32 s22, s24
	s_cbranch_execz .LBB7_867
; %bb.783:
	v_cmp_gt_i32_e32 vcc_lo, s16, v16
	s_mov_b32 s24, 0
	s_mov_b32 s25, s0
	;; [unrolled: 1-line block ×3, first 2 shown]
                                        ; implicit-def: $vgpr0_vgpr1
                                        ; implicit-def: $vgpr2_vgpr3
	s_and_saveexec_b32 s16, vcc_lo
	s_cbranch_execz .LBB7_866
; %bb.784:
	v_mul_lo_u32 v0, v16, s3
	s_and_b32 s24, 0xffff, s5
	s_cmp_lt_i32 s24, 11
	v_ashrrev_i32_e32 v1, 31, v0
	v_add_co_u32 v0, vcc_lo, s10, v0
	v_add_co_ci_u32_e64 v1, null, s11, v1, vcc_lo
	s_cbranch_scc1 .LBB7_791
; %bb.785:
	s_cmp_gt_i32 s24, 25
	s_cbranch_scc0 .LBB7_792
; %bb.786:
	s_cmp_gt_i32 s24, 28
	s_cbranch_scc0 .LBB7_793
	;; [unrolled: 3-line block ×4, first 2 shown]
; %bb.789:
	s_cmp_eq_u32 s24, 46
	s_cbranch_scc0 .LBB7_800
; %bb.790:
	global_load_dword v2, v[0:1], off
	s_mov_b32 s25, 0
	s_mov_b32 s27, -1
	s_waitcnt vmcnt(0)
	v_lshlrev_b32_e32 v2, 16, v2
	v_cvt_f64_f32_e32 v[2:3], v2
	s_branch .LBB7_802
.LBB7_791:
	s_mov_b32 s24, -1
	s_mov_b32 s25, s0
                                        ; implicit-def: $vgpr2_vgpr3
	s_branch .LBB7_865
.LBB7_792:
	s_mov_b32 s28, -1
	s_mov_b32 s25, s0
                                        ; implicit-def: $vgpr2_vgpr3
	s_branch .LBB7_833
.LBB7_793:
	s_mov_b32 s28, -1
	s_mov_b32 s25, s0
                                        ; implicit-def: $vgpr2_vgpr3
	s_branch .LBB7_812
.LBB7_794:
	s_mov_b32 s28, -1
	s_mov_b32 s25, s0
                                        ; implicit-def: $vgpr2_vgpr3
	s_branch .LBB7_807
.LBB7_795:
	s_andn2_saveexec_b32 s28, s28
	s_cbranch_execz .LBB7_690
.LBB7_796:
	v_add_f32_e64 v3, 0x46000000, |v2|
	s_andn2_b32 s27, s27, exec_lo
	v_and_b32_e32 v3, 0xff, v3
	v_cmp_ne_u32_e32 vcc_lo, 0, v3
	s_and_b32 s29, vcc_lo, exec_lo
	s_or_b32 s27, s27, s29
	s_or_b32 exec_lo, exec_lo, s28
	v_mov_b32_e32 v6, 0
	s_and_saveexec_b32 s28, s27
	s_cbranch_execnz .LBB7_691
	s_branch .LBB7_692
.LBB7_797:
	s_mov_b32 s28, -1
	s_mov_b32 s25, s0
	s_branch .LBB7_801
.LBB7_798:
	s_andn2_saveexec_b32 s28, s28
	s_cbranch_execz .LBB7_703
.LBB7_799:
	v_add_f32_e64 v3, 0x42800000, |v2|
	s_andn2_b32 s27, s27, exec_lo
	v_and_b32_e32 v3, 0xff, v3
	v_cmp_ne_u32_e32 vcc_lo, 0, v3
	s_and_b32 s29, vcc_lo, exec_lo
	s_or_b32 s27, s27, s29
	s_or_b32 exec_lo, exec_lo, s28
	v_mov_b32_e32 v6, 0
	s_and_saveexec_b32 s28, s27
	s_cbranch_execnz .LBB7_704
	s_branch .LBB7_705
.LBB7_800:
	s_mov_b32 s25, -1
.LBB7_801:
                                        ; implicit-def: $vgpr2_vgpr3
.LBB7_802:
	s_and_b32 vcc_lo, exec_lo, s28
	s_cbranch_vccz .LBB7_806
; %bb.803:
	s_cmp_eq_u32 s24, 44
	s_cbranch_scc0 .LBB7_805
; %bb.804:
	global_load_ubyte v4, v[0:1], off
	s_mov_b32 s25, 0
	s_mov_b32 s27, -1
	s_waitcnt vmcnt(0)
	v_lshlrev_b32_e32 v2, 23, v4
	v_cmp_ne_u32_e32 vcc_lo, 0xff, v4
	v_cvt_f64_f32_e32 v[2:3], v2
	v_cndmask_b32_e32 v2, 0x20000000, v2, vcc_lo
	v_cndmask_b32_e32 v3, 0x7ff80000, v3, vcc_lo
	v_cmp_ne_u32_e32 vcc_lo, 0, v4
	v_cndmask_b32_e32 v3, 0x38000000, v3, vcc_lo
	v_cndmask_b32_e32 v2, 0, v2, vcc_lo
	s_branch .LBB7_806
.LBB7_805:
	s_mov_b32 s25, -1
                                        ; implicit-def: $vgpr2_vgpr3
.LBB7_806:
	s_mov_b32 s28, 0
.LBB7_807:
	s_and_b32 vcc_lo, exec_lo, s28
	s_cbranch_vccz .LBB7_811
; %bb.808:
	s_cmp_eq_u32 s24, 29
	s_cbranch_scc0 .LBB7_810
; %bb.809:
	global_load_dwordx2 v[2:3], v[0:1], off
	s_mov_b32 s25, 0
	s_mov_b32 s27, -1
	s_mov_b32 s28, 0
	s_waitcnt vmcnt(0)
	v_cvt_f64_u32_e32 v[3:4], v3
	v_cvt_f64_u32_e32 v[5:6], v2
	v_ldexp_f64 v[3:4], v[3:4], 32
	v_add_f64 v[2:3], v[3:4], v[5:6]
	s_branch .LBB7_812
.LBB7_810:
	s_mov_b32 s25, -1
                                        ; implicit-def: $vgpr2_vgpr3
.LBB7_811:
	s_mov_b32 s28, 0
.LBB7_812:
	s_and_b32 vcc_lo, exec_lo, s28
	s_cbranch_vccz .LBB7_832
; %bb.813:
	s_cmp_lt_i32 s24, 27
	s_cbranch_scc1 .LBB7_816
; %bb.814:
	s_cmp_gt_i32 s24, 27
	s_cbranch_scc0 .LBB7_817
; %bb.815:
	global_load_dword v2, v[0:1], off
	s_mov_b32 s27, 0
	s_waitcnt vmcnt(0)
	v_cvt_f64_u32_e32 v[2:3], v2
	s_branch .LBB7_818
.LBB7_816:
	s_mov_b32 s27, -1
                                        ; implicit-def: $vgpr2_vgpr3
	s_branch .LBB7_821
.LBB7_817:
	s_mov_b32 s27, -1
                                        ; implicit-def: $vgpr2_vgpr3
.LBB7_818:
	s_andn2_b32 vcc_lo, exec_lo, s27
	s_cbranch_vccnz .LBB7_820
; %bb.819:
	global_load_ushort v2, v[0:1], off
	s_waitcnt vmcnt(0)
	v_cvt_f64_u32_e32 v[2:3], v2
.LBB7_820:
	s_mov_b32 s27, 0
.LBB7_821:
	s_andn2_b32 vcc_lo, exec_lo, s27
	s_cbranch_vccnz .LBB7_831
; %bb.822:
	global_load_ubyte v4, v[0:1], off
	s_mov_b32 s27, 0
	s_mov_b32 s28, exec_lo
	s_waitcnt vmcnt(0)
	v_cmpx_lt_i16_e32 0x7f, v4
	s_xor_b32 s28, exec_lo, s28
	s_cbranch_execz .LBB7_826
; %bb.823:
	s_mov_b32 s27, -1
	s_mov_b32 s29, exec_lo
	v_cmpx_eq_u16_e32 0x80, v4
; %bb.824:
	s_xor_b32 s27, exec_lo, -1
; %bb.825:
	s_or_b32 exec_lo, exec_lo, s29
	s_and_b32 s27, s27, exec_lo
.LBB7_826:
	s_or_saveexec_b32 s28, s28
	v_bfrev_b32_e32 v2, 4
	v_mov_b32_e32 v3, 0x7ff80000
	s_xor_b32 exec_lo, exec_lo, s28
; %bb.827:
	v_cmp_ne_u16_e32 vcc_lo, 0, v4
	v_mov_b32_e32 v2, 0
	v_mov_b32_e32 v3, 0
	s_andn2_b32 s27, s27, exec_lo
	s_and_b32 s29, vcc_lo, exec_lo
	s_or_b32 s27, s27, s29
; %bb.828:
	s_or_b32 exec_lo, exec_lo, s28
	s_and_saveexec_b32 s28, s27
	s_cbranch_execz .LBB7_830
; %bb.829:
	v_and_b32_e32 v2, 0xffff, v4
	v_lshlrev_b32_e32 v4, 24, v4
	v_and_b32_e32 v3, 7, v2
	v_bfe_u32 v7, v2, 3, 4
	v_ffbh_u32_e32 v5, v3
	v_cmp_eq_u32_e32 vcc_lo, 0, v7
	v_min_u32_e32 v5, 32, v5
	v_subrev_nc_u32_e32 v6, 28, v5
	v_sub_nc_u32_e32 v5, 29, v5
	v_lshlrev_b32_e32 v2, v6, v2
	v_cndmask_b32_e32 v5, v7, v5, vcc_lo
	v_and_b32_e32 v2, 7, v2
	v_cndmask_b32_e32 v2, v3, v2, vcc_lo
	v_and_b32_e32 v3, 0x80000000, v4
	v_lshl_add_u32 v4, v5, 23, 0x3b800000
	v_lshlrev_b32_e32 v2, 20, v2
	v_or3_b32 v2, v3, v4, v2
	v_cvt_f64_f32_e32 v[2:3], v2
.LBB7_830:
	s_or_b32 exec_lo, exec_lo, s28
.LBB7_831:
	s_mov_b32 s27, -1
.LBB7_832:
	s_mov_b32 s28, 0
.LBB7_833:
	s_and_b32 vcc_lo, exec_lo, s28
	s_cbranch_vccz .LBB7_864
; %bb.834:
	s_cmp_gt_i32 s24, 22
	s_cbranch_scc0 .LBB7_846
; %bb.835:
	s_cmp_lt_i32 s24, 24
	s_cbranch_scc1 .LBB7_847
; %bb.836:
	s_cmp_gt_i32 s24, 24
	s_cbranch_scc0 .LBB7_848
; %bb.837:
	global_load_ubyte v4, v[0:1], off
	s_mov_b32 s27, exec_lo
	s_waitcnt vmcnt(0)
	v_cmpx_lt_i16_e32 0x7f, v4
	s_xor_b32 s27, exec_lo, s27
	s_cbranch_execz .LBB7_841
; %bb.838:
	s_mov_b32 s26, -1
	s_mov_b32 s28, exec_lo
	v_cmpx_eq_u16_e32 0x80, v4
; %bb.839:
	s_xor_b32 s26, exec_lo, -1
; %bb.840:
	s_or_b32 exec_lo, exec_lo, s28
	s_and_b32 s26, s26, exec_lo
.LBB7_841:
	s_or_saveexec_b32 s27, s27
	v_bfrev_b32_e32 v2, 4
	v_mov_b32_e32 v3, 0x7ff80000
	s_xor_b32 exec_lo, exec_lo, s27
; %bb.842:
	v_cmp_ne_u16_e32 vcc_lo, 0, v4
	v_mov_b32_e32 v2, 0
	v_mov_b32_e32 v3, 0
	s_andn2_b32 s26, s26, exec_lo
	s_and_b32 s28, vcc_lo, exec_lo
	s_or_b32 s26, s26, s28
; %bb.843:
	s_or_b32 exec_lo, exec_lo, s27
	s_and_saveexec_b32 s27, s26
	s_cbranch_execz .LBB7_845
; %bb.844:
	v_and_b32_e32 v2, 0xffff, v4
	v_lshlrev_b32_e32 v4, 24, v4
	v_and_b32_e32 v3, 3, v2
	v_bfe_u32 v7, v2, 2, 5
	v_ffbh_u32_e32 v5, v3
	v_cmp_eq_u32_e32 vcc_lo, 0, v7
	v_min_u32_e32 v5, 32, v5
	v_subrev_nc_u32_e32 v6, 29, v5
	v_sub_nc_u32_e32 v5, 30, v5
	v_lshlrev_b32_e32 v2, v6, v2
	v_cndmask_b32_e32 v5, v7, v5, vcc_lo
	v_and_b32_e32 v2, 3, v2
	v_cndmask_b32_e32 v2, v3, v2, vcc_lo
	v_and_b32_e32 v3, 0x80000000, v4
	v_lshl_add_u32 v4, v5, 23, 0x37800000
	v_lshlrev_b32_e32 v2, 21, v2
	v_or3_b32 v2, v3, v4, v2
	v_cvt_f64_f32_e32 v[2:3], v2
.LBB7_845:
	s_or_b32 exec_lo, exec_lo, s27
	s_mov_b32 s26, 0
	s_branch .LBB7_849
.LBB7_846:
	s_mov_b32 s26, -1
                                        ; implicit-def: $vgpr2_vgpr3
	s_branch .LBB7_855
.LBB7_847:
	s_mov_b32 s26, -1
                                        ; implicit-def: $vgpr2_vgpr3
	s_branch .LBB7_852
.LBB7_848:
	s_mov_b32 s26, -1
                                        ; implicit-def: $vgpr2_vgpr3
.LBB7_849:
	s_and_b32 vcc_lo, exec_lo, s26
	s_cbranch_vccz .LBB7_851
; %bb.850:
	global_load_ubyte v2, v[0:1], off
	s_waitcnt vmcnt(0)
	v_lshlrev_b32_e32 v2, 24, v2
	v_and_b32_e32 v3, 0x7f000000, v2
	v_ffbh_u32_e32 v4, v3
	v_add_nc_u32_e32 v6, 0x1000000, v3
	v_cmp_ne_u32_e32 vcc_lo, 0, v3
	v_min_u32_e32 v4, 32, v4
	v_sub_nc_u32_e64 v4, v4, 4 clamp
	v_lshlrev_b32_e32 v5, v4, v3
	v_lshlrev_b32_e32 v4, 23, v4
	v_lshrrev_b32_e32 v5, 4, v5
	v_sub_nc_u32_e32 v4, v5, v4
	v_ashrrev_i32_e32 v5, 8, v6
	v_add_nc_u32_e32 v4, 0x3c000000, v4
	v_and_or_b32 v4, 0x7f800000, v5, v4
	v_cndmask_b32_e32 v3, 0, v4, vcc_lo
	v_and_or_b32 v2, 0x80000000, v2, v3
	v_cvt_f64_f32_e32 v[2:3], v2
.LBB7_851:
	s_mov_b32 s26, 0
.LBB7_852:
	s_andn2_b32 vcc_lo, exec_lo, s26
	s_cbranch_vccnz .LBB7_854
; %bb.853:
	global_load_ubyte v2, v[0:1], off
	s_waitcnt vmcnt(0)
	v_lshlrev_b32_e32 v3, 25, v2
	v_lshlrev_b16 v2, 8, v2
	v_lshrrev_b32_e32 v4, 4, v3
	v_and_or_b32 v5, 0x7f00, v2, 0.5
	v_cmp_gt_u32_e32 vcc_lo, 0x8000000, v3
	v_bfe_i32 v2, v2, 0, 16
	v_or_b32_e32 v4, 0x70000000, v4
	v_add_f32_e32 v5, -0.5, v5
	v_mul_f32_e32 v4, 0x7800000, v4
	v_cndmask_b32_e32 v3, v4, v5, vcc_lo
	v_and_or_b32 v2, 0x80000000, v2, v3
	v_cvt_f64_f32_e32 v[2:3], v2
.LBB7_854:
	s_mov_b32 s26, 0
	s_mov_b32 s27, -1
.LBB7_855:
	s_andn2_b32 vcc_lo, exec_lo, s26
	s_mov_b32 s26, 0
	s_cbranch_vccnz .LBB7_864
; %bb.856:
	s_cmp_gt_i32 s24, 14
	s_cbranch_scc0 .LBB7_859
; %bb.857:
	s_cmp_eq_u32 s24, 15
	s_cbranch_scc0 .LBB7_860
; %bb.858:
	global_load_ushort v2, v[0:1], off
	s_mov_b32 s25, 0
	s_mov_b32 s27, -1
	s_waitcnt vmcnt(0)
	v_lshlrev_b32_e32 v2, 16, v2
	v_cvt_f64_f32_e32 v[2:3], v2
	s_branch .LBB7_862
.LBB7_859:
	s_mov_b32 s26, -1
	s_branch .LBB7_861
.LBB7_860:
	s_mov_b32 s25, -1
.LBB7_861:
                                        ; implicit-def: $vgpr2_vgpr3
.LBB7_862:
	s_and_b32 vcc_lo, exec_lo, s26
	s_mov_b32 s26, 0
	s_cbranch_vccz .LBB7_864
; %bb.863:
	s_cmp_lg_u32 s24, 11
	s_mov_b32 s26, -1
	s_cselect_b32 s24, -1, 0
	s_andn2_b32 s25, s25, exec_lo
	s_and_b32 s24, s24, exec_lo
	s_or_b32 s25, s25, s24
.LBB7_864:
	s_mov_b32 s24, 0
.LBB7_865:
	s_andn2_b32 s29, s0, exec_lo
	s_and_b32 s25, s25, exec_lo
	s_and_b32 s27, s27, exec_lo
	;; [unrolled: 1-line block ×4, first 2 shown]
	s_or_b32 s25, s29, s25
.LBB7_866:
	s_or_b32 exec_lo, exec_lo, s16
	s_andn2_b32 s0, s0, exec_lo
	s_and_b32 s16, s25, exec_lo
	s_and_b32 s27, s27, exec_lo
	s_and_b32 s26, s28, exec_lo
	s_and_b32 s25, s24, exec_lo
	s_or_b32 s0, s0, s16
.LBB7_867:
	s_or_b32 exec_lo, exec_lo, s22
	s_andn2_b32 s16, s20, exec_lo
	s_and_b32 s20, s23, exec_lo
	s_and_b32 s0, s0, exec_lo
	s_or_b32 s20, s16, s20
	s_andn2_b32 s16, s19, exec_lo
	s_and_b32 s24, s27, exec_lo
	s_and_b32 s23, s26, exec_lo
	;; [unrolled: 1-line block ×3, first 2 shown]
	s_or_b32 s19, s16, s0
.LBB7_868:
	s_or_b32 exec_lo, exec_lo, s21
	s_andn2_b32 s0, s7, exec_lo
	s_and_b32 s7, s20, exec_lo
	s_andn2_b32 s16, s17, exec_lo
	s_and_b32 s17, s19, exec_lo
	s_or_b32 s7, s0, s7
	s_and_b32 s0, s24, exec_lo
	s_and_b32 s20, s23, exec_lo
	;; [unrolled: 1-line block ×3, first 2 shown]
	s_or_b32 s17, s16, s17
	s_or_b32 exec_lo, exec_lo, s18
	s_mov_b32 s16, 0
	s_and_saveexec_b32 s18, s17
	s_cbranch_execz .LBB7_264
.LBB7_869:
	s_mov_b32 s16, exec_lo
	s_andn2_b32 s19, s19, exec_lo
	s_trap 2
	s_or_b32 exec_lo, exec_lo, s18
	s_and_saveexec_b32 s17, s19
	s_xor_b32 s17, exec_lo, s17
	s_cbranch_execnz .LBB7_265
.LBB7_870:
	s_or_b32 exec_lo, exec_lo, s17
	s_and_saveexec_b32 s17, s20
	s_cbranch_execz .LBB7_916
.LBB7_871:
	s_sext_i32_i16 s18, s5
	s_cmp_lt_i32 s18, 5
	s_cbranch_scc1 .LBB7_876
; %bb.872:
	s_cmp_lt_i32 s18, 8
	s_cbranch_scc1 .LBB7_877
; %bb.873:
	;; [unrolled: 3-line block ×3, first 2 shown]
	s_cmp_gt_i32 s18, 9
	s_cbranch_scc0 .LBB7_879
; %bb.875:
	global_load_dwordx2 v[2:3], v[0:1], off
	s_mov_b32 s18, 0
	s_branch .LBB7_880
.LBB7_876:
                                        ; implicit-def: $vgpr2_vgpr3
	s_branch .LBB7_897
.LBB7_877:
                                        ; implicit-def: $vgpr2_vgpr3
	s_branch .LBB7_886
.LBB7_878:
	s_mov_b32 s18, -1
                                        ; implicit-def: $vgpr2_vgpr3
	s_branch .LBB7_883
.LBB7_879:
	s_mov_b32 s18, -1
                                        ; implicit-def: $vgpr2_vgpr3
.LBB7_880:
	s_andn2_b32 vcc_lo, exec_lo, s18
	s_cbranch_vccnz .LBB7_882
; %bb.881:
	global_load_dword v2, v[0:1], off
	s_waitcnt vmcnt(0)
	v_cvt_f64_f32_e32 v[2:3], v2
.LBB7_882:
	s_mov_b32 s18, 0
.LBB7_883:
	s_andn2_b32 vcc_lo, exec_lo, s18
	s_cbranch_vccnz .LBB7_885
; %bb.884:
	global_load_dword v2, v[0:1], off
	s_waitcnt vmcnt(0)
	v_cvt_f32_f16_e32 v2, v2
	v_cvt_f64_f32_e32 v[2:3], v2
.LBB7_885:
	s_cbranch_execnz .LBB7_896
.LBB7_886:
	s_sext_i32_i16 s18, s5
	s_cmp_lt_i32 s18, 6
	s_cbranch_scc1 .LBB7_889
; %bb.887:
	s_cmp_gt_i32 s18, 6
	s_cbranch_scc0 .LBB7_890
; %bb.888:
	global_load_dwordx2 v[2:3], v[0:1], off
	s_mov_b32 s18, 0
	s_branch .LBB7_891
.LBB7_889:
	s_mov_b32 s18, -1
                                        ; implicit-def: $vgpr2_vgpr3
	s_branch .LBB7_894
.LBB7_890:
	s_mov_b32 s18, -1
                                        ; implicit-def: $vgpr2_vgpr3
.LBB7_891:
	s_andn2_b32 vcc_lo, exec_lo, s18
	s_cbranch_vccnz .LBB7_893
; %bb.892:
	global_load_dword v2, v[0:1], off
	s_waitcnt vmcnt(0)
	v_cvt_f64_f32_e32 v[2:3], v2
.LBB7_893:
	s_mov_b32 s18, 0
.LBB7_894:
	s_andn2_b32 vcc_lo, exec_lo, s18
	s_cbranch_vccnz .LBB7_896
; %bb.895:
	global_load_ushort v2, v[0:1], off
	s_waitcnt vmcnt(0)
	v_cvt_f32_f16_e32 v2, v2
	v_cvt_f64_f32_e32 v[2:3], v2
.LBB7_896:
	s_cbranch_execnz .LBB7_915
.LBB7_897:
	s_sext_i32_i16 s18, s5
	s_cmp_lt_i32 s18, 2
	s_cbranch_scc1 .LBB7_901
; %bb.898:
	s_cmp_lt_i32 s18, 3
	s_cbranch_scc1 .LBB7_902
; %bb.899:
	s_cmp_gt_i32 s18, 3
	s_cbranch_scc0 .LBB7_903
; %bb.900:
	global_load_dwordx2 v[2:3], v[0:1], off
	s_mov_b32 s18, 0
	s_waitcnt vmcnt(0)
	v_cvt_f64_i32_e32 v[3:4], v3
	v_cvt_f64_u32_e32 v[5:6], v2
	v_ldexp_f64 v[3:4], v[3:4], 32
	v_add_f64 v[2:3], v[3:4], v[5:6]
	s_branch .LBB7_904
.LBB7_901:
                                        ; implicit-def: $vgpr2_vgpr3
	s_branch .LBB7_910
.LBB7_902:
	s_mov_b32 s18, -1
                                        ; implicit-def: $vgpr2_vgpr3
	s_branch .LBB7_907
.LBB7_903:
	s_mov_b32 s18, -1
                                        ; implicit-def: $vgpr2_vgpr3
.LBB7_904:
	s_andn2_b32 vcc_lo, exec_lo, s18
	s_cbranch_vccnz .LBB7_906
; %bb.905:
	global_load_dword v2, v[0:1], off
	s_waitcnt vmcnt(0)
	v_cvt_f64_i32_e32 v[2:3], v2
.LBB7_906:
	s_mov_b32 s18, 0
.LBB7_907:
	s_andn2_b32 vcc_lo, exec_lo, s18
	s_cbranch_vccnz .LBB7_909
; %bb.908:
	global_load_sshort v2, v[0:1], off
	s_waitcnt vmcnt(0)
	v_cvt_f64_i32_e32 v[2:3], v2
.LBB7_909:
	s_cbranch_execnz .LBB7_915
.LBB7_910:
	s_sext_i32_i16 s18, s5
	s_cmp_gt_i32 s18, 0
	s_mov_b32 s18, 0
	s_cbranch_scc0 .LBB7_912
; %bb.911:
	global_load_sbyte v2, v[0:1], off
	s_waitcnt vmcnt(0)
	v_cvt_f64_i32_e32 v[2:3], v2
	s_branch .LBB7_913
.LBB7_912:
	s_mov_b32 s18, -1
                                        ; implicit-def: $vgpr2_vgpr3
.LBB7_913:
	s_andn2_b32 vcc_lo, exec_lo, s18
	s_cbranch_vccnz .LBB7_915
; %bb.914:
	global_load_ubyte v0, v[0:1], off
	s_waitcnt vmcnt(0)
	v_cvt_f64_u32_e32 v[2:3], v0
.LBB7_915:
	s_or_b32 s0, s0, exec_lo
.LBB7_916:
	s_or_b32 exec_lo, exec_lo, s17
	s_mov_b32 s20, 0
	s_mov_b32 s19, 0
                                        ; implicit-def: $sgpr17
                                        ; implicit-def: $vgpr4_vgpr5
                                        ; implicit-def: $vgpr0_vgpr1
	s_and_saveexec_b32 s18, s0
	s_cbranch_execz .LBB7_926
; %bb.917:
	s_waitcnt vmcnt(0)
	v_cvt_f32_f64_e32 v0, v[2:3]
	s_mov_b32 s0, exec_lo
	v_cmpx_nlg_f32_e64 0x7f800000, |v0|
	s_cbranch_execz .LBB7_919
; %bb.918:
	v_mov_b32_e32 v0, 0
	v_mov_b32_e32 v1, 1.0
	global_store_dword v0, v1, s[12:13]
.LBB7_919:
	s_or_b32 exec_lo, exec_lo, s0
	v_mov_b32_e32 v0, 0
	v_mul_lo_u32 v5, v16, s2
	s_and_b32 s17, s1, 0xff
	s_cmp_lt_i32 s17, 11
	global_load_dword v4, v0, s[14:15]
	v_ashrrev_i32_e32 v6, 31, v5
	s_waitcnt vmcnt(0)
	v_cvt_f64_f32_e32 v[0:1], v4
	v_cmp_eq_f32_e32 vcc_lo, 1.0, v4
	v_add_co_u32 v4, s0, s8, v5
	v_add_co_ci_u32_e64 v5, null, s9, v6, s0
	v_mul_f64 v[0:1], v[2:3], v[0:1]
	v_cndmask_b32_e32 v1, v1, v3, vcc_lo
	v_cndmask_b32_e32 v0, v0, v2, vcc_lo
	s_cbranch_scc1 .LBB7_929
; %bb.920:
	s_and_b32 s19, 0xffff, s17
	s_mov_b32 s20, -1
	s_cmp_gt_i32 s19, 25
	s_mov_b32 s0, s7
	s_cbranch_scc0 .LBB7_957
; %bb.921:
	s_cmp_gt_i32 s19, 28
	s_mov_b32 s0, s7
	s_cbranch_scc0 .LBB7_941
; %bb.922:
	;; [unrolled: 4-line block ×4, first 2 shown]
	s_cmp_eq_u32 s19, 46
	s_mov_b32 s0, -1
	s_cbranch_scc0 .LBB7_930
; %bb.925:
	v_cvt_f32_f64_e32 v2, v[0:1]
	s_mov_b32 s0, 0
	s_mov_b32 s20, 0
	v_bfe_u32 v3, v2, 16, 1
	v_cmp_o_f32_e32 vcc_lo, v2, v2
	v_add3_u32 v2, v2, v3, 0x7fff
	v_mov_b32_e32 v3, 0x7fc0
	v_cndmask_b32_sdwa v2, v3, v2, vcc_lo dst_sel:DWORD dst_unused:UNUSED_PAD src0_sel:DWORD src1_sel:WORD_1
	global_store_dword v[4:5], v2, off
	s_branch .LBB7_931
.LBB7_926:
	s_or_b32 exec_lo, exec_lo, s18
	s_and_saveexec_b32 s0, s7
	s_cbranch_execnz .LBB7_999
.LBB7_927:
	s_or_b32 exec_lo, exec_lo, s0
	s_and_saveexec_b32 s0, s20
	s_xor_b32 s0, exec_lo, s0
	s_cbranch_execz .LBB7_1000
.LBB7_928:
	v_cmp_neq_f64_e32 vcc_lo, 0, v[0:1]
	s_waitcnt vmcnt(0)
	v_cndmask_b32_e64 v2, 0, 1, vcc_lo
	global_store_byte v[4:5], v2, off
	s_or_b32 exec_lo, exec_lo, s0
	s_and_saveexec_b32 s0, s19
	s_xor_b32 s0, exec_lo, s0
	s_cbranch_execz .LBB7_1038
	s_branch .LBB7_1001
.LBB7_929:
	s_mov_b32 s21, 0
	s_mov_b32 s20, -1
	s_mov_b32 s0, s7
	s_branch .LBB7_998
.LBB7_930:
	s_mov_b32 s20, 0
.LBB7_931:
	s_and_b32 vcc_lo, exec_lo, s20
	s_cbranch_vccz .LBB7_936
; %bb.932:
	s_cmp_eq_u32 s19, 44
	s_mov_b32 s0, -1
	s_cbranch_scc0 .LBB7_936
; %bb.933:
	v_cvt_f32_f64_e32 v2, v[0:1]
	v_mov_b32_e32 v3, 0xff
	s_mov_b32 s20, exec_lo
	v_bfe_u32 v6, v2, 23, 8
	v_cmpx_ne_u32_e32 0xff, v6
	s_cbranch_execz .LBB7_935
; %bb.934:
	v_and_b32_e32 v3, 0x400000, v2
	v_and_or_b32 v6, 0x3fffff, v2, v6
	v_lshrrev_b32_e32 v2, 23, v2
	v_cmp_ne_u32_e32 vcc_lo, 0, v3
	v_cmp_ne_u32_e64 s0, 0, v6
	s_and_b32 s0, vcc_lo, s0
	v_cndmask_b32_e64 v3, 0, 1, s0
	v_add_nc_u32_e32 v3, v2, v3
.LBB7_935:
	s_or_b32 exec_lo, exec_lo, s20
	s_mov_b32 s0, 0
	global_store_byte v[4:5], v3, off
.LBB7_936:
	s_mov_b32 s20, 0
.LBB7_937:
	s_and_b32 vcc_lo, exec_lo, s20
	s_cbranch_vccz .LBB7_940
; %bb.938:
	s_cmp_eq_u32 s19, 29
	s_mov_b32 s0, -1
	s_cbranch_scc0 .LBB7_940
; %bb.939:
	v_trunc_f64_e32 v[2:3], v[0:1]
	s_mov_b32 s0, 0
	s_mov_b32 s20, 0
	v_ldexp_f64 v[6:7], v[2:3], 0xffffffe0
	v_floor_f64_e32 v[6:7], v[6:7]
	v_fma_f64 v[2:3], 0xc1f00000, v[6:7], v[2:3]
	v_cvt_u32_f64_e32 v7, v[6:7]
	v_cvt_u32_f64_e32 v6, v[2:3]
	global_store_dwordx2 v[4:5], v[6:7], off
	s_branch .LBB7_941
.LBB7_940:
	s_mov_b32 s20, 0
.LBB7_941:
	s_and_b32 vcc_lo, exec_lo, s20
	s_cbranch_vccz .LBB7_956
; %bb.942:
	s_cmp_lt_i32 s19, 27
	s_mov_b32 s20, -1
	s_cbranch_scc1 .LBB7_948
; %bb.943:
	v_cvt_u32_f64_e32 v2, v[0:1]
	s_cmp_gt_i32 s19, 27
	s_cbranch_scc0 .LBB7_945
; %bb.944:
	s_mov_b32 s20, 0
	global_store_dword v[4:5], v2, off
.LBB7_945:
	s_andn2_b32 vcc_lo, exec_lo, s20
	s_cbranch_vccnz .LBB7_947
; %bb.946:
	global_store_short v[4:5], v2, off
.LBB7_947:
	s_mov_b32 s20, 0
.LBB7_948:
	s_andn2_b32 vcc_lo, exec_lo, s20
	s_cbranch_vccnz .LBB7_956
; %bb.949:
	v_cvt_f32_f64_e32 v2, v[0:1]
	v_mov_b32_e32 v6, 0x80
	s_mov_b32 s20, exec_lo
	v_and_b32_e32 v3, 0x7fffffff, v2
	v_cmpx_gt_u32_e32 0x43800000, v3
	s_cbranch_execz .LBB7_955
; %bb.950:
	v_cmp_lt_u32_e32 vcc_lo, 0x3bffffff, v3
	s_mov_b32 s21, 0
                                        ; implicit-def: $vgpr3
	s_and_saveexec_b32 s22, vcc_lo
	s_xor_b32 s22, exec_lo, s22
	s_cbranch_execz .LBB7_1053
; %bb.951:
	v_bfe_u32 v3, v2, 20, 1
	s_mov_b32 s21, exec_lo
	v_add3_u32 v3, v2, v3, 0x487ffff
	v_lshrrev_b32_e32 v3, 20, v3
	s_andn2_saveexec_b32 s22, s22
	s_cbranch_execnz .LBB7_1054
.LBB7_952:
	s_or_b32 exec_lo, exec_lo, s22
	v_mov_b32_e32 v6, 0
	s_and_saveexec_b32 s22, s21
.LBB7_953:
	v_lshrrev_b32_e32 v2, 24, v2
	v_and_or_b32 v6, 0x80, v2, v3
.LBB7_954:
	s_or_b32 exec_lo, exec_lo, s22
.LBB7_955:
	s_or_b32 exec_lo, exec_lo, s20
	global_store_byte v[4:5], v6, off
.LBB7_956:
	s_mov_b32 s20, 0
.LBB7_957:
	s_and_b32 vcc_lo, exec_lo, s20
	s_mov_b32 s20, 0
	s_cbranch_vccz .LBB7_997
; %bb.958:
	s_cmp_gt_i32 s19, 22
	s_mov_b32 s21, -1
	s_cbranch_scc0 .LBB7_990
; %bb.959:
	s_cmp_lt_i32 s19, 24
	s_cbranch_scc1 .LBB7_979
; %bb.960:
	s_cmp_gt_i32 s19, 24
	s_cbranch_scc0 .LBB7_968
; %bb.961:
	v_cvt_f32_f64_e32 v2, v[0:1]
	v_mov_b32_e32 v6, 0x80
	s_mov_b32 s21, exec_lo
	v_and_b32_e32 v3, 0x7fffffff, v2
	v_cmpx_gt_u32_e32 0x47800000, v3
	s_cbranch_execz .LBB7_967
; %bb.962:
	v_cmp_lt_u32_e32 vcc_lo, 0x37ffffff, v3
	s_mov_b32 s22, 0
                                        ; implicit-def: $vgpr3
	s_and_saveexec_b32 s23, vcc_lo
	s_xor_b32 s23, exec_lo, s23
	s_cbranch_execz .LBB7_1181
; %bb.963:
	v_bfe_u32 v3, v2, 21, 1
	s_mov_b32 s22, exec_lo
	v_add3_u32 v3, v2, v3, 0x88fffff
	v_lshrrev_b32_e32 v3, 21, v3
	s_andn2_saveexec_b32 s23, s23
	s_cbranch_execnz .LBB7_1182
.LBB7_964:
	s_or_b32 exec_lo, exec_lo, s23
	v_mov_b32_e32 v6, 0
	s_and_saveexec_b32 s23, s22
.LBB7_965:
	v_lshrrev_b32_e32 v2, 24, v2
	v_and_or_b32 v6, 0x80, v2, v3
.LBB7_966:
	s_or_b32 exec_lo, exec_lo, s23
.LBB7_967:
	s_or_b32 exec_lo, exec_lo, s21
	s_mov_b32 s21, 0
	global_store_byte v[4:5], v6, off
.LBB7_968:
	s_and_b32 vcc_lo, exec_lo, s21
	s_cbranch_vccz .LBB7_978
; %bb.969:
	v_cvt_f32_f64_e32 v2, v[0:1]
	s_mov_b32 s21, exec_lo
                                        ; implicit-def: $vgpr3
	v_and_b32_e32 v6, 0x7fffffff, v2
	v_cmpx_gt_u32_e32 0x43f00000, v6
	s_xor_b32 s21, exec_lo, s21
	s_cbranch_execz .LBB7_975
; %bb.970:
	s_mov_b32 s22, exec_lo
                                        ; implicit-def: $vgpr3
	v_cmpx_lt_u32_e32 0x3c7fffff, v6
	s_xor_b32 s22, exec_lo, s22
; %bb.971:
	v_bfe_u32 v3, v2, 20, 1
	v_add3_u32 v3, v2, v3, 0x407ffff
	v_and_b32_e32 v6, 0xff00000, v3
	v_lshrrev_b32_e32 v3, 20, v3
	v_cmp_ne_u32_e32 vcc_lo, 0x7f00000, v6
	v_cndmask_b32_e32 v3, 0x7e, v3, vcc_lo
; %bb.972:
	s_andn2_saveexec_b32 s22, s22
; %bb.973:
	v_add_f32_e64 v3, 0x46800000, |v2|
; %bb.974:
	s_or_b32 exec_lo, exec_lo, s22
                                        ; implicit-def: $vgpr6
.LBB7_975:
	s_andn2_saveexec_b32 s21, s21
; %bb.976:
	v_mov_b32_e32 v3, 0x7f
	v_cmp_lt_u32_e32 vcc_lo, 0x7f800000, v6
	v_cndmask_b32_e32 v3, 0x7e, v3, vcc_lo
; %bb.977:
	s_or_b32 exec_lo, exec_lo, s21
	v_lshrrev_b32_e32 v2, 24, v2
	v_and_or_b32 v2, 0x80, v2, v3
	global_store_byte v[4:5], v2, off
.LBB7_978:
	s_mov_b32 s21, 0
.LBB7_979:
	s_andn2_b32 vcc_lo, exec_lo, s21
	s_cbranch_vccnz .LBB7_989
; %bb.980:
	v_cvt_f32_f64_e32 v2, v[0:1]
	s_mov_b32 s21, exec_lo
                                        ; implicit-def: $vgpr3
	v_and_b32_e32 v6, 0x7fffffff, v2
	v_cmpx_gt_u32_e32 0x47800000, v6
	s_xor_b32 s21, exec_lo, s21
	s_cbranch_execz .LBB7_986
; %bb.981:
	s_mov_b32 s22, exec_lo
                                        ; implicit-def: $vgpr3
	v_cmpx_lt_u32_e32 0x387fffff, v6
	s_xor_b32 s22, exec_lo, s22
; %bb.982:
	v_bfe_u32 v3, v2, 21, 1
	v_add3_u32 v3, v2, v3, 0x80fffff
	v_lshrrev_b32_e32 v3, 21, v3
; %bb.983:
	s_andn2_saveexec_b32 s22, s22
; %bb.984:
	v_add_f32_e64 v3, 0x43000000, |v2|
; %bb.985:
	s_or_b32 exec_lo, exec_lo, s22
                                        ; implicit-def: $vgpr6
.LBB7_986:
	s_andn2_saveexec_b32 s21, s21
; %bb.987:
	v_mov_b32_e32 v3, 0x7f
	v_cmp_lt_u32_e32 vcc_lo, 0x7f800000, v6
	v_cndmask_b32_e32 v3, 0x7c, v3, vcc_lo
; %bb.988:
	s_or_b32 exec_lo, exec_lo, s21
	v_lshrrev_b32_e32 v2, 24, v2
	v_and_or_b32 v2, 0x80, v2, v3
	global_store_byte v[4:5], v2, off
.LBB7_989:
	s_mov_b32 s21, 0
.LBB7_990:
	s_andn2_b32 vcc_lo, exec_lo, s21
	s_mov_b32 s21, 0
	s_cbranch_vccnz .LBB7_998
; %bb.991:
	s_cmp_gt_i32 s19, 14
	s_mov_b32 s21, -1
	s_cbranch_scc0 .LBB7_995
; %bb.992:
	s_cmp_eq_u32 s19, 15
	s_mov_b32 s0, -1
	s_cbranch_scc0 .LBB7_994
; %bb.993:
	v_cvt_f32_f64_e32 v2, v[0:1]
	s_mov_b32 s0, 0
	v_bfe_u32 v3, v2, 16, 1
	v_cmp_o_f32_e32 vcc_lo, v2, v2
	v_add3_u32 v2, v2, v3, 0x7fff
	v_mov_b32_e32 v3, 0x7fc0
	v_cndmask_b32_sdwa v2, v3, v2, vcc_lo dst_sel:DWORD dst_unused:UNUSED_PAD src0_sel:DWORD src1_sel:WORD_1
	global_store_short v[4:5], v2, off
.LBB7_994:
	s_mov_b32 s21, 0
.LBB7_995:
	s_and_b32 vcc_lo, exec_lo, s21
	s_mov_b32 s21, 0
	s_cbranch_vccz .LBB7_998
; %bb.996:
	s_cmp_lg_u32 s19, 11
	s_mov_b32 s21, -1
	s_cselect_b32 s19, -1, 0
	s_andn2_b32 s0, s0, exec_lo
	s_and_b32 s19, s19, exec_lo
	s_or_b32 s0, s0, s19
	s_branch .LBB7_998
.LBB7_997:
	s_mov_b32 s21, 0
.LBB7_998:
	s_andn2_b32 s7, s7, exec_lo
	s_and_b32 s0, s0, exec_lo
	s_and_b32 s19, s20, exec_lo
	;; [unrolled: 1-line block ×3, first 2 shown]
	s_or_b32 s7, s7, s0
	s_or_b32 exec_lo, exec_lo, s18
	s_and_saveexec_b32 s0, s7
	s_cbranch_execz .LBB7_927
.LBB7_999:
	s_or_b32 s16, s16, exec_lo
	s_andn2_b32 s20, s20, exec_lo
	s_trap 2
	s_or_b32 exec_lo, exec_lo, s0
	s_and_saveexec_b32 s0, s20
	s_xor_b32 s0, exec_lo, s0
	s_cbranch_execnz .LBB7_928
.LBB7_1000:
	s_or_b32 exec_lo, exec_lo, s0
	s_and_saveexec_b32 s0, s19
	s_xor_b32 s0, exec_lo, s0
	s_cbranch_execz .LBB7_1038
.LBB7_1001:
	s_sext_i32_i16 s18, s17
	s_mov_b32 s7, -1
	s_cmp_lt_i32 s18, 5
	s_cbranch_scc1 .LBB7_1022
; %bb.1002:
	s_cmp_lt_i32 s18, 8
	s_cbranch_scc1 .LBB7_1012
; %bb.1003:
	;; [unrolled: 3-line block ×3, first 2 shown]
	s_cmp_gt_i32 s18, 9
	s_cbranch_scc0 .LBB7_1006
; %bb.1005:
	s_waitcnt vmcnt(0)
	v_mov_b32_e32 v2, 0
	s_mov_b32 s7, 0
	v_mov_b32_e32 v3, v2
	global_store_dwordx4 v[4:5], v[0:3], off
.LBB7_1006:
	s_andn2_b32 vcc_lo, exec_lo, s7
	s_cbranch_vccnz .LBB7_1008
; %bb.1007:
	s_waitcnt vmcnt(0)
	v_cvt_f32_f64_e32 v2, v[0:1]
	v_mov_b32_e32 v3, 0
	global_store_dwordx2 v[4:5], v[2:3], off
.LBB7_1008:
	s_mov_b32 s7, 0
.LBB7_1009:
	s_andn2_b32 vcc_lo, exec_lo, s7
	s_cbranch_vccnz .LBB7_1011
; %bb.1010:
	s_waitcnt vmcnt(0)
	v_and_or_b32 v2, 0x1ff, v1, v0
	v_lshrrev_b32_e32 v3, 8, v1
	v_bfe_u32 v6, v1, 20, 11
	v_cmp_ne_u32_e32 vcc_lo, 0, v2
	v_sub_nc_u32_e32 v7, 0x3f1, v6
	v_add_nc_u32_e32 v6, 0xfffffc10, v6
	v_cndmask_b32_e64 v2, 0, 1, vcc_lo
	v_and_or_b32 v2, 0xffe, v3, v2
	v_med3_i32 v3, v7, 0, 13
	v_or_b32_e32 v7, 0x1000, v2
	v_lshrrev_b32_e32 v8, v3, v7
	v_lshlrev_b32_e32 v3, v3, v8
	v_cmp_ne_u32_e32 vcc_lo, v3, v7
	v_lshl_or_b32 v7, v6, 12, v2
	v_cndmask_b32_e64 v3, 0, 1, vcc_lo
	v_cmp_gt_i32_e32 vcc_lo, 1, v6
	v_or_b32_e32 v3, v8, v3
	v_cndmask_b32_e32 v3, v7, v3, vcc_lo
	v_and_b32_e32 v7, 7, v3
	v_lshrrev_b32_e32 v3, 2, v3
	v_cmp_lt_i32_e32 vcc_lo, 5, v7
	v_cndmask_b32_e64 v8, 0, 1, vcc_lo
	v_cmp_eq_u32_e32 vcc_lo, 3, v7
	v_cndmask_b32_e64 v7, 0, 1, vcc_lo
	v_cmp_ne_u32_e32 vcc_lo, 0, v2
	v_or_b32_e32 v7, v7, v8
	v_mov_b32_e32 v8, 0x7e00
	v_add_nc_u32_e32 v3, v3, v7
	v_cndmask_b32_e32 v2, 0x7c00, v8, vcc_lo
	v_cmp_gt_i32_e32 vcc_lo, 31, v6
	v_cndmask_b32_e32 v3, 0x7c00, v3, vcc_lo
	v_cmp_eq_u32_e32 vcc_lo, 0x40f, v6
	v_cndmask_b32_e32 v2, v3, v2, vcc_lo
	v_lshrrev_b32_e32 v3, 16, v1
	v_and_or_b32 v2, 0x8000, v3, v2
	v_and_b32_e32 v2, 0xffff, v2
	global_store_dword v[4:5], v2, off
.LBB7_1011:
	s_mov_b32 s7, 0
.LBB7_1012:
	s_andn2_b32 vcc_lo, exec_lo, s7
	s_cbranch_vccnz .LBB7_1021
; %bb.1013:
	s_sext_i32_i16 s18, s17
	s_mov_b32 s7, -1
	s_cmp_lt_i32 s18, 6
	s_cbranch_scc1 .LBB7_1019
; %bb.1014:
	s_cmp_gt_i32 s18, 6
	s_cbranch_scc0 .LBB7_1016
; %bb.1015:
	s_mov_b32 s7, 0
	global_store_dwordx2 v[4:5], v[0:1], off
.LBB7_1016:
	s_andn2_b32 vcc_lo, exec_lo, s7
	s_cbranch_vccnz .LBB7_1018
; %bb.1017:
	s_waitcnt vmcnt(0)
	v_cvt_f32_f64_e32 v2, v[0:1]
	global_store_dword v[4:5], v2, off
.LBB7_1018:
	s_mov_b32 s7, 0
.LBB7_1019:
	s_andn2_b32 vcc_lo, exec_lo, s7
	s_cbranch_vccnz .LBB7_1021
; %bb.1020:
	s_waitcnt vmcnt(0)
	v_and_or_b32 v2, 0x1ff, v1, v0
	v_lshrrev_b32_e32 v3, 8, v1
	v_bfe_u32 v6, v1, 20, 11
	v_cmp_ne_u32_e32 vcc_lo, 0, v2
	v_sub_nc_u32_e32 v7, 0x3f1, v6
	v_add_nc_u32_e32 v6, 0xfffffc10, v6
	v_cndmask_b32_e64 v2, 0, 1, vcc_lo
	v_and_or_b32 v2, 0xffe, v3, v2
	v_med3_i32 v3, v7, 0, 13
	v_or_b32_e32 v7, 0x1000, v2
	v_lshrrev_b32_e32 v8, v3, v7
	v_lshlrev_b32_e32 v3, v3, v8
	v_cmp_ne_u32_e32 vcc_lo, v3, v7
	v_lshl_or_b32 v7, v6, 12, v2
	v_cndmask_b32_e64 v3, 0, 1, vcc_lo
	v_cmp_gt_i32_e32 vcc_lo, 1, v6
	v_or_b32_e32 v3, v8, v3
	v_cndmask_b32_e32 v3, v7, v3, vcc_lo
	v_and_b32_e32 v7, 7, v3
	v_lshrrev_b32_e32 v3, 2, v3
	v_cmp_lt_i32_e32 vcc_lo, 5, v7
	v_cndmask_b32_e64 v8, 0, 1, vcc_lo
	v_cmp_eq_u32_e32 vcc_lo, 3, v7
	v_cndmask_b32_e64 v7, 0, 1, vcc_lo
	v_cmp_ne_u32_e32 vcc_lo, 0, v2
	v_or_b32_e32 v7, v7, v8
	v_mov_b32_e32 v8, 0x7e00
	v_add_nc_u32_e32 v3, v3, v7
	v_cndmask_b32_e32 v2, 0x7c00, v8, vcc_lo
	v_cmp_gt_i32_e32 vcc_lo, 31, v6
	v_cndmask_b32_e32 v3, 0x7c00, v3, vcc_lo
	v_cmp_eq_u32_e32 vcc_lo, 0x40f, v6
	v_cndmask_b32_e32 v2, v3, v2, vcc_lo
	v_lshrrev_b32_e32 v3, 16, v1
	v_and_or_b32 v2, 0x8000, v3, v2
	global_store_short v[4:5], v2, off
.LBB7_1021:
	s_mov_b32 s7, 0
.LBB7_1022:
	s_andn2_b32 vcc_lo, exec_lo, s7
	s_cbranch_vccnz .LBB7_1038
; %bb.1023:
	s_sext_i32_i16 s18, s17
	s_mov_b32 s7, -1
	s_cmp_lt_i32 s18, 2
	s_cbranch_scc1 .LBB7_1033
; %bb.1024:
	s_cmp_lt_i32 s18, 3
	s_cbranch_scc1 .LBB7_1030
; %bb.1025:
	s_cmp_gt_i32 s18, 3
	s_cbranch_scc0 .LBB7_1027
; %bb.1026:
	s_waitcnt vmcnt(0)
	v_trunc_f64_e32 v[2:3], v[0:1]
	s_mov_b32 s7, 0
	v_ldexp_f64 v[6:7], v[2:3], 0xffffffe0
	v_floor_f64_e32 v[6:7], v[6:7]
	v_fma_f64 v[2:3], 0xc1f00000, v[6:7], v[2:3]
	v_cvt_i32_f64_e32 v7, v[6:7]
	v_cvt_u32_f64_e32 v6, v[2:3]
	global_store_dwordx2 v[4:5], v[6:7], off
.LBB7_1027:
	s_andn2_b32 vcc_lo, exec_lo, s7
	s_cbranch_vccnz .LBB7_1029
; %bb.1028:
	s_waitcnt vmcnt(0)
	v_cvt_i32_f64_e32 v2, v[0:1]
	global_store_dword v[4:5], v2, off
.LBB7_1029:
	s_mov_b32 s7, 0
.LBB7_1030:
	s_andn2_b32 vcc_lo, exec_lo, s7
	s_cbranch_vccnz .LBB7_1032
; %bb.1031:
	s_waitcnt vmcnt(0)
	v_cvt_i32_f64_e32 v2, v[0:1]
	global_store_short v[4:5], v2, off
.LBB7_1032:
	s_mov_b32 s7, 0
.LBB7_1033:
	s_andn2_b32 vcc_lo, exec_lo, s7
	s_cbranch_vccnz .LBB7_1038
; %bb.1034:
	s_sext_i32_i16 s7, s17
	s_cmp_gt_i32 s7, 0
	s_mov_b32 s7, -1
	s_cbranch_scc0 .LBB7_1036
; %bb.1035:
	s_waitcnt vmcnt(0)
	v_cvt_i32_f64_e32 v2, v[0:1]
	s_mov_b32 s7, 0
	global_store_byte v[4:5], v2, off
.LBB7_1036:
	s_andn2_b32 vcc_lo, exec_lo, s7
	s_cbranch_vccnz .LBB7_1038
; %bb.1037:
	v_trunc_f64_e32 v[0:1], v[0:1]
	s_waitcnt vmcnt(0)
	v_ldexp_f64 v[2:3], v[0:1], 0xffffffe0
	v_floor_f64_e32 v[2:3], v[2:3]
	v_fma_f64 v[0:1], 0xc1f00000, v[2:3], v[0:1]
	v_cvt_u32_f64_e32 v0, v[0:1]
	global_store_byte v[4:5], v0, off
.LBB7_1038:
	s_or_b32 exec_lo, exec_lo, s0
	s_and_b32 s7, s16, exec_lo
                                        ; implicit-def: $vgpr16
.LBB7_1039:
	s_or_saveexec_b32 s6, s6
	s_mov_b32 s0, 0
                                        ; implicit-def: $sgpr16
                                        ; implicit-def: $vgpr4_vgpr5
                                        ; implicit-def: $vgpr0_vgpr1
	s_xor_b32 exec_lo, exec_lo, s6
	s_cbranch_execz .LBB7_1999
; %bb.1040:
	v_mul_lo_u32 v4, s3, v16
	s_and_b32 s0, 0xffff, s5
	s_cmp_lt_i32 s0, 11
	v_ashrrev_i32_e32 v0, 31, v4
	s_waitcnt vmcnt(0)
	v_add_co_u32 v2, vcc_lo, s10, v4
	v_add_co_ci_u32_e64 v3, null, s11, v0, vcc_lo
	s_cbranch_scc1 .LBB7_1047
; %bb.1041:
	s_cmp_gt_i32 s0, 25
	s_mov_b32 s5, 0
	s_cbranch_scc0 .LBB7_1049
; %bb.1042:
	s_cmp_gt_i32 s0, 28
	s_cbranch_scc0 .LBB7_1050
; %bb.1043:
	s_cmp_gt_i32 s0, 43
	;; [unrolled: 3-line block ×3, first 2 shown]
	s_cbranch_scc0 .LBB7_1052
; %bb.1045:
	s_cmp_eq_u32 s0, 46
	s_mov_b32 s17, 0
	s_cbranch_scc0 .LBB7_1055
; %bb.1046:
	global_load_dword v0, v[2:3], off
	s_mov_b32 s16, -1
	s_waitcnt vmcnt(0)
	v_lshlrev_b32_e32 v0, 16, v0
	v_cvt_f64_f32_e32 v[0:1], v0
	s_branch .LBB7_1057
.LBB7_1047:
	s_mov_b32 s16, 0
	s_mov_b32 s4, s7
                                        ; implicit-def: $vgpr0_vgpr1
	s_cbranch_execnz .LBB7_1120
.LBB7_1048:
	s_andn2_b32 vcc_lo, exec_lo, s16
                                        ; implicit-def: $vgpr2_vgpr3
	s_cbranch_vccz .LBB7_1165
	s_branch .LBB7_1997
.LBB7_1049:
	s_mov_b32 s16, 0
                                        ; implicit-def: $vgpr0_vgpr1
	s_cbranch_execnz .LBB7_1087
	s_branch .LBB7_1116
.LBB7_1050:
	s_mov_b32 s17, -1
	s_mov_b32 s16, 0
                                        ; implicit-def: $vgpr0_vgpr1
	s_branch .LBB7_1066
.LBB7_1051:
	s_mov_b32 s16, 0
                                        ; implicit-def: $vgpr0_vgpr1
	s_cbranch_execnz .LBB7_1062
	s_branch .LBB7_1065
.LBB7_1052:
	s_mov_b32 s17, -1
	s_branch .LBB7_1056
.LBB7_1053:
	s_andn2_saveexec_b32 s22, s22
	s_cbranch_execz .LBB7_952
.LBB7_1054:
	v_add_f32_e64 v3, 0x46000000, |v2|
	s_andn2_b32 s21, s21, exec_lo
	v_and_b32_e32 v3, 0xff, v3
	v_cmp_ne_u32_e32 vcc_lo, 0, v3
	s_and_b32 s23, vcc_lo, exec_lo
	s_or_b32 s21, s21, s23
	s_or_b32 exec_lo, exec_lo, s22
	v_mov_b32_e32 v6, 0
	s_and_saveexec_b32 s22, s21
	s_cbranch_execnz .LBB7_953
	s_branch .LBB7_954
.LBB7_1055:
	s_mov_b32 s4, -1
.LBB7_1056:
	s_mov_b32 s16, 0
                                        ; implicit-def: $vgpr0_vgpr1
.LBB7_1057:
	s_and_b32 vcc_lo, exec_lo, s17
	s_cbranch_vccz .LBB7_1060
; %bb.1058:
	s_cmp_eq_u32 s0, 44
	s_cbranch_scc0 .LBB7_1061
; %bb.1059:
	global_load_ubyte v5, v[2:3], off
	s_mov_b32 s4, 0
	s_mov_b32 s16, -1
	s_waitcnt vmcnt(0)
	v_lshlrev_b32_e32 v0, 23, v5
	v_cmp_ne_u32_e32 vcc_lo, 0xff, v5
	v_cvt_f64_f32_e32 v[0:1], v0
	v_cndmask_b32_e32 v0, 0x20000000, v0, vcc_lo
	v_cndmask_b32_e32 v1, 0x7ff80000, v1, vcc_lo
	v_cmp_ne_u32_e32 vcc_lo, 0, v5
	v_cndmask_b32_e32 v1, 0x38000000, v1, vcc_lo
	v_cndmask_b32_e32 v0, 0, v0, vcc_lo
.LBB7_1060:
	s_branch .LBB7_1065
.LBB7_1061:
	s_mov_b32 s4, -1
                                        ; implicit-def: $vgpr0_vgpr1
	s_branch .LBB7_1065
.LBB7_1062:
	s_cmp_eq_u32 s0, 29
	s_cbranch_scc0 .LBB7_1064
; %bb.1063:
	global_load_dwordx2 v[0:1], v[2:3], off
	s_mov_b32 s4, 0
	s_mov_b32 s16, -1
	s_mov_b32 s17, 0
	s_waitcnt vmcnt(0)
	v_cvt_f64_u32_e32 v[5:6], v1
	v_cvt_f64_u32_e32 v[0:1], v0
	v_ldexp_f64 v[5:6], v[5:6], 32
	v_add_f64 v[0:1], v[5:6], v[0:1]
	s_branch .LBB7_1066
.LBB7_1064:
	s_mov_b32 s4, -1
                                        ; implicit-def: $vgpr0_vgpr1
.LBB7_1065:
	s_mov_b32 s17, 0
.LBB7_1066:
	s_and_b32 vcc_lo, exec_lo, s17
	s_cbranch_vccz .LBB7_1086
; %bb.1067:
	s_cmp_lt_i32 s0, 27
	s_cbranch_scc1 .LBB7_1070
; %bb.1068:
	s_cmp_gt_i32 s0, 27
	s_cbranch_scc0 .LBB7_1071
; %bb.1069:
	global_load_dword v0, v[2:3], off
	s_mov_b32 s16, 0
	s_waitcnt vmcnt(0)
	v_cvt_f64_u32_e32 v[0:1], v0
	s_branch .LBB7_1072
.LBB7_1070:
	s_mov_b32 s16, -1
                                        ; implicit-def: $vgpr0_vgpr1
	s_branch .LBB7_1075
.LBB7_1071:
	s_mov_b32 s16, -1
                                        ; implicit-def: $vgpr0_vgpr1
.LBB7_1072:
	s_andn2_b32 vcc_lo, exec_lo, s16
	s_cbranch_vccnz .LBB7_1074
; %bb.1073:
	global_load_ushort v0, v[2:3], off
	s_waitcnt vmcnt(0)
	v_cvt_f64_u32_e32 v[0:1], v0
.LBB7_1074:
	s_mov_b32 s16, 0
.LBB7_1075:
	s_andn2_b32 vcc_lo, exec_lo, s16
	s_cbranch_vccnz .LBB7_1085
; %bb.1076:
	global_load_ubyte v5, v[2:3], off
	s_mov_b32 s16, 0
	s_mov_b32 s17, exec_lo
	s_waitcnt vmcnt(0)
	v_cmpx_lt_i16_e32 0x7f, v5
	s_xor_b32 s17, exec_lo, s17
	s_cbranch_execz .LBB7_1080
; %bb.1077:
	s_mov_b32 s16, -1
	s_mov_b32 s18, exec_lo
	v_cmpx_eq_u16_e32 0x80, v5
; %bb.1078:
	s_xor_b32 s16, exec_lo, -1
; %bb.1079:
	s_or_b32 exec_lo, exec_lo, s18
	s_and_b32 s16, s16, exec_lo
.LBB7_1080:
	s_or_saveexec_b32 s17, s17
	v_bfrev_b32_e32 v0, 4
	v_mov_b32_e32 v1, 0x7ff80000
	s_xor_b32 exec_lo, exec_lo, s17
; %bb.1081:
	v_cmp_ne_u16_e32 vcc_lo, 0, v5
	v_mov_b32_e32 v0, 0
	v_mov_b32_e32 v1, 0
	s_andn2_b32 s16, s16, exec_lo
	s_and_b32 s18, vcc_lo, exec_lo
	s_or_b32 s16, s16, s18
; %bb.1082:
	s_or_b32 exec_lo, exec_lo, s17
	s_and_saveexec_b32 s17, s16
	s_cbranch_execz .LBB7_1084
; %bb.1083:
	v_and_b32_e32 v0, 0xffff, v5
	v_lshlrev_b32_e32 v5, 24, v5
	v_and_b32_e32 v1, 7, v0
	v_bfe_u32 v8, v0, 3, 4
	v_ffbh_u32_e32 v6, v1
	v_cmp_eq_u32_e32 vcc_lo, 0, v8
	v_min_u32_e32 v6, 32, v6
	v_subrev_nc_u32_e32 v7, 28, v6
	v_sub_nc_u32_e32 v6, 29, v6
	v_lshlrev_b32_e32 v0, v7, v0
	v_cndmask_b32_e32 v6, v8, v6, vcc_lo
	v_and_b32_e32 v0, 7, v0
	v_cndmask_b32_e32 v0, v1, v0, vcc_lo
	v_and_b32_e32 v1, 0x80000000, v5
	v_lshl_add_u32 v5, v6, 23, 0x3b800000
	v_lshlrev_b32_e32 v0, 20, v0
	v_or3_b32 v0, v1, v5, v0
	v_cvt_f64_f32_e32 v[0:1], v0
.LBB7_1084:
	s_or_b32 exec_lo, exec_lo, s17
.LBB7_1085:
	s_mov_b32 s16, -1
.LBB7_1086:
	s_branch .LBB7_1116
.LBB7_1087:
	s_cmp_gt_i32 s0, 22
	s_cbranch_scc0 .LBB7_1099
; %bb.1088:
	s_cmp_lt_i32 s0, 24
	s_cbranch_scc1 .LBB7_1100
; %bb.1089:
	s_cmp_gt_i32 s0, 24
	s_cbranch_scc0 .LBB7_1101
; %bb.1090:
	global_load_ubyte v5, v[2:3], off
	s_mov_b32 s16, exec_lo
	s_waitcnt vmcnt(0)
	v_cmpx_lt_i16_e32 0x7f, v5
	s_xor_b32 s16, exec_lo, s16
	s_cbranch_execz .LBB7_1094
; %bb.1091:
	s_mov_b32 s5, -1
	s_mov_b32 s17, exec_lo
	v_cmpx_eq_u16_e32 0x80, v5
; %bb.1092:
	s_xor_b32 s5, exec_lo, -1
; %bb.1093:
	s_or_b32 exec_lo, exec_lo, s17
	s_and_b32 s5, s5, exec_lo
.LBB7_1094:
	s_or_saveexec_b32 s16, s16
	v_bfrev_b32_e32 v0, 4
	v_mov_b32_e32 v1, 0x7ff80000
	s_xor_b32 exec_lo, exec_lo, s16
; %bb.1095:
	v_cmp_ne_u16_e32 vcc_lo, 0, v5
	v_mov_b32_e32 v0, 0
	v_mov_b32_e32 v1, 0
	s_andn2_b32 s5, s5, exec_lo
	s_and_b32 s17, vcc_lo, exec_lo
	s_or_b32 s5, s5, s17
; %bb.1096:
	s_or_b32 exec_lo, exec_lo, s16
	s_and_saveexec_b32 s16, s5
	s_cbranch_execz .LBB7_1098
; %bb.1097:
	v_and_b32_e32 v0, 0xffff, v5
	v_lshlrev_b32_e32 v5, 24, v5
	v_and_b32_e32 v1, 3, v0
	v_bfe_u32 v8, v0, 2, 5
	v_ffbh_u32_e32 v6, v1
	v_cmp_eq_u32_e32 vcc_lo, 0, v8
	v_min_u32_e32 v6, 32, v6
	v_subrev_nc_u32_e32 v7, 29, v6
	v_sub_nc_u32_e32 v6, 30, v6
	v_lshlrev_b32_e32 v0, v7, v0
	v_cndmask_b32_e32 v6, v8, v6, vcc_lo
	v_and_b32_e32 v0, 3, v0
	v_cndmask_b32_e32 v0, v1, v0, vcc_lo
	v_and_b32_e32 v1, 0x80000000, v5
	v_lshl_add_u32 v5, v6, 23, 0x37800000
	v_lshlrev_b32_e32 v0, 21, v0
	v_or3_b32 v0, v1, v5, v0
	v_cvt_f64_f32_e32 v[0:1], v0
.LBB7_1098:
	s_or_b32 exec_lo, exec_lo, s16
	s_mov_b32 s5, 0
	s_branch .LBB7_1102
.LBB7_1099:
                                        ; implicit-def: $vgpr0_vgpr1
	s_mov_b32 s5, 0
	s_branch .LBB7_1108
.LBB7_1100:
	s_mov_b32 s5, -1
                                        ; implicit-def: $vgpr0_vgpr1
	s_branch .LBB7_1105
.LBB7_1101:
	s_mov_b32 s5, -1
                                        ; implicit-def: $vgpr0_vgpr1
.LBB7_1102:
	s_and_b32 vcc_lo, exec_lo, s5
	s_cbranch_vccz .LBB7_1104
; %bb.1103:
	global_load_ubyte v0, v[2:3], off
	s_waitcnt vmcnt(0)
	v_lshlrev_b32_e32 v0, 24, v0
	v_and_b32_e32 v1, 0x7f000000, v0
	v_ffbh_u32_e32 v5, v1
	v_add_nc_u32_e32 v7, 0x1000000, v1
	v_cmp_ne_u32_e32 vcc_lo, 0, v1
	v_min_u32_e32 v5, 32, v5
	v_sub_nc_u32_e64 v5, v5, 4 clamp
	v_lshlrev_b32_e32 v6, v5, v1
	v_lshlrev_b32_e32 v5, 23, v5
	v_lshrrev_b32_e32 v6, 4, v6
	v_sub_nc_u32_e32 v5, v6, v5
	v_ashrrev_i32_e32 v6, 8, v7
	v_add_nc_u32_e32 v5, 0x3c000000, v5
	v_and_or_b32 v5, 0x7f800000, v6, v5
	v_cndmask_b32_e32 v1, 0, v5, vcc_lo
	v_and_or_b32 v0, 0x80000000, v0, v1
	v_cvt_f64_f32_e32 v[0:1], v0
.LBB7_1104:
	s_mov_b32 s5, 0
.LBB7_1105:
	s_andn2_b32 vcc_lo, exec_lo, s5
	s_cbranch_vccnz .LBB7_1107
; %bb.1106:
	global_load_ubyte v0, v[2:3], off
	s_waitcnt vmcnt(0)
	v_lshlrev_b32_e32 v1, 25, v0
	v_lshlrev_b16 v0, 8, v0
	v_lshrrev_b32_e32 v5, 4, v1
	v_and_or_b32 v6, 0x7f00, v0, 0.5
	v_cmp_gt_u32_e32 vcc_lo, 0x8000000, v1
	v_bfe_i32 v0, v0, 0, 16
	v_or_b32_e32 v5, 0x70000000, v5
	v_add_f32_e32 v6, -0.5, v6
	v_mul_f32_e32 v5, 0x7800000, v5
	v_cndmask_b32_e32 v1, v5, v6, vcc_lo
	v_and_or_b32 v0, 0x80000000, v0, v1
	v_cvt_f64_f32_e32 v[0:1], v0
.LBB7_1107:
	s_mov_b32 s16, -1
	s_mov_b32 s5, 0
	s_cbranch_execnz .LBB7_1116
.LBB7_1108:
	s_cmp_gt_i32 s0, 14
	s_cbranch_scc0 .LBB7_1111
; %bb.1109:
	s_cmp_eq_u32 s0, 15
	s_cbranch_scc0 .LBB7_1112
; %bb.1110:
	global_load_ushort v0, v[2:3], off
	s_mov_b32 s4, 0
	s_mov_b32 s16, -1
	s_waitcnt vmcnt(0)
	v_lshlrev_b32_e32 v0, 16, v0
	v_cvt_f64_f32_e32 v[0:1], v0
	s_branch .LBB7_1114
.LBB7_1111:
	s_mov_b32 s5, -1
	s_branch .LBB7_1113
.LBB7_1112:
	s_mov_b32 s4, -1
.LBB7_1113:
                                        ; implicit-def: $vgpr0_vgpr1
.LBB7_1114:
	s_and_b32 vcc_lo, exec_lo, s5
	s_mov_b32 s5, 0
	s_cbranch_vccz .LBB7_1116
; %bb.1115:
	s_cmp_lg_u32 s0, 11
	s_mov_b32 s5, -1
	s_cselect_b32 s4, -1, 0
.LBB7_1116:
	s_and_b32 vcc_lo, exec_lo, s4
	s_mov_b32 s4, s7
	s_cbranch_vccnz .LBB7_1179
; %bb.1117:
	s_andn2_b32 vcc_lo, exec_lo, s5
	s_cbranch_vccnz .LBB7_1119
.LBB7_1118:
	global_load_ubyte v0, v[2:3], off
	s_mov_b32 s16, -1
	s_waitcnt vmcnt(0)
	v_cmp_ne_u16_e32 vcc_lo, 0, v0
	v_mov_b32_e32 v0, 0
	v_cndmask_b32_e64 v1, 0, 0x3ff00000, vcc_lo
.LBB7_1119:
	s_branch .LBB7_1048
.LBB7_1120:
	s_cmp_lt_i32 s0, 5
	s_cbranch_scc1 .LBB7_1125
; %bb.1121:
	s_cmp_lt_i32 s0, 8
	s_cbranch_scc1 .LBB7_1126
; %bb.1122:
	;; [unrolled: 3-line block ×3, first 2 shown]
	s_cmp_gt_i32 s0, 9
	s_cbranch_scc0 .LBB7_1128
; %bb.1124:
	global_load_dwordx2 v[0:1], v[2:3], off
	s_mov_b32 s5, 0
	s_branch .LBB7_1129
.LBB7_1125:
                                        ; implicit-def: $vgpr0_vgpr1
	s_branch .LBB7_1146
.LBB7_1126:
                                        ; implicit-def: $vgpr0_vgpr1
	s_branch .LBB7_1135
.LBB7_1127:
	s_mov_b32 s5, -1
                                        ; implicit-def: $vgpr0_vgpr1
	s_branch .LBB7_1132
.LBB7_1128:
	s_mov_b32 s5, -1
                                        ; implicit-def: $vgpr0_vgpr1
.LBB7_1129:
	s_andn2_b32 vcc_lo, exec_lo, s5
	s_cbranch_vccnz .LBB7_1131
; %bb.1130:
	global_load_dword v0, v[2:3], off
	s_waitcnt vmcnt(0)
	v_cvt_f64_f32_e32 v[0:1], v0
.LBB7_1131:
	s_mov_b32 s5, 0
.LBB7_1132:
	s_andn2_b32 vcc_lo, exec_lo, s5
	s_cbranch_vccnz .LBB7_1134
; %bb.1133:
	global_load_dword v0, v[2:3], off
	s_waitcnt vmcnt(0)
	v_cvt_f32_f16_e32 v0, v0
	v_cvt_f64_f32_e32 v[0:1], v0
.LBB7_1134:
	s_cbranch_execnz .LBB7_1145
.LBB7_1135:
	s_cmp_lt_i32 s0, 6
	s_cbranch_scc1 .LBB7_1138
; %bb.1136:
	s_cmp_gt_i32 s0, 6
	s_cbranch_scc0 .LBB7_1139
; %bb.1137:
	global_load_dwordx2 v[0:1], v[2:3], off
	s_mov_b32 s5, 0
	s_branch .LBB7_1140
.LBB7_1138:
	s_mov_b32 s5, -1
                                        ; implicit-def: $vgpr0_vgpr1
	s_branch .LBB7_1143
.LBB7_1139:
	s_mov_b32 s5, -1
                                        ; implicit-def: $vgpr0_vgpr1
.LBB7_1140:
	s_andn2_b32 vcc_lo, exec_lo, s5
	s_cbranch_vccnz .LBB7_1142
; %bb.1141:
	global_load_dword v0, v[2:3], off
	s_waitcnt vmcnt(0)
	v_cvt_f64_f32_e32 v[0:1], v0
.LBB7_1142:
	s_mov_b32 s5, 0
.LBB7_1143:
	s_andn2_b32 vcc_lo, exec_lo, s5
	s_cbranch_vccnz .LBB7_1145
; %bb.1144:
	global_load_ushort v0, v[2:3], off
	s_waitcnt vmcnt(0)
	v_cvt_f32_f16_e32 v0, v0
	v_cvt_f64_f32_e32 v[0:1], v0
.LBB7_1145:
	s_cbranch_execnz .LBB7_1164
.LBB7_1146:
	s_cmp_lt_i32 s0, 2
	s_cbranch_scc1 .LBB7_1150
; %bb.1147:
	s_cmp_lt_i32 s0, 3
	s_cbranch_scc1 .LBB7_1151
; %bb.1148:
	s_cmp_gt_i32 s0, 3
	s_cbranch_scc0 .LBB7_1152
; %bb.1149:
	global_load_dwordx2 v[0:1], v[2:3], off
	s_mov_b32 s5, 0
	s_waitcnt vmcnt(0)
	v_cvt_f64_i32_e32 v[5:6], v1
	v_cvt_f64_u32_e32 v[0:1], v0
	v_ldexp_f64 v[5:6], v[5:6], 32
	v_add_f64 v[0:1], v[5:6], v[0:1]
	s_branch .LBB7_1153
.LBB7_1150:
                                        ; implicit-def: $vgpr0_vgpr1
	s_branch .LBB7_1159
.LBB7_1151:
	s_mov_b32 s5, -1
                                        ; implicit-def: $vgpr0_vgpr1
	s_branch .LBB7_1156
.LBB7_1152:
	s_mov_b32 s5, -1
                                        ; implicit-def: $vgpr0_vgpr1
.LBB7_1153:
	s_andn2_b32 vcc_lo, exec_lo, s5
	s_cbranch_vccnz .LBB7_1155
; %bb.1154:
	global_load_dword v0, v[2:3], off
	s_waitcnt vmcnt(0)
	v_cvt_f64_i32_e32 v[0:1], v0
.LBB7_1155:
	s_mov_b32 s5, 0
.LBB7_1156:
	s_andn2_b32 vcc_lo, exec_lo, s5
	s_cbranch_vccnz .LBB7_1158
; %bb.1157:
	global_load_sshort v0, v[2:3], off
	s_waitcnt vmcnt(0)
	v_cvt_f64_i32_e32 v[0:1], v0
.LBB7_1158:
	s_cbranch_execnz .LBB7_1164
.LBB7_1159:
	s_cmp_gt_i32 s0, 0
	s_mov_b32 s5, 0
	s_cbranch_scc0 .LBB7_1161
; %bb.1160:
	global_load_sbyte v0, v[2:3], off
	s_waitcnt vmcnt(0)
	v_cvt_f64_i32_e32 v[0:1], v0
	s_branch .LBB7_1162
.LBB7_1161:
	s_mov_b32 s5, -1
                                        ; implicit-def: $vgpr0_vgpr1
.LBB7_1162:
	s_andn2_b32 vcc_lo, exec_lo, s5
	s_cbranch_vccnz .LBB7_1164
; %bb.1163:
	global_load_ubyte v0, v[2:3], off
	s_waitcnt vmcnt(0)
	v_cvt_f64_u32_e32 v[0:1], v0
.LBB7_1164:
                                        ; implicit-def: $vgpr2_vgpr3
.LBB7_1165:
	s_waitcnt vmcnt(0)
	v_cvt_f32_f64_e32 v2, v[0:1]
	s_mov_b32 s5, exec_lo
	v_cmpx_nlg_f32_e64 0x7f800000, |v2|
	s_cbranch_execz .LBB7_1167
; %bb.1166:
	v_mov_b32_e32 v2, 0
	v_mov_b32_e32 v3, 1.0
	global_store_dword v2, v3, s[12:13]
.LBB7_1167:
	s_or_b32 exec_lo, exec_lo, s5
	v_mov_b32_e32 v2, 0
	s_lshl_b32 s3, s3, 7
	s_cmp_lt_i32 s0, 11
	v_add_nc_u32_e32 v4, s3, v4
	global_load_dword v17, v2, s[14:15]
	v_ashrrev_i32_e32 v3, 31, v4
	v_add_co_u32 v2, vcc_lo, s10, v4
	v_add_co_ci_u32_e64 v3, null, s11, v3, vcc_lo
	s_cbranch_scc1 .LBB7_1174
; %bb.1168:
	s_cmp_gt_i32 s0, 25
	s_mov_b32 s16, 0
	s_cbranch_scc0 .LBB7_1176
; %bb.1169:
	s_cmp_gt_i32 s0, 28
	s_cbranch_scc0 .LBB7_1177
; %bb.1170:
	s_cmp_gt_i32 s0, 43
	;; [unrolled: 3-line block ×3, first 2 shown]
	s_cbranch_scc0 .LBB7_1180
; %bb.1172:
	s_cmp_eq_u32 s0, 46
	s_mov_b32 s18, 0
	s_cbranch_scc0 .LBB7_1183
; %bb.1173:
	global_load_dword v5, v[2:3], off
	s_mov_b32 s5, 0
	s_mov_b32 s17, -1
	s_waitcnt vmcnt(0)
	v_lshlrev_b32_e32 v5, 16, v5
	v_cvt_f64_f32_e32 v[8:9], v5
	s_branch .LBB7_1185
.LBB7_1174:
	s_mov_b32 s17, 0
                                        ; implicit-def: $vgpr8_vgpr9
	s_cbranch_execnz .LBB7_1250
.LBB7_1175:
	s_andn2_b32 vcc_lo, exec_lo, s17
	s_cbranch_vccnz .LBB7_1997
	s_branch .LBB7_1297
.LBB7_1176:
	s_mov_b32 s17, 0
	s_mov_b32 s5, 0
                                        ; implicit-def: $vgpr8_vgpr9
	s_cbranch_execnz .LBB7_1216
	s_branch .LBB7_1246
.LBB7_1177:
	s_mov_b32 s18, -1
	s_mov_b32 s17, 0
	s_mov_b32 s5, 0
                                        ; implicit-def: $vgpr8_vgpr9
	s_branch .LBB7_1195
.LBB7_1178:
	s_mov_b32 s18, -1
	s_mov_b32 s17, 0
	s_mov_b32 s5, 0
                                        ; implicit-def: $vgpr8_vgpr9
	s_branch .LBB7_1190
.LBB7_1179:
	s_or_b32 s4, s7, exec_lo
	s_trap 2
	s_cbranch_execz .LBB7_1118
	s_branch .LBB7_1119
.LBB7_1180:
	s_mov_b32 s18, -1
	s_mov_b32 s17, 0
	s_mov_b32 s5, 0
	s_branch .LBB7_1184
.LBB7_1181:
	s_andn2_saveexec_b32 s23, s23
	s_cbranch_execz .LBB7_964
.LBB7_1182:
	v_add_f32_e64 v3, 0x42800000, |v2|
	s_andn2_b32 s22, s22, exec_lo
	v_and_b32_e32 v3, 0xff, v3
	v_cmp_ne_u32_e32 vcc_lo, 0, v3
	s_and_b32 s24, vcc_lo, exec_lo
	s_or_b32 s22, s22, s24
	s_or_b32 exec_lo, exec_lo, s23
	v_mov_b32_e32 v6, 0
	s_and_saveexec_b32 s23, s22
	s_cbranch_execnz .LBB7_965
	s_branch .LBB7_966
.LBB7_1183:
	s_mov_b32 s5, -1
	s_mov_b32 s17, 0
.LBB7_1184:
                                        ; implicit-def: $vgpr8_vgpr9
.LBB7_1185:
	s_and_b32 vcc_lo, exec_lo, s18
	s_cbranch_vccz .LBB7_1189
; %bb.1186:
	s_cmp_eq_u32 s0, 44
	s_cbranch_scc0 .LBB7_1188
; %bb.1187:
	global_load_ubyte v7, v[2:3], off
	s_mov_b32 s5, 0
	s_mov_b32 s17, -1
	s_waitcnt vmcnt(0)
	v_lshlrev_b32_e32 v5, 23, v7
	v_cmp_ne_u32_e32 vcc_lo, 0xff, v7
	v_cvt_f64_f32_e32 v[5:6], v5
	v_cndmask_b32_e32 v5, 0x20000000, v5, vcc_lo
	v_cndmask_b32_e32 v6, 0x7ff80000, v6, vcc_lo
	v_cmp_ne_u32_e32 vcc_lo, 0, v7
	v_cndmask_b32_e32 v9, 0x38000000, v6, vcc_lo
	v_cndmask_b32_e32 v8, 0, v5, vcc_lo
	s_branch .LBB7_1189
.LBB7_1188:
	s_mov_b32 s5, -1
                                        ; implicit-def: $vgpr8_vgpr9
.LBB7_1189:
	s_mov_b32 s18, 0
.LBB7_1190:
	s_and_b32 vcc_lo, exec_lo, s18
	s_cbranch_vccz .LBB7_1194
; %bb.1191:
	s_cmp_eq_u32 s0, 29
	s_cbranch_scc0 .LBB7_1193
; %bb.1192:
	global_load_dwordx2 v[5:6], v[2:3], off
	s_mov_b32 s5, 0
	s_mov_b32 s17, -1
	s_mov_b32 s18, 0
	s_waitcnt vmcnt(0)
	v_cvt_f64_u32_e32 v[6:7], v6
	v_cvt_f64_u32_e32 v[8:9], v5
	v_ldexp_f64 v[6:7], v[6:7], 32
	v_add_f64 v[8:9], v[6:7], v[8:9]
	s_branch .LBB7_1195
.LBB7_1193:
	s_mov_b32 s5, -1
                                        ; implicit-def: $vgpr8_vgpr9
.LBB7_1194:
	s_mov_b32 s18, 0
.LBB7_1195:
	s_and_b32 vcc_lo, exec_lo, s18
	s_cbranch_vccz .LBB7_1215
; %bb.1196:
	s_cmp_lt_i32 s0, 27
	s_cbranch_scc1 .LBB7_1199
; %bb.1197:
	s_cmp_gt_i32 s0, 27
	s_cbranch_scc0 .LBB7_1200
; %bb.1198:
	global_load_dword v5, v[2:3], off
	s_mov_b32 s17, 0
	s_waitcnt vmcnt(0)
	v_cvt_f64_u32_e32 v[8:9], v5
	s_branch .LBB7_1201
.LBB7_1199:
	s_mov_b32 s17, -1
                                        ; implicit-def: $vgpr8_vgpr9
	s_branch .LBB7_1204
.LBB7_1200:
	s_mov_b32 s17, -1
                                        ; implicit-def: $vgpr8_vgpr9
.LBB7_1201:
	s_andn2_b32 vcc_lo, exec_lo, s17
	s_cbranch_vccnz .LBB7_1203
; %bb.1202:
	global_load_ushort v5, v[2:3], off
	s_waitcnt vmcnt(0)
	v_cvt_f64_u32_e32 v[8:9], v5
.LBB7_1203:
	s_mov_b32 s17, 0
.LBB7_1204:
	s_andn2_b32 vcc_lo, exec_lo, s17
	s_cbranch_vccnz .LBB7_1214
; %bb.1205:
	global_load_ubyte v5, v[2:3], off
	s_mov_b32 s17, 0
	s_mov_b32 s18, exec_lo
	s_waitcnt vmcnt(0)
	v_cmpx_lt_i16_e32 0x7f, v5
	s_xor_b32 s18, exec_lo, s18
	s_cbranch_execz .LBB7_1209
; %bb.1206:
	s_mov_b32 s17, -1
	s_mov_b32 s19, exec_lo
	v_cmpx_eq_u16_e32 0x80, v5
; %bb.1207:
	s_xor_b32 s17, exec_lo, -1
; %bb.1208:
	s_or_b32 exec_lo, exec_lo, s19
	s_and_b32 s17, s17, exec_lo
.LBB7_1209:
	s_or_saveexec_b32 s18, s18
	v_bfrev_b32_e32 v8, 4
	v_mov_b32_e32 v9, 0x7ff80000
	s_xor_b32 exec_lo, exec_lo, s18
; %bb.1210:
	v_cmp_ne_u16_e32 vcc_lo, 0, v5
	v_mov_b32_e32 v8, 0
	v_mov_b32_e32 v9, 0
	s_andn2_b32 s17, s17, exec_lo
	s_and_b32 s19, vcc_lo, exec_lo
	s_or_b32 s17, s17, s19
; %bb.1211:
	s_or_b32 exec_lo, exec_lo, s18
	s_and_saveexec_b32 s18, s17
	s_cbranch_execz .LBB7_1213
; %bb.1212:
	v_and_b32_e32 v6, 0xffff, v5
	v_lshlrev_b32_e32 v5, 24, v5
	v_and_b32_e32 v7, 7, v6
	v_bfe_u32 v10, v6, 3, 4
	v_and_b32_e32 v5, 0x80000000, v5
	v_ffbh_u32_e32 v8, v7
	v_cmp_eq_u32_e32 vcc_lo, 0, v10
	v_min_u32_e32 v8, 32, v8
	v_subrev_nc_u32_e32 v9, 28, v8
	v_sub_nc_u32_e32 v8, 29, v8
	v_lshlrev_b32_e32 v6, v9, v6
	v_cndmask_b32_e32 v8, v10, v8, vcc_lo
	v_and_b32_e32 v6, 7, v6
	v_cndmask_b32_e32 v6, v7, v6, vcc_lo
	v_lshl_add_u32 v7, v8, 23, 0x3b800000
	v_lshlrev_b32_e32 v6, 20, v6
	v_or3_b32 v5, v5, v7, v6
	v_cvt_f64_f32_e32 v[8:9], v5
.LBB7_1213:
	s_or_b32 exec_lo, exec_lo, s18
.LBB7_1214:
	s_mov_b32 s17, -1
.LBB7_1215:
	s_branch .LBB7_1246
.LBB7_1216:
	s_cmp_gt_i32 s0, 22
	s_cbranch_scc0 .LBB7_1228
; %bb.1217:
	s_cmp_lt_i32 s0, 24
	s_cbranch_scc1 .LBB7_1229
; %bb.1218:
	s_cmp_gt_i32 s0, 24
	s_cbranch_scc0 .LBB7_1230
; %bb.1219:
	global_load_ubyte v5, v[2:3], off
	s_mov_b32 s17, exec_lo
	s_waitcnt vmcnt(0)
	v_cmpx_lt_i16_e32 0x7f, v5
	s_xor_b32 s17, exec_lo, s17
	s_cbranch_execz .LBB7_1223
; %bb.1220:
	s_mov_b32 s16, -1
	s_mov_b32 s18, exec_lo
	v_cmpx_eq_u16_e32 0x80, v5
; %bb.1221:
	s_xor_b32 s16, exec_lo, -1
; %bb.1222:
	s_or_b32 exec_lo, exec_lo, s18
	s_and_b32 s16, s16, exec_lo
.LBB7_1223:
	s_or_saveexec_b32 s17, s17
	v_bfrev_b32_e32 v8, 4
	v_mov_b32_e32 v9, 0x7ff80000
	s_xor_b32 exec_lo, exec_lo, s17
; %bb.1224:
	v_cmp_ne_u16_e32 vcc_lo, 0, v5
	v_mov_b32_e32 v8, 0
	v_mov_b32_e32 v9, 0
	s_andn2_b32 s16, s16, exec_lo
	s_and_b32 s18, vcc_lo, exec_lo
	s_or_b32 s16, s16, s18
; %bb.1225:
	s_or_b32 exec_lo, exec_lo, s17
	s_and_saveexec_b32 s17, s16
	s_cbranch_execz .LBB7_1227
; %bb.1226:
	v_and_b32_e32 v6, 0xffff, v5
	v_lshlrev_b32_e32 v5, 24, v5
	v_and_b32_e32 v7, 3, v6
	v_bfe_u32 v10, v6, 2, 5
	v_and_b32_e32 v5, 0x80000000, v5
	v_ffbh_u32_e32 v8, v7
	v_cmp_eq_u32_e32 vcc_lo, 0, v10
	v_min_u32_e32 v8, 32, v8
	v_subrev_nc_u32_e32 v9, 29, v8
	v_sub_nc_u32_e32 v8, 30, v8
	v_lshlrev_b32_e32 v6, v9, v6
	v_cndmask_b32_e32 v8, v10, v8, vcc_lo
	v_and_b32_e32 v6, 3, v6
	v_cndmask_b32_e32 v6, v7, v6, vcc_lo
	v_lshl_add_u32 v7, v8, 23, 0x37800000
	v_lshlrev_b32_e32 v6, 21, v6
	v_or3_b32 v5, v5, v7, v6
	v_cvt_f64_f32_e32 v[8:9], v5
.LBB7_1227:
	s_or_b32 exec_lo, exec_lo, s17
	s_mov_b32 s16, 0
	s_branch .LBB7_1231
.LBB7_1228:
	s_mov_b32 s16, -1
                                        ; implicit-def: $vgpr8_vgpr9
	s_branch .LBB7_1237
.LBB7_1229:
	s_mov_b32 s16, -1
                                        ; implicit-def: $vgpr8_vgpr9
	s_branch .LBB7_1234
.LBB7_1230:
	s_mov_b32 s16, -1
                                        ; implicit-def: $vgpr8_vgpr9
.LBB7_1231:
	s_and_b32 vcc_lo, exec_lo, s16
	s_cbranch_vccz .LBB7_1233
; %bb.1232:
	global_load_ubyte v5, v[2:3], off
	s_waitcnt vmcnt(0)
	v_lshlrev_b32_e32 v5, 24, v5
	v_and_b32_e32 v6, 0x7f000000, v5
	v_ffbh_u32_e32 v7, v6
	v_add_nc_u32_e32 v9, 0x1000000, v6
	v_cmp_ne_u32_e32 vcc_lo, 0, v6
	v_min_u32_e32 v7, 32, v7
	v_sub_nc_u32_e64 v7, v7, 4 clamp
	v_lshlrev_b32_e32 v8, v7, v6
	v_lshlrev_b32_e32 v7, 23, v7
	v_lshrrev_b32_e32 v8, 4, v8
	v_sub_nc_u32_e32 v7, v8, v7
	v_ashrrev_i32_e32 v8, 8, v9
	v_add_nc_u32_e32 v7, 0x3c000000, v7
	v_and_or_b32 v7, 0x7f800000, v8, v7
	v_cndmask_b32_e32 v6, 0, v7, vcc_lo
	v_and_or_b32 v5, 0x80000000, v5, v6
	v_cvt_f64_f32_e32 v[8:9], v5
.LBB7_1233:
	s_mov_b32 s16, 0
.LBB7_1234:
	s_andn2_b32 vcc_lo, exec_lo, s16
	s_cbranch_vccnz .LBB7_1236
; %bb.1235:
	global_load_ubyte v5, v[2:3], off
	s_waitcnt vmcnt(0)
	v_lshlrev_b32_e32 v6, 25, v5
	v_lshlrev_b16 v5, 8, v5
	v_lshrrev_b32_e32 v7, 4, v6
	v_and_or_b32 v8, 0x7f00, v5, 0.5
	v_cmp_gt_u32_e32 vcc_lo, 0x8000000, v6
	v_bfe_i32 v5, v5, 0, 16
	v_or_b32_e32 v7, 0x70000000, v7
	v_add_f32_e32 v8, -0.5, v8
	v_mul_f32_e32 v7, 0x7800000, v7
	v_cndmask_b32_e32 v6, v7, v8, vcc_lo
	v_and_or_b32 v5, 0x80000000, v5, v6
	v_cvt_f64_f32_e32 v[8:9], v5
.LBB7_1236:
	s_mov_b32 s16, 0
	s_mov_b32 s17, -1
.LBB7_1237:
	s_andn2_b32 vcc_lo, exec_lo, s16
	s_mov_b32 s16, 0
	s_cbranch_vccnz .LBB7_1246
; %bb.1238:
	s_cmp_gt_i32 s0, 14
	s_cbranch_scc0 .LBB7_1241
; %bb.1239:
	s_cmp_eq_u32 s0, 15
	s_cbranch_scc0 .LBB7_1242
; %bb.1240:
	global_load_ushort v5, v[2:3], off
	s_mov_b32 s5, 0
	s_mov_b32 s17, -1
	s_waitcnt vmcnt(0)
	v_lshlrev_b32_e32 v5, 16, v5
	v_cvt_f64_f32_e32 v[8:9], v5
	s_branch .LBB7_1244
.LBB7_1241:
	s_mov_b32 s16, -1
	s_branch .LBB7_1243
.LBB7_1242:
	s_mov_b32 s5, -1
.LBB7_1243:
                                        ; implicit-def: $vgpr8_vgpr9
.LBB7_1244:
	s_and_b32 vcc_lo, exec_lo, s16
	s_mov_b32 s16, 0
	s_cbranch_vccz .LBB7_1246
; %bb.1245:
	s_cmp_lg_u32 s0, 11
	s_mov_b32 s16, -1
	s_cselect_b32 s5, -1, 0
.LBB7_1246:
	s_and_b32 vcc_lo, exec_lo, s5
	s_cbranch_vccnz .LBB7_1311
; %bb.1247:
	s_andn2_b32 vcc_lo, exec_lo, s16
	s_cbranch_vccnz .LBB7_1249
.LBB7_1248:
	global_load_ubyte v5, v[2:3], off
	v_mov_b32_e32 v8, 0
	s_mov_b32 s17, -1
	s_waitcnt vmcnt(0)
	v_cmp_ne_u16_e32 vcc_lo, 0, v5
	v_cndmask_b32_e64 v9, 0, 0x3ff00000, vcc_lo
.LBB7_1249:
	s_branch .LBB7_1175
.LBB7_1250:
	s_cmp_lt_i32 s0, 5
	s_cbranch_scc1 .LBB7_1255
; %bb.1251:
	s_cmp_lt_i32 s0, 8
	s_cbranch_scc1 .LBB7_1256
; %bb.1252:
	;; [unrolled: 3-line block ×3, first 2 shown]
	s_cmp_gt_i32 s0, 9
	s_cbranch_scc0 .LBB7_1258
; %bb.1254:
	global_load_dwordx2 v[8:9], v[2:3], off
	s_mov_b32 s5, 0
	s_branch .LBB7_1259
.LBB7_1255:
                                        ; implicit-def: $vgpr8_vgpr9
	s_branch .LBB7_1277
.LBB7_1256:
	s_mov_b32 s5, -1
                                        ; implicit-def: $vgpr8_vgpr9
	s_branch .LBB7_1265
.LBB7_1257:
	s_mov_b32 s5, -1
                                        ; implicit-def: $vgpr8_vgpr9
	s_branch .LBB7_1262
.LBB7_1258:
	s_mov_b32 s5, -1
                                        ; implicit-def: $vgpr8_vgpr9
.LBB7_1259:
	s_andn2_b32 vcc_lo, exec_lo, s5
	s_cbranch_vccnz .LBB7_1261
; %bb.1260:
	global_load_dword v5, v[2:3], off
	s_waitcnt vmcnt(0)
	v_cvt_f64_f32_e32 v[8:9], v5
.LBB7_1261:
	s_mov_b32 s5, 0
.LBB7_1262:
	s_andn2_b32 vcc_lo, exec_lo, s5
	s_cbranch_vccnz .LBB7_1264
; %bb.1263:
	global_load_dword v5, v[2:3], off
	s_waitcnt vmcnt(0)
	v_cvt_f32_f16_e32 v5, v5
	v_cvt_f64_f32_e32 v[8:9], v5
.LBB7_1264:
	s_mov_b32 s5, 0
.LBB7_1265:
	s_andn2_b32 vcc_lo, exec_lo, s5
	s_cbranch_vccnz .LBB7_1276
; %bb.1266:
	s_cmp_lt_i32 s0, 6
	s_cbranch_scc1 .LBB7_1269
; %bb.1267:
	s_cmp_gt_i32 s0, 6
	s_cbranch_scc0 .LBB7_1270
; %bb.1268:
	global_load_dwordx2 v[8:9], v[2:3], off
	s_mov_b32 s5, 0
	s_branch .LBB7_1271
.LBB7_1269:
	s_mov_b32 s5, -1
                                        ; implicit-def: $vgpr8_vgpr9
	s_branch .LBB7_1274
.LBB7_1270:
	s_mov_b32 s5, -1
                                        ; implicit-def: $vgpr8_vgpr9
.LBB7_1271:
	s_andn2_b32 vcc_lo, exec_lo, s5
	s_cbranch_vccnz .LBB7_1273
; %bb.1272:
	global_load_dword v5, v[2:3], off
	s_waitcnt vmcnt(0)
	v_cvt_f64_f32_e32 v[8:9], v5
.LBB7_1273:
	s_mov_b32 s5, 0
.LBB7_1274:
	s_andn2_b32 vcc_lo, exec_lo, s5
	s_cbranch_vccnz .LBB7_1276
; %bb.1275:
	global_load_ushort v5, v[2:3], off
	s_waitcnt vmcnt(0)
	v_cvt_f32_f16_e32 v5, v5
	v_cvt_f64_f32_e32 v[8:9], v5
.LBB7_1276:
	s_cbranch_execnz .LBB7_1296
.LBB7_1277:
	s_cmp_lt_i32 s0, 2
	s_cbranch_scc1 .LBB7_1281
; %bb.1278:
	s_cmp_lt_i32 s0, 3
	s_cbranch_scc1 .LBB7_1282
; %bb.1279:
	s_cmp_gt_i32 s0, 3
	s_cbranch_scc0 .LBB7_1283
; %bb.1280:
	global_load_dwordx2 v[5:6], v[2:3], off
	s_mov_b32 s5, 0
	s_waitcnt vmcnt(0)
	v_cvt_f64_i32_e32 v[6:7], v6
	v_cvt_f64_u32_e32 v[8:9], v5
	v_ldexp_f64 v[6:7], v[6:7], 32
	v_add_f64 v[8:9], v[6:7], v[8:9]
	s_branch .LBB7_1284
.LBB7_1281:
	s_mov_b32 s5, -1
                                        ; implicit-def: $vgpr8_vgpr9
	s_branch .LBB7_1290
.LBB7_1282:
	s_mov_b32 s5, -1
                                        ; implicit-def: $vgpr8_vgpr9
	s_branch .LBB7_1287
.LBB7_1283:
	s_mov_b32 s5, -1
                                        ; implicit-def: $vgpr8_vgpr9
.LBB7_1284:
	s_andn2_b32 vcc_lo, exec_lo, s5
	s_cbranch_vccnz .LBB7_1286
; %bb.1285:
	global_load_dword v5, v[2:3], off
	s_waitcnt vmcnt(0)
	v_cvt_f64_i32_e32 v[8:9], v5
.LBB7_1286:
	s_mov_b32 s5, 0
.LBB7_1287:
	s_andn2_b32 vcc_lo, exec_lo, s5
	s_cbranch_vccnz .LBB7_1289
; %bb.1288:
	global_load_sshort v5, v[2:3], off
	s_waitcnt vmcnt(0)
	v_cvt_f64_i32_e32 v[8:9], v5
.LBB7_1289:
	s_mov_b32 s5, 0
.LBB7_1290:
	s_andn2_b32 vcc_lo, exec_lo, s5
	s_cbranch_vccnz .LBB7_1296
; %bb.1291:
	s_cmp_gt_i32 s0, 0
	s_mov_b32 s5, 0
	s_cbranch_scc0 .LBB7_1293
; %bb.1292:
	global_load_sbyte v5, v[2:3], off
	s_waitcnt vmcnt(0)
	v_cvt_f64_i32_e32 v[8:9], v5
	s_branch .LBB7_1294
.LBB7_1293:
	s_mov_b32 s5, -1
                                        ; implicit-def: $vgpr8_vgpr9
.LBB7_1294:
	s_andn2_b32 vcc_lo, exec_lo, s5
	s_cbranch_vccnz .LBB7_1296
; %bb.1295:
	global_load_ubyte v2, v[2:3], off
	s_waitcnt vmcnt(0)
	v_cvt_f64_u32_e32 v[8:9], v2
.LBB7_1296:
.LBB7_1297:
	s_waitcnt vmcnt(0)
	v_cvt_f64_f32_e32 v[2:3], v17
	v_cvt_f32_f64_e32 v5, v[8:9]
	v_mov_b32_e32 v20, v17
	s_mov_b32 s5, exec_lo
	v_mov_b32_e32 v15, v3
	v_mov_b32_e32 v14, v2
	v_cmpx_nlg_f32_e64 0x7f800000, |v5|
	s_cbranch_execz .LBB7_1299
; %bb.1298:
	v_mov_b32_e32 v5, 0
	v_mov_b32_e32 v6, 1.0
	global_store_dword v5, v6, s[12:13]
	global_load_dword v20, v5, s[14:15]
	s_waitcnt vmcnt(0)
	v_cvt_f64_f32_e32 v[14:15], v20
.LBB7_1299:
	s_or_b32 exec_lo, exec_lo, s5
	v_add_nc_u32_e32 v10, s3, v4
	s_cmp_lt_i32 s0, 11
	v_ashrrev_i32_e32 v5, 31, v10
	v_add_co_u32 v4, vcc_lo, s10, v10
	v_add_co_ci_u32_e64 v5, null, s11, v5, vcc_lo
	s_cbranch_scc1 .LBB7_1306
; %bb.1300:
	s_cmp_gt_i32 s0, 25
	s_mov_b32 s16, 0
	s_cbranch_scc0 .LBB7_1308
; %bb.1301:
	s_cmp_gt_i32 s0, 28
	s_cbranch_scc0 .LBB7_1309
; %bb.1302:
	s_cmp_gt_i32 s0, 43
	;; [unrolled: 3-line block ×3, first 2 shown]
	s_cbranch_scc0 .LBB7_1312
; %bb.1304:
	s_cmp_eq_u32 s0, 46
	s_mov_b32 s18, 0
	s_cbranch_scc0 .LBB7_1313
; %bb.1305:
	global_load_dword v6, v[4:5], off
	s_mov_b32 s5, 0
	s_mov_b32 s17, -1
	s_waitcnt vmcnt(0)
	v_lshlrev_b32_e32 v6, 16, v6
	v_cvt_f64_f32_e32 v[6:7], v6
	s_branch .LBB7_1315
.LBB7_1306:
	s_mov_b32 s17, 0
                                        ; implicit-def: $vgpr6_vgpr7
	s_cbranch_execnz .LBB7_1381
.LBB7_1307:
	s_andn2_b32 vcc_lo, exec_lo, s17
	s_cbranch_vccnz .LBB7_1997
	s_branch .LBB7_1429
.LBB7_1308:
	s_mov_b32 s18, -1
	s_mov_b32 s17, 0
	s_mov_b32 s5, 0
                                        ; implicit-def: $vgpr6_vgpr7
	s_branch .LBB7_1346
.LBB7_1309:
	s_mov_b32 s18, -1
	s_mov_b32 s17, 0
	s_mov_b32 s5, 0
                                        ; implicit-def: $vgpr6_vgpr7
	s_branch .LBB7_1325
.LBB7_1310:
	s_mov_b32 s18, -1
	s_mov_b32 s17, 0
	s_mov_b32 s5, 0
                                        ; implicit-def: $vgpr6_vgpr7
	s_branch .LBB7_1320
.LBB7_1311:
	s_or_b32 s4, s4, exec_lo
	s_trap 2
	s_cbranch_execz .LBB7_1248
	s_branch .LBB7_1249
.LBB7_1312:
	s_mov_b32 s18, -1
	s_mov_b32 s17, 0
	s_mov_b32 s5, 0
	s_branch .LBB7_1314
.LBB7_1313:
	s_mov_b32 s5, -1
	s_mov_b32 s17, 0
.LBB7_1314:
                                        ; implicit-def: $vgpr6_vgpr7
.LBB7_1315:
	s_and_b32 vcc_lo, exec_lo, s18
	s_cbranch_vccz .LBB7_1319
; %bb.1316:
	s_cmp_eq_u32 s0, 44
	s_cbranch_scc0 .LBB7_1318
; %bb.1317:
	global_load_ubyte v11, v[4:5], off
	s_mov_b32 s5, 0
	s_mov_b32 s17, -1
	s_waitcnt vmcnt(0)
	v_lshlrev_b32_e32 v6, 23, v11
	v_cmp_ne_u32_e32 vcc_lo, 0xff, v11
	v_cvt_f64_f32_e32 v[6:7], v6
	v_cndmask_b32_e32 v6, 0x20000000, v6, vcc_lo
	v_cndmask_b32_e32 v7, 0x7ff80000, v7, vcc_lo
	v_cmp_ne_u32_e32 vcc_lo, 0, v11
	v_cndmask_b32_e32 v7, 0x38000000, v7, vcc_lo
	v_cndmask_b32_e32 v6, 0, v6, vcc_lo
	s_branch .LBB7_1319
.LBB7_1318:
	s_mov_b32 s5, -1
                                        ; implicit-def: $vgpr6_vgpr7
.LBB7_1319:
	s_mov_b32 s18, 0
.LBB7_1320:
	s_and_b32 vcc_lo, exec_lo, s18
	s_cbranch_vccz .LBB7_1324
; %bb.1321:
	s_cmp_eq_u32 s0, 29
	s_cbranch_scc0 .LBB7_1323
; %bb.1322:
	global_load_dwordx2 v[6:7], v[4:5], off
	s_mov_b32 s5, 0
	s_mov_b32 s17, -1
	s_mov_b32 s18, 0
	s_waitcnt vmcnt(0)
	v_cvt_f64_u32_e32 v[11:12], v7
	v_cvt_f64_u32_e32 v[6:7], v6
	v_ldexp_f64 v[11:12], v[11:12], 32
	v_add_f64 v[6:7], v[11:12], v[6:7]
	s_branch .LBB7_1325
.LBB7_1323:
	s_mov_b32 s5, -1
                                        ; implicit-def: $vgpr6_vgpr7
.LBB7_1324:
	s_mov_b32 s18, 0
.LBB7_1325:
	s_and_b32 vcc_lo, exec_lo, s18
	s_cbranch_vccz .LBB7_1345
; %bb.1326:
	s_cmp_lt_i32 s0, 27
	s_cbranch_scc1 .LBB7_1329
; %bb.1327:
	s_cmp_gt_i32 s0, 27
	s_cbranch_scc0 .LBB7_1330
; %bb.1328:
	global_load_dword v6, v[4:5], off
	s_mov_b32 s17, 0
	s_waitcnt vmcnt(0)
	v_cvt_f64_u32_e32 v[6:7], v6
	s_branch .LBB7_1331
.LBB7_1329:
	s_mov_b32 s17, -1
                                        ; implicit-def: $vgpr6_vgpr7
	s_branch .LBB7_1334
.LBB7_1330:
	s_mov_b32 s17, -1
                                        ; implicit-def: $vgpr6_vgpr7
.LBB7_1331:
	s_andn2_b32 vcc_lo, exec_lo, s17
	s_cbranch_vccnz .LBB7_1333
; %bb.1332:
	global_load_ushort v6, v[4:5], off
	s_waitcnt vmcnt(0)
	v_cvt_f64_u32_e32 v[6:7], v6
.LBB7_1333:
	s_mov_b32 s17, 0
.LBB7_1334:
	s_andn2_b32 vcc_lo, exec_lo, s17
	s_cbranch_vccnz .LBB7_1344
; %bb.1335:
	global_load_ubyte v11, v[4:5], off
	s_mov_b32 s17, 0
	s_mov_b32 s18, exec_lo
	s_waitcnt vmcnt(0)
	v_cmpx_lt_i16_e32 0x7f, v11
	s_xor_b32 s18, exec_lo, s18
	s_cbranch_execz .LBB7_1339
; %bb.1336:
	s_mov_b32 s17, -1
	s_mov_b32 s19, exec_lo
	v_cmpx_eq_u16_e32 0x80, v11
; %bb.1337:
	s_xor_b32 s17, exec_lo, -1
; %bb.1338:
	s_or_b32 exec_lo, exec_lo, s19
	s_and_b32 s17, s17, exec_lo
.LBB7_1339:
	s_or_saveexec_b32 s18, s18
	v_bfrev_b32_e32 v6, 4
	v_mov_b32_e32 v7, 0x7ff80000
	s_xor_b32 exec_lo, exec_lo, s18
; %bb.1340:
	v_cmp_ne_u16_e32 vcc_lo, 0, v11
	v_mov_b32_e32 v6, 0
	v_mov_b32_e32 v7, 0
	s_andn2_b32 s17, s17, exec_lo
	s_and_b32 s19, vcc_lo, exec_lo
	s_or_b32 s17, s17, s19
; %bb.1341:
	s_or_b32 exec_lo, exec_lo, s18
	s_and_saveexec_b32 s18, s17
	s_cbranch_execz .LBB7_1343
; %bb.1342:
	v_and_b32_e32 v6, 0xffff, v11
	v_lshlrev_b32_e32 v11, 24, v11
	v_and_b32_e32 v7, 7, v6
	v_bfe_u32 v18, v6, 3, 4
	v_ffbh_u32_e32 v12, v7
	v_cmp_eq_u32_e32 vcc_lo, 0, v18
	v_min_u32_e32 v12, 32, v12
	v_subrev_nc_u32_e32 v13, 28, v12
	v_sub_nc_u32_e32 v12, 29, v12
	v_lshlrev_b32_e32 v6, v13, v6
	v_cndmask_b32_e32 v12, v18, v12, vcc_lo
	v_and_b32_e32 v6, 7, v6
	v_cndmask_b32_e32 v6, v7, v6, vcc_lo
	v_and_b32_e32 v7, 0x80000000, v11
	v_lshl_add_u32 v11, v12, 23, 0x3b800000
	v_lshlrev_b32_e32 v6, 20, v6
	v_or3_b32 v6, v7, v11, v6
	v_cvt_f64_f32_e32 v[6:7], v6
.LBB7_1343:
	s_or_b32 exec_lo, exec_lo, s18
.LBB7_1344:
	s_mov_b32 s17, -1
.LBB7_1345:
	s_mov_b32 s18, 0
.LBB7_1346:
	s_and_b32 vcc_lo, exec_lo, s18
	s_cbranch_vccz .LBB7_1377
; %bb.1347:
	s_cmp_gt_i32 s0, 22
	s_cbranch_scc0 .LBB7_1359
; %bb.1348:
	s_cmp_lt_i32 s0, 24
	s_cbranch_scc1 .LBB7_1360
; %bb.1349:
	s_cmp_gt_i32 s0, 24
	s_cbranch_scc0 .LBB7_1361
; %bb.1350:
	global_load_ubyte v11, v[4:5], off
	s_mov_b32 s17, exec_lo
	s_waitcnt vmcnt(0)
	v_cmpx_lt_i16_e32 0x7f, v11
	s_xor_b32 s17, exec_lo, s17
	s_cbranch_execz .LBB7_1354
; %bb.1351:
	s_mov_b32 s16, -1
	s_mov_b32 s18, exec_lo
	v_cmpx_eq_u16_e32 0x80, v11
; %bb.1352:
	s_xor_b32 s16, exec_lo, -1
; %bb.1353:
	s_or_b32 exec_lo, exec_lo, s18
	s_and_b32 s16, s16, exec_lo
.LBB7_1354:
	s_or_saveexec_b32 s17, s17
	v_bfrev_b32_e32 v6, 4
	v_mov_b32_e32 v7, 0x7ff80000
	s_xor_b32 exec_lo, exec_lo, s17
; %bb.1355:
	v_cmp_ne_u16_e32 vcc_lo, 0, v11
	v_mov_b32_e32 v6, 0
	v_mov_b32_e32 v7, 0
	s_andn2_b32 s16, s16, exec_lo
	s_and_b32 s18, vcc_lo, exec_lo
	s_or_b32 s16, s16, s18
; %bb.1356:
	s_or_b32 exec_lo, exec_lo, s17
	s_and_saveexec_b32 s17, s16
	s_cbranch_execz .LBB7_1358
; %bb.1357:
	v_and_b32_e32 v6, 0xffff, v11
	v_lshlrev_b32_e32 v11, 24, v11
	v_and_b32_e32 v7, 3, v6
	v_bfe_u32 v18, v6, 2, 5
	v_ffbh_u32_e32 v12, v7
	v_cmp_eq_u32_e32 vcc_lo, 0, v18
	v_min_u32_e32 v12, 32, v12
	v_subrev_nc_u32_e32 v13, 29, v12
	v_sub_nc_u32_e32 v12, 30, v12
	v_lshlrev_b32_e32 v6, v13, v6
	v_cndmask_b32_e32 v12, v18, v12, vcc_lo
	v_and_b32_e32 v6, 3, v6
	v_cndmask_b32_e32 v6, v7, v6, vcc_lo
	v_and_b32_e32 v7, 0x80000000, v11
	v_lshl_add_u32 v11, v12, 23, 0x37800000
	v_lshlrev_b32_e32 v6, 21, v6
	v_or3_b32 v6, v7, v11, v6
	v_cvt_f64_f32_e32 v[6:7], v6
.LBB7_1358:
	s_or_b32 exec_lo, exec_lo, s17
	s_mov_b32 s16, 0
	s_branch .LBB7_1362
.LBB7_1359:
	s_mov_b32 s16, -1
                                        ; implicit-def: $vgpr6_vgpr7
	s_branch .LBB7_1368
.LBB7_1360:
	s_mov_b32 s16, -1
                                        ; implicit-def: $vgpr6_vgpr7
	s_branch .LBB7_1365
.LBB7_1361:
	s_mov_b32 s16, -1
                                        ; implicit-def: $vgpr6_vgpr7
.LBB7_1362:
	s_and_b32 vcc_lo, exec_lo, s16
	s_cbranch_vccz .LBB7_1364
; %bb.1363:
	global_load_ubyte v6, v[4:5], off
	s_waitcnt vmcnt(0)
	v_lshlrev_b32_e32 v6, 24, v6
	v_and_b32_e32 v7, 0x7f000000, v6
	v_ffbh_u32_e32 v11, v7
	v_add_nc_u32_e32 v13, 0x1000000, v7
	v_cmp_ne_u32_e32 vcc_lo, 0, v7
	v_min_u32_e32 v11, 32, v11
	v_sub_nc_u32_e64 v11, v11, 4 clamp
	v_lshlrev_b32_e32 v12, v11, v7
	v_lshlrev_b32_e32 v11, 23, v11
	v_lshrrev_b32_e32 v12, 4, v12
	v_sub_nc_u32_e32 v11, v12, v11
	v_ashrrev_i32_e32 v12, 8, v13
	v_add_nc_u32_e32 v11, 0x3c000000, v11
	v_and_or_b32 v11, 0x7f800000, v12, v11
	v_cndmask_b32_e32 v7, 0, v11, vcc_lo
	v_and_or_b32 v6, 0x80000000, v6, v7
	v_cvt_f64_f32_e32 v[6:7], v6
.LBB7_1364:
	s_mov_b32 s16, 0
.LBB7_1365:
	s_andn2_b32 vcc_lo, exec_lo, s16
	s_cbranch_vccnz .LBB7_1367
; %bb.1366:
	global_load_ubyte v6, v[4:5], off
	s_waitcnt vmcnt(0)
	v_lshlrev_b32_e32 v7, 25, v6
	v_lshlrev_b16 v6, 8, v6
	v_lshrrev_b32_e32 v11, 4, v7
	v_and_or_b32 v12, 0x7f00, v6, 0.5
	v_cmp_gt_u32_e32 vcc_lo, 0x8000000, v7
	v_bfe_i32 v6, v6, 0, 16
	v_or_b32_e32 v11, 0x70000000, v11
	v_add_f32_e32 v12, -0.5, v12
	v_mul_f32_e32 v11, 0x7800000, v11
	v_cndmask_b32_e32 v7, v11, v12, vcc_lo
	v_and_or_b32 v6, 0x80000000, v6, v7
	v_cvt_f64_f32_e32 v[6:7], v6
.LBB7_1367:
	s_mov_b32 s16, 0
	s_mov_b32 s17, -1
.LBB7_1368:
	s_andn2_b32 vcc_lo, exec_lo, s16
	s_mov_b32 s16, 0
	s_cbranch_vccnz .LBB7_1377
; %bb.1369:
	s_cmp_gt_i32 s0, 14
	s_cbranch_scc0 .LBB7_1372
; %bb.1370:
	s_cmp_eq_u32 s0, 15
	s_cbranch_scc0 .LBB7_1373
; %bb.1371:
	global_load_ushort v6, v[4:5], off
	s_mov_b32 s5, 0
	s_mov_b32 s17, -1
	s_waitcnt vmcnt(0)
	v_lshlrev_b32_e32 v6, 16, v6
	v_cvt_f64_f32_e32 v[6:7], v6
	s_branch .LBB7_1375
.LBB7_1372:
	s_mov_b32 s16, -1
	s_branch .LBB7_1374
.LBB7_1373:
	s_mov_b32 s5, -1
.LBB7_1374:
                                        ; implicit-def: $vgpr6_vgpr7
.LBB7_1375:
	s_and_b32 vcc_lo, exec_lo, s16
	s_mov_b32 s16, 0
	s_cbranch_vccz .LBB7_1377
; %bb.1376:
	s_cmp_lg_u32 s0, 11
	s_mov_b32 s16, -1
	s_cselect_b32 s5, -1, 0
.LBB7_1377:
	s_and_b32 vcc_lo, exec_lo, s5
	s_cbranch_vccnz .LBB7_1442
; %bb.1378:
	s_andn2_b32 vcc_lo, exec_lo, s16
	s_cbranch_vccnz .LBB7_1380
.LBB7_1379:
	global_load_ubyte v6, v[4:5], off
	s_mov_b32 s17, -1
	s_waitcnt vmcnt(0)
	v_cmp_ne_u16_e32 vcc_lo, 0, v6
	v_mov_b32_e32 v6, 0
	v_cndmask_b32_e64 v7, 0, 0x3ff00000, vcc_lo
.LBB7_1380:
	s_branch .LBB7_1307
.LBB7_1381:
	s_cmp_lt_i32 s0, 5
	s_cbranch_scc1 .LBB7_1386
; %bb.1382:
	s_cmp_lt_i32 s0, 8
	s_cbranch_scc1 .LBB7_1387
; %bb.1383:
	;; [unrolled: 3-line block ×3, first 2 shown]
	s_cmp_gt_i32 s0, 9
	s_cbranch_scc0 .LBB7_1389
; %bb.1385:
	global_load_dwordx2 v[6:7], v[4:5], off
	s_mov_b32 s5, 0
	s_branch .LBB7_1390
.LBB7_1386:
	s_mov_b32 s5, -1
                                        ; implicit-def: $vgpr6_vgpr7
	s_branch .LBB7_1408
.LBB7_1387:
	s_mov_b32 s5, -1
                                        ; implicit-def: $vgpr6_vgpr7
	s_branch .LBB7_1396
.LBB7_1388:
	s_mov_b32 s5, -1
                                        ; implicit-def: $vgpr6_vgpr7
	s_branch .LBB7_1393
.LBB7_1389:
	s_mov_b32 s5, -1
                                        ; implicit-def: $vgpr6_vgpr7
.LBB7_1390:
	s_andn2_b32 vcc_lo, exec_lo, s5
	s_cbranch_vccnz .LBB7_1392
; %bb.1391:
	global_load_dword v6, v[4:5], off
	s_waitcnt vmcnt(0)
	v_cvt_f64_f32_e32 v[6:7], v6
.LBB7_1392:
	s_mov_b32 s5, 0
.LBB7_1393:
	s_andn2_b32 vcc_lo, exec_lo, s5
	s_cbranch_vccnz .LBB7_1395
; %bb.1394:
	global_load_dword v6, v[4:5], off
	s_waitcnt vmcnt(0)
	v_cvt_f32_f16_e32 v6, v6
	v_cvt_f64_f32_e32 v[6:7], v6
.LBB7_1395:
	s_mov_b32 s5, 0
.LBB7_1396:
	s_andn2_b32 vcc_lo, exec_lo, s5
	s_cbranch_vccnz .LBB7_1407
; %bb.1397:
	s_cmp_lt_i32 s0, 6
	s_cbranch_scc1 .LBB7_1400
; %bb.1398:
	s_cmp_gt_i32 s0, 6
	s_cbranch_scc0 .LBB7_1401
; %bb.1399:
	global_load_dwordx2 v[6:7], v[4:5], off
	s_mov_b32 s5, 0
	s_branch .LBB7_1402
.LBB7_1400:
	s_mov_b32 s5, -1
                                        ; implicit-def: $vgpr6_vgpr7
	s_branch .LBB7_1405
.LBB7_1401:
	s_mov_b32 s5, -1
                                        ; implicit-def: $vgpr6_vgpr7
.LBB7_1402:
	s_andn2_b32 vcc_lo, exec_lo, s5
	s_cbranch_vccnz .LBB7_1404
; %bb.1403:
	global_load_dword v6, v[4:5], off
	s_waitcnt vmcnt(0)
	v_cvt_f64_f32_e32 v[6:7], v6
.LBB7_1404:
	s_mov_b32 s5, 0
.LBB7_1405:
	s_andn2_b32 vcc_lo, exec_lo, s5
	s_cbranch_vccnz .LBB7_1407
; %bb.1406:
	global_load_ushort v6, v[4:5], off
	s_waitcnt vmcnt(0)
	v_cvt_f32_f16_e32 v6, v6
	v_cvt_f64_f32_e32 v[6:7], v6
.LBB7_1407:
	s_mov_b32 s5, 0
.LBB7_1408:
	s_andn2_b32 vcc_lo, exec_lo, s5
	s_cbranch_vccnz .LBB7_1428
; %bb.1409:
	s_cmp_lt_i32 s0, 2
	s_cbranch_scc1 .LBB7_1413
; %bb.1410:
	s_cmp_lt_i32 s0, 3
	s_cbranch_scc1 .LBB7_1414
; %bb.1411:
	s_cmp_gt_i32 s0, 3
	s_cbranch_scc0 .LBB7_1415
; %bb.1412:
	global_load_dwordx2 v[6:7], v[4:5], off
	s_mov_b32 s5, 0
	s_waitcnt vmcnt(0)
	v_cvt_f64_i32_e32 v[11:12], v7
	v_cvt_f64_u32_e32 v[6:7], v6
	v_ldexp_f64 v[11:12], v[11:12], 32
	v_add_f64 v[6:7], v[11:12], v[6:7]
	s_branch .LBB7_1416
.LBB7_1413:
	s_mov_b32 s5, -1
                                        ; implicit-def: $vgpr6_vgpr7
	s_branch .LBB7_1422
.LBB7_1414:
	s_mov_b32 s5, -1
                                        ; implicit-def: $vgpr6_vgpr7
	s_branch .LBB7_1419
.LBB7_1415:
	s_mov_b32 s5, -1
                                        ; implicit-def: $vgpr6_vgpr7
.LBB7_1416:
	s_andn2_b32 vcc_lo, exec_lo, s5
	s_cbranch_vccnz .LBB7_1418
; %bb.1417:
	global_load_dword v6, v[4:5], off
	s_waitcnt vmcnt(0)
	v_cvt_f64_i32_e32 v[6:7], v6
.LBB7_1418:
	s_mov_b32 s5, 0
.LBB7_1419:
	s_andn2_b32 vcc_lo, exec_lo, s5
	s_cbranch_vccnz .LBB7_1421
; %bb.1420:
	global_load_sshort v6, v[4:5], off
	s_waitcnt vmcnt(0)
	v_cvt_f64_i32_e32 v[6:7], v6
.LBB7_1421:
	s_mov_b32 s5, 0
.LBB7_1422:
	s_andn2_b32 vcc_lo, exec_lo, s5
	s_cbranch_vccnz .LBB7_1428
; %bb.1423:
	s_cmp_gt_i32 s0, 0
	s_mov_b32 s5, 0
	s_cbranch_scc0 .LBB7_1425
; %bb.1424:
	global_load_sbyte v6, v[4:5], off
	s_waitcnt vmcnt(0)
	v_cvt_f64_i32_e32 v[6:7], v6
	s_branch .LBB7_1426
.LBB7_1425:
	s_mov_b32 s5, -1
                                        ; implicit-def: $vgpr6_vgpr7
.LBB7_1426:
	s_andn2_b32 vcc_lo, exec_lo, s5
	s_cbranch_vccnz .LBB7_1428
; %bb.1427:
	global_load_ubyte v4, v[4:5], off
	s_waitcnt vmcnt(0)
	v_cvt_f64_u32_e32 v[6:7], v4
.LBB7_1428:
.LBB7_1429:
	s_waitcnt vmcnt(0)
	v_cvt_f32_f64_e32 v4, v[6:7]
	v_mov_b32_e32 v12, v14
	v_mov_b32_e32 v13, v15
	;; [unrolled: 1-line block ×3, first 2 shown]
	s_mov_b32 s5, exec_lo
	v_cmpx_nlg_f32_e64 0x7f800000, |v4|
	s_cbranch_execz .LBB7_1431
; %bb.1430:
	v_mov_b32_e32 v4, 0
	v_mov_b32_e32 v5, 1.0
	global_store_dword v4, v5, s[12:13]
	global_load_dword v19, v4, s[14:15]
	s_waitcnt vmcnt(0)
	v_cvt_f64_f32_e32 v[12:13], v19
.LBB7_1431:
	s_or_b32 exec_lo, exec_lo, s5
	v_add_nc_u32_e32 v4, s3, v10
	s_cmp_lt_i32 s0, 11
	v_ashrrev_i32_e32 v5, 31, v4
	v_add_co_u32 v10, vcc_lo, s10, v4
	v_add_co_ci_u32_e64 v11, null, s11, v5, vcc_lo
	s_cbranch_scc1 .LBB7_1438
; %bb.1432:
	s_cmp_gt_i32 s0, 25
	s_mov_b32 s5, 0
	s_cbranch_scc0 .LBB7_1439
; %bb.1433:
	s_cmp_gt_i32 s0, 28
	s_cbranch_scc0 .LBB7_1440
; %bb.1434:
	s_cmp_gt_i32 s0, 43
	;; [unrolled: 3-line block ×3, first 2 shown]
	s_cbranch_scc0 .LBB7_1443
; %bb.1436:
	s_cmp_eq_u32 s0, 46
	s_mov_b32 s11, 0
	s_cbranch_scc0 .LBB7_1444
; %bb.1437:
	global_load_dword v4, v[10:11], off
	s_mov_b32 s3, 0
	s_mov_b32 s10, -1
	s_waitcnt vmcnt(0)
	v_lshlrev_b32_e32 v4, 16, v4
	v_cvt_f64_f32_e32 v[4:5], v4
	s_branch .LBB7_1446
.LBB7_1438:
	s_mov_b32 s3, -1
	s_mov_b32 s10, 0
                                        ; implicit-def: $vgpr4_vgpr5
	s_branch .LBB7_1512
.LBB7_1439:
	s_mov_b32 s11, -1
	s_mov_b32 s10, 0
	s_mov_b32 s3, 0
                                        ; implicit-def: $vgpr4_vgpr5
	s_branch .LBB7_1477
.LBB7_1440:
	s_mov_b32 s11, -1
	s_mov_b32 s10, 0
	s_mov_b32 s3, 0
                                        ; implicit-def: $vgpr4_vgpr5
	s_branch .LBB7_1456
.LBB7_1441:
	s_mov_b32 s11, -1
	s_mov_b32 s10, 0
	s_mov_b32 s3, 0
                                        ; implicit-def: $vgpr4_vgpr5
	s_branch .LBB7_1451
.LBB7_1442:
	s_or_b32 s4, s4, exec_lo
	s_trap 2
	s_cbranch_execz .LBB7_1379
	s_branch .LBB7_1380
.LBB7_1443:
	s_mov_b32 s11, -1
	s_mov_b32 s10, 0
	s_mov_b32 s3, 0
	s_branch .LBB7_1445
.LBB7_1444:
	s_mov_b32 s3, -1
	s_mov_b32 s10, 0
.LBB7_1445:
                                        ; implicit-def: $vgpr4_vgpr5
.LBB7_1446:
	s_and_b32 vcc_lo, exec_lo, s11
	s_cbranch_vccz .LBB7_1450
; %bb.1447:
	s_cmp_eq_u32 s0, 44
	s_cbranch_scc0 .LBB7_1449
; %bb.1448:
	global_load_ubyte v18, v[10:11], off
	s_mov_b32 s3, 0
	s_mov_b32 s10, -1
	s_waitcnt vmcnt(0)
	v_lshlrev_b32_e32 v4, 23, v18
	v_cmp_ne_u32_e32 vcc_lo, 0xff, v18
	v_cvt_f64_f32_e32 v[4:5], v4
	v_cndmask_b32_e32 v4, 0x20000000, v4, vcc_lo
	v_cndmask_b32_e32 v5, 0x7ff80000, v5, vcc_lo
	v_cmp_ne_u32_e32 vcc_lo, 0, v18
	v_cndmask_b32_e32 v5, 0x38000000, v5, vcc_lo
	v_cndmask_b32_e32 v4, 0, v4, vcc_lo
	s_branch .LBB7_1450
.LBB7_1449:
	s_mov_b32 s3, -1
                                        ; implicit-def: $vgpr4_vgpr5
.LBB7_1450:
	s_mov_b32 s11, 0
.LBB7_1451:
	s_and_b32 vcc_lo, exec_lo, s11
	s_cbranch_vccz .LBB7_1455
; %bb.1452:
	s_cmp_eq_u32 s0, 29
	s_cbranch_scc0 .LBB7_1454
; %bb.1453:
	global_load_dwordx2 v[4:5], v[10:11], off
	s_mov_b32 s3, 0
	s_mov_b32 s10, -1
	s_mov_b32 s11, 0
	s_waitcnt vmcnt(0)
	v_cvt_f64_u32_e32 v[21:22], v5
	v_cvt_f64_u32_e32 v[4:5], v4
	v_ldexp_f64 v[21:22], v[21:22], 32
	v_add_f64 v[4:5], v[21:22], v[4:5]
	s_branch .LBB7_1456
.LBB7_1454:
	s_mov_b32 s3, -1
                                        ; implicit-def: $vgpr4_vgpr5
.LBB7_1455:
	s_mov_b32 s11, 0
.LBB7_1456:
	s_and_b32 vcc_lo, exec_lo, s11
	s_cbranch_vccz .LBB7_1476
; %bb.1457:
	s_cmp_lt_i32 s0, 27
	s_cbranch_scc1 .LBB7_1460
; %bb.1458:
	s_cmp_gt_i32 s0, 27
	s_cbranch_scc0 .LBB7_1461
; %bb.1459:
	global_load_dword v4, v[10:11], off
	s_mov_b32 s10, 0
	s_waitcnt vmcnt(0)
	v_cvt_f64_u32_e32 v[4:5], v4
	s_branch .LBB7_1462
.LBB7_1460:
	s_mov_b32 s10, -1
                                        ; implicit-def: $vgpr4_vgpr5
	s_branch .LBB7_1465
.LBB7_1461:
	s_mov_b32 s10, -1
                                        ; implicit-def: $vgpr4_vgpr5
.LBB7_1462:
	s_andn2_b32 vcc_lo, exec_lo, s10
	s_cbranch_vccnz .LBB7_1464
; %bb.1463:
	global_load_ushort v4, v[10:11], off
	s_waitcnt vmcnt(0)
	v_cvt_f64_u32_e32 v[4:5], v4
.LBB7_1464:
	s_mov_b32 s10, 0
.LBB7_1465:
	s_andn2_b32 vcc_lo, exec_lo, s10
	s_cbranch_vccnz .LBB7_1475
; %bb.1466:
	global_load_ubyte v18, v[10:11], off
	s_mov_b32 s10, 0
	s_mov_b32 s11, exec_lo
	s_waitcnt vmcnt(0)
	v_cmpx_lt_i16_e32 0x7f, v18
	s_xor_b32 s11, exec_lo, s11
	s_cbranch_execz .LBB7_1470
; %bb.1467:
	s_mov_b32 s10, -1
	s_mov_b32 s16, exec_lo
	v_cmpx_eq_u16_e32 0x80, v18
; %bb.1468:
	s_xor_b32 s10, exec_lo, -1
; %bb.1469:
	s_or_b32 exec_lo, exec_lo, s16
	s_and_b32 s10, s10, exec_lo
.LBB7_1470:
	s_or_saveexec_b32 s11, s11
	v_bfrev_b32_e32 v4, 4
	v_mov_b32_e32 v5, 0x7ff80000
	s_xor_b32 exec_lo, exec_lo, s11
; %bb.1471:
	v_cmp_ne_u16_e32 vcc_lo, 0, v18
	v_mov_b32_e32 v4, 0
	v_mov_b32_e32 v5, 0
	s_andn2_b32 s10, s10, exec_lo
	s_and_b32 s16, vcc_lo, exec_lo
	s_or_b32 s10, s10, s16
; %bb.1472:
	s_or_b32 exec_lo, exec_lo, s11
	s_and_saveexec_b32 s11, s10
	s_cbranch_execz .LBB7_1474
; %bb.1473:
	v_and_b32_e32 v4, 0xffff, v18
	v_lshlrev_b32_e32 v18, 24, v18
	v_and_b32_e32 v5, 7, v4
	v_bfe_u32 v23, v4, 3, 4
	v_ffbh_u32_e32 v21, v5
	v_cmp_eq_u32_e32 vcc_lo, 0, v23
	v_min_u32_e32 v21, 32, v21
	v_subrev_nc_u32_e32 v22, 28, v21
	v_sub_nc_u32_e32 v21, 29, v21
	v_lshlrev_b32_e32 v4, v22, v4
	v_cndmask_b32_e32 v21, v23, v21, vcc_lo
	v_and_b32_e32 v4, 7, v4
	v_cndmask_b32_e32 v4, v5, v4, vcc_lo
	v_and_b32_e32 v5, 0x80000000, v18
	v_lshl_add_u32 v18, v21, 23, 0x3b800000
	v_lshlrev_b32_e32 v4, 20, v4
	v_or3_b32 v4, v5, v18, v4
	v_cvt_f64_f32_e32 v[4:5], v4
.LBB7_1474:
	s_or_b32 exec_lo, exec_lo, s11
.LBB7_1475:
	s_mov_b32 s10, -1
.LBB7_1476:
	s_mov_b32 s11, 0
.LBB7_1477:
	s_and_b32 vcc_lo, exec_lo, s11
	s_cbranch_vccz .LBB7_1508
; %bb.1478:
	s_cmp_gt_i32 s0, 22
	s_cbranch_scc0 .LBB7_1490
; %bb.1479:
	s_cmp_lt_i32 s0, 24
	s_cbranch_scc1 .LBB7_1491
; %bb.1480:
	s_cmp_gt_i32 s0, 24
	s_cbranch_scc0 .LBB7_1492
; %bb.1481:
	global_load_ubyte v18, v[10:11], off
	s_mov_b32 s10, exec_lo
	s_waitcnt vmcnt(0)
	v_cmpx_lt_i16_e32 0x7f, v18
	s_xor_b32 s10, exec_lo, s10
	s_cbranch_execz .LBB7_1485
; %bb.1482:
	s_mov_b32 s5, -1
	s_mov_b32 s11, exec_lo
	v_cmpx_eq_u16_e32 0x80, v18
; %bb.1483:
	s_xor_b32 s5, exec_lo, -1
; %bb.1484:
	s_or_b32 exec_lo, exec_lo, s11
	s_and_b32 s5, s5, exec_lo
.LBB7_1485:
	s_or_saveexec_b32 s10, s10
	v_bfrev_b32_e32 v4, 4
	v_mov_b32_e32 v5, 0x7ff80000
	s_xor_b32 exec_lo, exec_lo, s10
; %bb.1486:
	v_cmp_ne_u16_e32 vcc_lo, 0, v18
	v_mov_b32_e32 v4, 0
	v_mov_b32_e32 v5, 0
	s_andn2_b32 s5, s5, exec_lo
	s_and_b32 s11, vcc_lo, exec_lo
	s_or_b32 s5, s5, s11
; %bb.1487:
	s_or_b32 exec_lo, exec_lo, s10
	s_and_saveexec_b32 s10, s5
	s_cbranch_execz .LBB7_1489
; %bb.1488:
	v_and_b32_e32 v4, 0xffff, v18
	v_lshlrev_b32_e32 v18, 24, v18
	v_and_b32_e32 v5, 3, v4
	v_bfe_u32 v23, v4, 2, 5
	v_ffbh_u32_e32 v21, v5
	v_cmp_eq_u32_e32 vcc_lo, 0, v23
	v_min_u32_e32 v21, 32, v21
	v_subrev_nc_u32_e32 v22, 29, v21
	v_sub_nc_u32_e32 v21, 30, v21
	v_lshlrev_b32_e32 v4, v22, v4
	v_cndmask_b32_e32 v21, v23, v21, vcc_lo
	v_and_b32_e32 v4, 3, v4
	v_cndmask_b32_e32 v4, v5, v4, vcc_lo
	v_and_b32_e32 v5, 0x80000000, v18
	v_lshl_add_u32 v18, v21, 23, 0x37800000
	v_lshlrev_b32_e32 v4, 21, v4
	v_or3_b32 v4, v5, v18, v4
	v_cvt_f64_f32_e32 v[4:5], v4
.LBB7_1489:
	s_or_b32 exec_lo, exec_lo, s10
	s_mov_b32 s5, 0
	s_branch .LBB7_1493
.LBB7_1490:
	s_mov_b32 s5, -1
                                        ; implicit-def: $vgpr4_vgpr5
	s_branch .LBB7_1499
.LBB7_1491:
	s_mov_b32 s5, -1
                                        ; implicit-def: $vgpr4_vgpr5
	s_branch .LBB7_1496
.LBB7_1492:
	s_mov_b32 s5, -1
                                        ; implicit-def: $vgpr4_vgpr5
.LBB7_1493:
	s_and_b32 vcc_lo, exec_lo, s5
	s_cbranch_vccz .LBB7_1495
; %bb.1494:
	global_load_ubyte v4, v[10:11], off
	s_waitcnt vmcnt(0)
	v_lshlrev_b32_e32 v4, 24, v4
	v_and_b32_e32 v5, 0x7f000000, v4
	v_ffbh_u32_e32 v18, v5
	v_add_nc_u32_e32 v22, 0x1000000, v5
	v_cmp_ne_u32_e32 vcc_lo, 0, v5
	v_min_u32_e32 v18, 32, v18
	v_sub_nc_u32_e64 v18, v18, 4 clamp
	v_lshlrev_b32_e32 v21, v18, v5
	v_lshlrev_b32_e32 v18, 23, v18
	v_lshrrev_b32_e32 v21, 4, v21
	v_sub_nc_u32_e32 v18, v21, v18
	v_ashrrev_i32_e32 v21, 8, v22
	v_add_nc_u32_e32 v18, 0x3c000000, v18
	v_and_or_b32 v18, 0x7f800000, v21, v18
	v_cndmask_b32_e32 v5, 0, v18, vcc_lo
	v_and_or_b32 v4, 0x80000000, v4, v5
	v_cvt_f64_f32_e32 v[4:5], v4
.LBB7_1495:
	s_mov_b32 s5, 0
.LBB7_1496:
	s_andn2_b32 vcc_lo, exec_lo, s5
	s_cbranch_vccnz .LBB7_1498
; %bb.1497:
	global_load_ubyte v4, v[10:11], off
	s_waitcnt vmcnt(0)
	v_lshlrev_b32_e32 v5, 25, v4
	v_lshlrev_b16 v4, 8, v4
	v_lshrrev_b32_e32 v18, 4, v5
	v_and_or_b32 v21, 0x7f00, v4, 0.5
	v_cmp_gt_u32_e32 vcc_lo, 0x8000000, v5
	v_bfe_i32 v4, v4, 0, 16
	v_or_b32_e32 v18, 0x70000000, v18
	v_add_f32_e32 v21, -0.5, v21
	v_mul_f32_e32 v18, 0x7800000, v18
	v_cndmask_b32_e32 v5, v18, v21, vcc_lo
	v_and_or_b32 v4, 0x80000000, v4, v5
	v_cvt_f64_f32_e32 v[4:5], v4
.LBB7_1498:
	s_mov_b32 s5, 0
	s_mov_b32 s10, -1
.LBB7_1499:
	s_andn2_b32 vcc_lo, exec_lo, s5
	s_mov_b32 s5, 0
	s_cbranch_vccnz .LBB7_1508
; %bb.1500:
	s_cmp_gt_i32 s0, 14
	s_cbranch_scc0 .LBB7_1503
; %bb.1501:
	s_cmp_eq_u32 s0, 15
	s_cbranch_scc0 .LBB7_1504
; %bb.1502:
	global_load_ushort v4, v[10:11], off
	s_mov_b32 s3, 0
	s_mov_b32 s10, -1
	s_waitcnt vmcnt(0)
	v_lshlrev_b32_e32 v4, 16, v4
	v_cvt_f64_f32_e32 v[4:5], v4
	s_branch .LBB7_1506
.LBB7_1503:
	s_mov_b32 s5, -1
	s_branch .LBB7_1505
.LBB7_1504:
	s_mov_b32 s3, -1
.LBB7_1505:
                                        ; implicit-def: $vgpr4_vgpr5
.LBB7_1506:
	s_and_b32 vcc_lo, exec_lo, s5
	s_mov_b32 s5, 0
	s_cbranch_vccz .LBB7_1508
; %bb.1507:
	s_cmp_lg_u32 s0, 11
	s_mov_b32 s5, -1
	s_cselect_b32 s3, -1, 0
.LBB7_1508:
	s_and_b32 vcc_lo, exec_lo, s3
	s_cbranch_vccnz .LBB7_2043
; %bb.1509:
	s_andn2_b32 vcc_lo, exec_lo, s5
	s_cbranch_vccnz .LBB7_1511
.LBB7_1510:
	global_load_ubyte v4, v[10:11], off
	s_mov_b32 s10, -1
	s_waitcnt vmcnt(0)
	v_cmp_ne_u16_e32 vcc_lo, 0, v4
	v_mov_b32_e32 v4, 0
	v_cndmask_b32_e64 v5, 0, 0x3ff00000, vcc_lo
.LBB7_1511:
	s_mov_b32 s3, 0
.LBB7_1512:
	s_and_b32 vcc_lo, exec_lo, s3
	s_cbranch_vccz .LBB7_1561
; %bb.1513:
	s_cmp_lt_i32 s0, 5
	s_cbranch_scc1 .LBB7_1518
; %bb.1514:
	s_cmp_lt_i32 s0, 8
	s_cbranch_scc1 .LBB7_1519
	;; [unrolled: 3-line block ×3, first 2 shown]
; %bb.1516:
	s_cmp_gt_i32 s0, 9
	s_cbranch_scc0 .LBB7_1521
; %bb.1517:
	global_load_dwordx2 v[4:5], v[10:11], off
	s_mov_b32 s3, 0
	s_branch .LBB7_1522
.LBB7_1518:
	s_mov_b32 s3, -1
                                        ; implicit-def: $vgpr4_vgpr5
	s_branch .LBB7_1540
.LBB7_1519:
	s_mov_b32 s3, -1
                                        ; implicit-def: $vgpr4_vgpr5
	s_branch .LBB7_1528
.LBB7_1520:
	s_mov_b32 s3, -1
                                        ; implicit-def: $vgpr4_vgpr5
	s_branch .LBB7_1525
.LBB7_1521:
	s_mov_b32 s3, -1
                                        ; implicit-def: $vgpr4_vgpr5
.LBB7_1522:
	s_andn2_b32 vcc_lo, exec_lo, s3
	s_cbranch_vccnz .LBB7_1524
; %bb.1523:
	global_load_dword v4, v[10:11], off
	s_waitcnt vmcnt(0)
	v_cvt_f64_f32_e32 v[4:5], v4
.LBB7_1524:
	s_mov_b32 s3, 0
.LBB7_1525:
	s_andn2_b32 vcc_lo, exec_lo, s3
	s_cbranch_vccnz .LBB7_1527
; %bb.1526:
	global_load_dword v4, v[10:11], off
	s_waitcnt vmcnt(0)
	v_cvt_f32_f16_e32 v4, v4
	v_cvt_f64_f32_e32 v[4:5], v4
.LBB7_1527:
	s_mov_b32 s3, 0
.LBB7_1528:
	s_andn2_b32 vcc_lo, exec_lo, s3
	s_cbranch_vccnz .LBB7_1539
; %bb.1529:
	s_cmp_lt_i32 s0, 6
	s_cbranch_scc1 .LBB7_1532
; %bb.1530:
	s_cmp_gt_i32 s0, 6
	s_cbranch_scc0 .LBB7_1533
; %bb.1531:
	global_load_dwordx2 v[4:5], v[10:11], off
	s_mov_b32 s3, 0
	s_branch .LBB7_1534
.LBB7_1532:
	s_mov_b32 s3, -1
                                        ; implicit-def: $vgpr4_vgpr5
	s_branch .LBB7_1537
.LBB7_1533:
	s_mov_b32 s3, -1
                                        ; implicit-def: $vgpr4_vgpr5
.LBB7_1534:
	s_andn2_b32 vcc_lo, exec_lo, s3
	s_cbranch_vccnz .LBB7_1536
; %bb.1535:
	global_load_dword v4, v[10:11], off
	s_waitcnt vmcnt(0)
	v_cvt_f64_f32_e32 v[4:5], v4
.LBB7_1536:
	s_mov_b32 s3, 0
.LBB7_1537:
	s_andn2_b32 vcc_lo, exec_lo, s3
	s_cbranch_vccnz .LBB7_1539
; %bb.1538:
	global_load_ushort v4, v[10:11], off
	s_waitcnt vmcnt(0)
	v_cvt_f32_f16_e32 v4, v4
	v_cvt_f64_f32_e32 v[4:5], v4
.LBB7_1539:
	s_mov_b32 s3, 0
.LBB7_1540:
	s_andn2_b32 vcc_lo, exec_lo, s3
	s_cbranch_vccnz .LBB7_1560
; %bb.1541:
	s_cmp_lt_i32 s0, 2
	s_cbranch_scc1 .LBB7_1545
; %bb.1542:
	s_cmp_lt_i32 s0, 3
	s_cbranch_scc1 .LBB7_1546
; %bb.1543:
	s_cmp_gt_i32 s0, 3
	s_cbranch_scc0 .LBB7_1547
; %bb.1544:
	global_load_dwordx2 v[4:5], v[10:11], off
	s_mov_b32 s3, 0
	s_waitcnt vmcnt(0)
	v_cvt_f64_i32_e32 v[21:22], v5
	v_cvt_f64_u32_e32 v[4:5], v4
	v_ldexp_f64 v[21:22], v[21:22], 32
	v_add_f64 v[4:5], v[21:22], v[4:5]
	s_branch .LBB7_1548
.LBB7_1545:
	s_mov_b32 s3, -1
                                        ; implicit-def: $vgpr4_vgpr5
	s_branch .LBB7_1554
.LBB7_1546:
	s_mov_b32 s3, -1
                                        ; implicit-def: $vgpr4_vgpr5
	s_branch .LBB7_1551
.LBB7_1547:
	s_mov_b32 s3, -1
                                        ; implicit-def: $vgpr4_vgpr5
.LBB7_1548:
	s_andn2_b32 vcc_lo, exec_lo, s3
	s_cbranch_vccnz .LBB7_1550
; %bb.1549:
	global_load_dword v4, v[10:11], off
	s_waitcnt vmcnt(0)
	v_cvt_f64_i32_e32 v[4:5], v4
.LBB7_1550:
	s_mov_b32 s3, 0
.LBB7_1551:
	s_andn2_b32 vcc_lo, exec_lo, s3
	s_cbranch_vccnz .LBB7_1553
; %bb.1552:
	global_load_sshort v4, v[10:11], off
	s_waitcnt vmcnt(0)
	v_cvt_f64_i32_e32 v[4:5], v4
.LBB7_1553:
	s_mov_b32 s3, 0
.LBB7_1554:
	s_andn2_b32 vcc_lo, exec_lo, s3
	s_cbranch_vccnz .LBB7_1560
; %bb.1555:
	s_cmp_gt_i32 s0, 0
	s_mov_b32 s0, 0
	s_cbranch_scc0 .LBB7_1557
; %bb.1556:
	global_load_sbyte v4, v[10:11], off
	s_waitcnt vmcnt(0)
	v_cvt_f64_i32_e32 v[4:5], v4
	s_branch .LBB7_1558
.LBB7_1557:
	s_mov_b32 s0, -1
                                        ; implicit-def: $vgpr4_vgpr5
.LBB7_1558:
	s_andn2_b32 vcc_lo, exec_lo, s0
	s_cbranch_vccnz .LBB7_1560
; %bb.1559:
	global_load_ubyte v4, v[10:11], off
	s_waitcnt vmcnt(0)
	v_cvt_f64_u32_e32 v[4:5], v4
.LBB7_1560:
	s_mov_b32 s10, -1
.LBB7_1561:
	s_andn2_b32 vcc_lo, exec_lo, s10
	s_cbranch_vccnz .LBB7_1997
; %bb.1562:
	s_waitcnt vmcnt(0)
	v_cvt_f32_f64_e32 v18, v[4:5]
	v_mov_b32_e32 v10, v12
	v_mov_b32_e32 v11, v13
	v_cmp_nlg_f32_e64 s3, 0x7f800000, |v18|
	v_mov_b32_e32 v18, v19
	s_and_saveexec_b32 s0, s3
	s_cbranch_execz .LBB7_1564
; %bb.1563:
	v_mov_b32_e32 v10, 0
	v_mov_b32_e32 v11, 1.0
	global_store_dword v10, v11, s[12:13]
	global_load_dword v18, v10, s[14:15]
	s_waitcnt vmcnt(0)
	v_cvt_f64_f32_e32 v[10:11], v18
.LBB7_1564:
	s_or_b32 exec_lo, exec_lo, s0
	v_mul_f64 v[2:3], v[0:1], v[2:3]
	v_mul_lo_u32 v21, s2, v16
	v_cmp_eq_f32_e32 vcc_lo, 1.0, v17
	s_and_b32 s16, s1, 0xff
	s_cmp_lt_i32 s16, 11
	v_ashrrev_i32_e32 v22, 31, v21
	v_add_co_u32 v16, s0, s8, v21
	v_add_co_ci_u32_e64 v17, null, s9, v22, s0
	v_cndmask_b32_e32 v1, v3, v1, vcc_lo
	v_cndmask_b32_e32 v0, v2, v0, vcc_lo
	s_cbranch_scc1 .LBB7_1642
; %bb.1565:
	s_and_b32 s1, 0xffff, s16
	s_mov_b32 s10, -1
	s_mov_b32 s3, 0
	s_cmp_gt_i32 s1, 25
	s_mov_b32 s5, 0
	s_mov_b32 s0, 0
	s_cbranch_scc0 .LBB7_1598
; %bb.1566:
	s_cmp_gt_i32 s1, 28
	s_cbranch_scc0 .LBB7_1581
; %bb.1567:
	s_cmp_gt_i32 s1, 43
	;; [unrolled: 3-line block ×3, first 2 shown]
	s_cbranch_scc0 .LBB7_1571
; %bb.1569:
	s_mov_b32 s0, -1
	s_mov_b32 s10, 0
	s_cmp_eq_u32 s1, 46
	s_cbranch_scc0 .LBB7_1571
; %bb.1570:
	v_cvt_f32_f64_e32 v2, v[0:1]
	s_mov_b32 s0, 0
	s_mov_b32 s5, -1
	v_bfe_u32 v3, v2, 16, 1
	v_cmp_o_f32_e32 vcc_lo, v2, v2
	v_add3_u32 v2, v2, v3, 0x7fff
	v_mov_b32_e32 v3, 0x7fc0
	v_cndmask_b32_sdwa v2, v3, v2, vcc_lo dst_sel:DWORD dst_unused:UNUSED_PAD src0_sel:DWORD src1_sel:WORD_1
	global_store_dword v[16:17], v2, off
.LBB7_1571:
	s_and_b32 vcc_lo, exec_lo, s10
	s_cbranch_vccz .LBB7_1576
; %bb.1572:
	s_cmp_eq_u32 s1, 44
	s_mov_b32 s0, -1
	s_cbranch_scc0 .LBB7_1576
; %bb.1573:
	v_cvt_f32_f64_e32 v2, v[0:1]
	v_mov_b32_e32 v3, 0xff
	s_mov_b32 s5, exec_lo
	v_bfe_u32 v22, v2, 23, 8
	v_cmpx_ne_u32_e32 0xff, v22
	s_cbranch_execz .LBB7_1575
; %bb.1574:
	v_and_b32_e32 v3, 0x400000, v2
	v_and_or_b32 v22, 0x3fffff, v2, v22
	v_lshrrev_b32_e32 v2, 23, v2
	v_cmp_ne_u32_e32 vcc_lo, 0, v3
	v_cmp_ne_u32_e64 s0, 0, v22
	s_and_b32 s0, vcc_lo, s0
	v_cndmask_b32_e64 v3, 0, 1, s0
	v_add_nc_u32_e32 v3, v2, v3
.LBB7_1575:
	s_or_b32 exec_lo, exec_lo, s5
	s_mov_b32 s0, 0
	s_mov_b32 s5, -1
	global_store_byte v[16:17], v3, off
.LBB7_1576:
	s_mov_b32 s10, 0
.LBB7_1577:
	s_and_b32 vcc_lo, exec_lo, s10
	s_cbranch_vccz .LBB7_1580
; %bb.1578:
	s_cmp_eq_u32 s1, 29
	s_mov_b32 s0, -1
	s_cbranch_scc0 .LBB7_1580
; %bb.1579:
	v_trunc_f64_e32 v[2:3], v[0:1]
	s_mov_b32 s0, 0
	s_mov_b32 s5, -1
	v_ldexp_f64 v[22:23], v[2:3], 0xffffffe0
	v_floor_f64_e32 v[22:23], v[22:23]
	v_fma_f64 v[2:3], 0xc1f00000, v[22:23], v[2:3]
	v_cvt_u32_f64_e32 v23, v[22:23]
	v_cvt_u32_f64_e32 v22, v[2:3]
	global_store_dwordx2 v[16:17], v[22:23], off
.LBB7_1580:
	s_mov_b32 s10, 0
.LBB7_1581:
	s_and_b32 vcc_lo, exec_lo, s10
	s_cbranch_vccz .LBB7_1597
; %bb.1582:
	s_cmp_lt_i32 s1, 27
	s_mov_b32 s5, -1
	s_cbranch_scc1 .LBB7_1588
; %bb.1583:
	v_cvt_u32_f64_e32 v2, v[0:1]
	s_cmp_gt_i32 s1, 27
	s_cbranch_scc0 .LBB7_1585
; %bb.1584:
	s_mov_b32 s5, 0
	global_store_dword v[16:17], v2, off
.LBB7_1585:
	s_andn2_b32 vcc_lo, exec_lo, s5
	s_cbranch_vccnz .LBB7_1587
; %bb.1586:
	global_store_short v[16:17], v2, off
.LBB7_1587:
	s_mov_b32 s5, 0
.LBB7_1588:
	s_andn2_b32 vcc_lo, exec_lo, s5
	s_cbranch_vccnz .LBB7_1596
; %bb.1589:
	v_cvt_f32_f64_e32 v2, v[0:1]
	v_mov_b32_e32 v22, 0x80
	s_mov_b32 s5, exec_lo
	v_and_b32_e32 v3, 0x7fffffff, v2
	v_cmpx_gt_u32_e32 0x43800000, v3
	s_cbranch_execz .LBB7_1595
; %bb.1590:
	v_cmp_lt_u32_e32 vcc_lo, 0x3bffffff, v3
	s_mov_b32 s10, 0
                                        ; implicit-def: $vgpr3
	s_and_saveexec_b32 s11, vcc_lo
	s_xor_b32 s11, exec_lo, s11
	s_cbranch_execz .LBB7_2044
; %bb.1591:
	v_bfe_u32 v3, v2, 20, 1
	s_mov_b32 s10, exec_lo
	v_add3_u32 v3, v2, v3, 0x487ffff
	v_lshrrev_b32_e32 v3, 20, v3
	s_andn2_saveexec_b32 s11, s11
	s_cbranch_execnz .LBB7_2045
.LBB7_1592:
	s_or_b32 exec_lo, exec_lo, s11
	v_mov_b32_e32 v22, 0
	s_and_saveexec_b32 s11, s10
.LBB7_1593:
	v_lshrrev_b32_e32 v2, 24, v2
	v_and_or_b32 v22, 0x80, v2, v3
.LBB7_1594:
	s_or_b32 exec_lo, exec_lo, s11
.LBB7_1595:
	s_or_b32 exec_lo, exec_lo, s5
	global_store_byte v[16:17], v22, off
.LBB7_1596:
	s_mov_b32 s5, -1
.LBB7_1597:
	s_mov_b32 s10, 0
.LBB7_1598:
	s_and_b32 vcc_lo, exec_lo, s10
	s_cbranch_vccz .LBB7_1638
; %bb.1599:
	s_cmp_gt_i32 s1, 22
	s_mov_b32 s3, -1
	s_cbranch_scc0 .LBB7_1631
; %bb.1600:
	s_cmp_lt_i32 s1, 24
	s_cbranch_scc1 .LBB7_1620
; %bb.1601:
	s_cmp_gt_i32 s1, 24
	s_cbranch_scc0 .LBB7_1609
; %bb.1602:
	v_cvt_f32_f64_e32 v2, v[0:1]
	v_mov_b32_e32 v22, 0x80
	s_mov_b32 s3, exec_lo
	v_and_b32_e32 v3, 0x7fffffff, v2
	v_cmpx_gt_u32_e32 0x47800000, v3
	s_cbranch_execz .LBB7_1608
; %bb.1603:
	v_cmp_lt_u32_e32 vcc_lo, 0x37ffffff, v3
	s_mov_b32 s5, 0
                                        ; implicit-def: $vgpr3
	s_and_saveexec_b32 s10, vcc_lo
	s_xor_b32 s10, exec_lo, s10
	s_cbranch_execz .LBB7_2047
; %bb.1604:
	v_bfe_u32 v3, v2, 21, 1
	s_mov_b32 s5, exec_lo
	v_add3_u32 v3, v2, v3, 0x88fffff
	v_lshrrev_b32_e32 v3, 21, v3
	s_andn2_saveexec_b32 s10, s10
	s_cbranch_execnz .LBB7_2048
.LBB7_1605:
	s_or_b32 exec_lo, exec_lo, s10
	v_mov_b32_e32 v22, 0
	s_and_saveexec_b32 s10, s5
.LBB7_1606:
	v_lshrrev_b32_e32 v2, 24, v2
	v_and_or_b32 v22, 0x80, v2, v3
.LBB7_1607:
	s_or_b32 exec_lo, exec_lo, s10
.LBB7_1608:
	s_or_b32 exec_lo, exec_lo, s3
	s_mov_b32 s3, 0
	global_store_byte v[16:17], v22, off
.LBB7_1609:
	s_and_b32 vcc_lo, exec_lo, s3
	s_cbranch_vccz .LBB7_1619
; %bb.1610:
	v_cvt_f32_f64_e32 v2, v[0:1]
	s_mov_b32 s3, exec_lo
                                        ; implicit-def: $vgpr3
	v_and_b32_e32 v22, 0x7fffffff, v2
	v_cmpx_gt_u32_e32 0x43f00000, v22
	s_xor_b32 s3, exec_lo, s3
	s_cbranch_execz .LBB7_1616
; %bb.1611:
	s_mov_b32 s5, exec_lo
                                        ; implicit-def: $vgpr3
	v_cmpx_lt_u32_e32 0x3c7fffff, v22
	s_xor_b32 s5, exec_lo, s5
; %bb.1612:
	v_bfe_u32 v3, v2, 20, 1
	v_add3_u32 v3, v2, v3, 0x407ffff
	v_and_b32_e32 v22, 0xff00000, v3
	v_lshrrev_b32_e32 v3, 20, v3
	v_cmp_ne_u32_e32 vcc_lo, 0x7f00000, v22
	v_cndmask_b32_e32 v3, 0x7e, v3, vcc_lo
; %bb.1613:
	s_andn2_saveexec_b32 s5, s5
; %bb.1614:
	v_add_f32_e64 v3, 0x46800000, |v2|
; %bb.1615:
	s_or_b32 exec_lo, exec_lo, s5
                                        ; implicit-def: $vgpr22
.LBB7_1616:
	s_andn2_saveexec_b32 s3, s3
; %bb.1617:
	v_mov_b32_e32 v3, 0x7f
	v_cmp_lt_u32_e32 vcc_lo, 0x7f800000, v22
	v_cndmask_b32_e32 v3, 0x7e, v3, vcc_lo
; %bb.1618:
	s_or_b32 exec_lo, exec_lo, s3
	v_lshrrev_b32_e32 v2, 24, v2
	v_and_or_b32 v2, 0x80, v2, v3
	global_store_byte v[16:17], v2, off
.LBB7_1619:
	s_mov_b32 s3, 0
.LBB7_1620:
	s_andn2_b32 vcc_lo, exec_lo, s3
	s_cbranch_vccnz .LBB7_1630
; %bb.1621:
	v_cvt_f32_f64_e32 v2, v[0:1]
	s_mov_b32 s3, exec_lo
                                        ; implicit-def: $vgpr3
	v_and_b32_e32 v22, 0x7fffffff, v2
	v_cmpx_gt_u32_e32 0x47800000, v22
	s_xor_b32 s3, exec_lo, s3
	s_cbranch_execz .LBB7_1627
; %bb.1622:
	s_mov_b32 s5, exec_lo
                                        ; implicit-def: $vgpr3
	v_cmpx_lt_u32_e32 0x387fffff, v22
	s_xor_b32 s5, exec_lo, s5
; %bb.1623:
	v_bfe_u32 v3, v2, 21, 1
	v_add3_u32 v3, v2, v3, 0x80fffff
	v_lshrrev_b32_e32 v3, 21, v3
; %bb.1624:
	s_andn2_saveexec_b32 s5, s5
; %bb.1625:
	v_add_f32_e64 v3, 0x43000000, |v2|
; %bb.1626:
	s_or_b32 exec_lo, exec_lo, s5
                                        ; implicit-def: $vgpr22
.LBB7_1627:
	s_andn2_saveexec_b32 s3, s3
; %bb.1628:
	v_mov_b32_e32 v3, 0x7f
	v_cmp_lt_u32_e32 vcc_lo, 0x7f800000, v22
	v_cndmask_b32_e32 v3, 0x7c, v3, vcc_lo
; %bb.1629:
	s_or_b32 exec_lo, exec_lo, s3
	v_lshrrev_b32_e32 v2, 24, v2
	v_and_or_b32 v2, 0x80, v2, v3
	global_store_byte v[16:17], v2, off
.LBB7_1630:
	s_mov_b32 s3, 0
	s_mov_b32 s5, -1
.LBB7_1631:
	s_andn2_b32 vcc_lo, exec_lo, s3
	s_mov_b32 s3, 0
	s_cbranch_vccnz .LBB7_1638
; %bb.1632:
	s_cmp_gt_i32 s1, 14
	s_mov_b32 s3, -1
	s_cbranch_scc0 .LBB7_1636
; %bb.1633:
	s_cmp_eq_u32 s1, 15
	s_mov_b32 s0, -1
	s_cbranch_scc0 .LBB7_1635
; %bb.1634:
	v_cvt_f32_f64_e32 v2, v[0:1]
	s_mov_b32 s0, 0
	s_mov_b32 s5, -1
	v_bfe_u32 v3, v2, 16, 1
	v_cmp_o_f32_e32 vcc_lo, v2, v2
	v_add3_u32 v2, v2, v3, 0x7fff
	v_mov_b32_e32 v3, 0x7fc0
	v_cndmask_b32_sdwa v2, v3, v2, vcc_lo dst_sel:DWORD dst_unused:UNUSED_PAD src0_sel:DWORD src1_sel:WORD_1
	global_store_short v[16:17], v2, off
.LBB7_1635:
	s_mov_b32 s3, 0
.LBB7_1636:
	s_and_b32 vcc_lo, exec_lo, s3
	s_mov_b32 s3, 0
	s_cbranch_vccz .LBB7_1638
; %bb.1637:
	s_cmp_lg_u32 s1, 11
	s_mov_b32 s3, -1
	s_cselect_b32 s0, -1, 0
.LBB7_1638:
	s_and_b32 vcc_lo, exec_lo, s0
	s_cbranch_vccnz .LBB7_2046
; %bb.1639:
	s_andn2_b32 vcc_lo, exec_lo, s3
	s_cbranch_vccnz .LBB7_1641
.LBB7_1640:
	v_cmp_neq_f64_e32 vcc_lo, 0, v[0:1]
	s_mov_b32 s5, -1
	v_cndmask_b32_e64 v2, 0, 1, vcc_lo
	global_store_byte v[16:17], v2, off
.LBB7_1641:
	s_mov_b32 s0, 0
	s_branch .LBB7_1643
.LBB7_1642:
	s_mov_b32 s0, -1
	s_mov_b32 s5, 0
.LBB7_1643:
	s_and_b32 vcc_lo, exec_lo, s0
	s_cbranch_vccz .LBB7_1682
; %bb.1644:
	s_and_b32 s0, 0xffff, s16
	s_mov_b32 s1, -1
	s_cmp_lt_i32 s0, 5
	s_cbranch_scc1 .LBB7_1665
; %bb.1645:
	s_cmp_lt_i32 s0, 8
	s_cbranch_scc1 .LBB7_1655
; %bb.1646:
	;; [unrolled: 3-line block ×3, first 2 shown]
	s_cmp_gt_i32 s0, 9
	s_cbranch_scc0 .LBB7_1649
; %bb.1648:
	v_mov_b32_e32 v2, 0
	s_mov_b32 s1, 0
	v_mov_b32_e32 v3, v2
	global_store_dwordx4 v[16:17], v[0:3], off
.LBB7_1649:
	s_andn2_b32 vcc_lo, exec_lo, s1
	s_cbranch_vccnz .LBB7_1651
; %bb.1650:
	v_cvt_f32_f64_e32 v2, v[0:1]
	v_mov_b32_e32 v3, 0
	global_store_dwordx2 v[16:17], v[2:3], off
.LBB7_1651:
	s_mov_b32 s1, 0
.LBB7_1652:
	s_andn2_b32 vcc_lo, exec_lo, s1
	s_cbranch_vccnz .LBB7_1654
; %bb.1653:
	v_and_or_b32 v2, 0x1ff, v1, v0
	v_lshrrev_b32_e32 v3, 8, v1
	v_bfe_u32 v22, v1, 20, 11
	v_cmp_ne_u32_e32 vcc_lo, 0, v2
	v_sub_nc_u32_e32 v23, 0x3f1, v22
	v_add_nc_u32_e32 v22, 0xfffffc10, v22
	v_cndmask_b32_e64 v2, 0, 1, vcc_lo
	v_and_or_b32 v2, 0xffe, v3, v2
	v_med3_i32 v3, v23, 0, 13
	v_or_b32_e32 v23, 0x1000, v2
	v_lshrrev_b32_e32 v24, v3, v23
	v_lshlrev_b32_e32 v3, v3, v24
	v_cmp_ne_u32_e32 vcc_lo, v3, v23
	v_lshl_or_b32 v23, v22, 12, v2
	v_cndmask_b32_e64 v3, 0, 1, vcc_lo
	v_cmp_gt_i32_e32 vcc_lo, 1, v22
	v_or_b32_e32 v3, v24, v3
	v_cndmask_b32_e32 v3, v23, v3, vcc_lo
	v_and_b32_e32 v23, 7, v3
	v_lshrrev_b32_e32 v3, 2, v3
	v_cmp_lt_i32_e32 vcc_lo, 5, v23
	v_cndmask_b32_e64 v24, 0, 1, vcc_lo
	v_cmp_eq_u32_e32 vcc_lo, 3, v23
	v_cndmask_b32_e64 v23, 0, 1, vcc_lo
	v_cmp_ne_u32_e32 vcc_lo, 0, v2
	v_or_b32_e32 v23, v23, v24
	v_mov_b32_e32 v24, 0x7e00
	v_add_nc_u32_e32 v3, v3, v23
	v_cndmask_b32_e32 v2, 0x7c00, v24, vcc_lo
	v_cmp_gt_i32_e32 vcc_lo, 31, v22
	v_cndmask_b32_e32 v3, 0x7c00, v3, vcc_lo
	v_cmp_eq_u32_e32 vcc_lo, 0x40f, v22
	v_cndmask_b32_e32 v2, v3, v2, vcc_lo
	v_lshrrev_b32_e32 v3, 16, v1
	v_and_or_b32 v2, 0x8000, v3, v2
	v_and_b32_e32 v2, 0xffff, v2
	global_store_dword v[16:17], v2, off
.LBB7_1654:
	s_mov_b32 s1, 0
.LBB7_1655:
	s_andn2_b32 vcc_lo, exec_lo, s1
	s_cbranch_vccnz .LBB7_1664
; %bb.1656:
	s_cmp_lt_i32 s0, 6
	s_mov_b32 s1, -1
	s_cbranch_scc1 .LBB7_1662
; %bb.1657:
	s_cmp_gt_i32 s0, 6
	s_cbranch_scc0 .LBB7_1659
; %bb.1658:
	s_mov_b32 s1, 0
	global_store_dwordx2 v[16:17], v[0:1], off
.LBB7_1659:
	s_andn2_b32 vcc_lo, exec_lo, s1
	s_cbranch_vccnz .LBB7_1661
; %bb.1660:
	v_cvt_f32_f64_e32 v2, v[0:1]
	global_store_dword v[16:17], v2, off
.LBB7_1661:
	s_mov_b32 s1, 0
.LBB7_1662:
	s_andn2_b32 vcc_lo, exec_lo, s1
	s_cbranch_vccnz .LBB7_1664
; %bb.1663:
	v_and_or_b32 v2, 0x1ff, v1, v0
	v_lshrrev_b32_e32 v3, 8, v1
	v_bfe_u32 v22, v1, 20, 11
	v_cmp_ne_u32_e32 vcc_lo, 0, v2
	v_sub_nc_u32_e32 v23, 0x3f1, v22
	v_add_nc_u32_e32 v22, 0xfffffc10, v22
	v_cndmask_b32_e64 v2, 0, 1, vcc_lo
	v_and_or_b32 v2, 0xffe, v3, v2
	v_med3_i32 v3, v23, 0, 13
	v_or_b32_e32 v23, 0x1000, v2
	v_lshrrev_b32_e32 v24, v3, v23
	v_lshlrev_b32_e32 v3, v3, v24
	v_cmp_ne_u32_e32 vcc_lo, v3, v23
	v_lshl_or_b32 v23, v22, 12, v2
	v_cndmask_b32_e64 v3, 0, 1, vcc_lo
	v_cmp_gt_i32_e32 vcc_lo, 1, v22
	v_or_b32_e32 v3, v24, v3
	v_cndmask_b32_e32 v3, v23, v3, vcc_lo
	v_and_b32_e32 v23, 7, v3
	v_lshrrev_b32_e32 v3, 2, v3
	v_cmp_lt_i32_e32 vcc_lo, 5, v23
	v_cndmask_b32_e64 v24, 0, 1, vcc_lo
	v_cmp_eq_u32_e32 vcc_lo, 3, v23
	v_cndmask_b32_e64 v23, 0, 1, vcc_lo
	v_cmp_ne_u32_e32 vcc_lo, 0, v2
	v_or_b32_e32 v23, v23, v24
	v_mov_b32_e32 v24, 0x7e00
	v_add_nc_u32_e32 v3, v3, v23
	v_cndmask_b32_e32 v2, 0x7c00, v24, vcc_lo
	v_cmp_gt_i32_e32 vcc_lo, 31, v22
	v_cndmask_b32_e32 v3, 0x7c00, v3, vcc_lo
	v_cmp_eq_u32_e32 vcc_lo, 0x40f, v22
	v_cndmask_b32_e32 v2, v3, v2, vcc_lo
	v_lshrrev_b32_e32 v3, 16, v1
	v_and_or_b32 v2, 0x8000, v3, v2
	global_store_short v[16:17], v2, off
.LBB7_1664:
	s_mov_b32 s1, 0
.LBB7_1665:
	s_andn2_b32 vcc_lo, exec_lo, s1
	s_cbranch_vccnz .LBB7_1681
; %bb.1666:
	s_cmp_lt_i32 s0, 2
	s_mov_b32 s1, -1
	s_cbranch_scc1 .LBB7_1676
; %bb.1667:
	s_cmp_lt_i32 s0, 3
	s_cbranch_scc1 .LBB7_1673
; %bb.1668:
	s_cmp_gt_i32 s0, 3
	s_cbranch_scc0 .LBB7_1670
; %bb.1669:
	v_trunc_f64_e32 v[2:3], v[0:1]
	s_mov_b32 s1, 0
	v_ldexp_f64 v[22:23], v[2:3], 0xffffffe0
	v_floor_f64_e32 v[22:23], v[22:23]
	v_fma_f64 v[2:3], 0xc1f00000, v[22:23], v[2:3]
	v_cvt_i32_f64_e32 v23, v[22:23]
	v_cvt_u32_f64_e32 v22, v[2:3]
	global_store_dwordx2 v[16:17], v[22:23], off
.LBB7_1670:
	s_andn2_b32 vcc_lo, exec_lo, s1
	s_cbranch_vccnz .LBB7_1672
; %bb.1671:
	v_cvt_i32_f64_e32 v2, v[0:1]
	global_store_dword v[16:17], v2, off
.LBB7_1672:
	s_mov_b32 s1, 0
.LBB7_1673:
	s_andn2_b32 vcc_lo, exec_lo, s1
	s_cbranch_vccnz .LBB7_1675
; %bb.1674:
	v_cvt_i32_f64_e32 v2, v[0:1]
	global_store_short v[16:17], v2, off
.LBB7_1675:
	s_mov_b32 s1, 0
.LBB7_1676:
	s_andn2_b32 vcc_lo, exec_lo, s1
	s_cbranch_vccnz .LBB7_1681
; %bb.1677:
	s_cmp_gt_i32 s0, 0
	s_mov_b32 s0, -1
	s_cbranch_scc0 .LBB7_1679
; %bb.1678:
	v_cvt_i32_f64_e32 v2, v[0:1]
	s_mov_b32 s0, 0
	global_store_byte v[16:17], v2, off
.LBB7_1679:
	s_andn2_b32 vcc_lo, exec_lo, s0
	s_cbranch_vccnz .LBB7_1681
; %bb.1680:
	v_trunc_f64_e32 v[0:1], v[0:1]
	v_ldexp_f64 v[2:3], v[0:1], 0xffffffe0
	v_floor_f64_e32 v[2:3], v[2:3]
	v_fma_f64 v[0:1], 0xc1f00000, v[2:3], v[0:1]
	v_cvt_u32_f64_e32 v0, v[0:1]
	global_store_byte v[16:17], v0, off
.LBB7_1681:
	s_mov_b32 s5, -1
.LBB7_1682:
	s_andn2_b32 vcc_lo, exec_lo, s5
	s_cbranch_vccnz .LBB7_1997
; %bb.1683:
	v_mul_f64 v[0:1], v[8:9], v[14:15]
	s_lshl_b32 s1, s2, 7
	v_cmp_eq_f32_e32 vcc_lo, 1.0, v20
	v_add_nc_u32_e32 v14, s1, v21
	s_cmp_lt_i32 s16, 11
	v_ashrrev_i32_e32 v2, 31, v14
	v_cndmask_b32_e32 v1, v1, v9, vcc_lo
	v_cndmask_b32_e32 v0, v0, v8, vcc_lo
	v_add_co_u32 v8, vcc_lo, s8, v14
	v_add_co_ci_u32_e64 v9, null, s9, v2, vcc_lo
	s_cbranch_scc1 .LBB7_1761
; %bb.1684:
	s_and_b32 s2, 0xffff, s16
	s_mov_b32 s10, -1
	s_mov_b32 s3, 0
	s_cmp_gt_i32 s2, 25
	s_mov_b32 s5, 0
	s_mov_b32 s0, 0
	s_cbranch_scc0 .LBB7_1717
; %bb.1685:
	s_cmp_gt_i32 s2, 28
	s_cbranch_scc0 .LBB7_1700
; %bb.1686:
	s_cmp_gt_i32 s2, 43
	;; [unrolled: 3-line block ×3, first 2 shown]
	s_cbranch_scc0 .LBB7_1690
; %bb.1688:
	s_mov_b32 s0, -1
	s_mov_b32 s10, 0
	s_cmp_eq_u32 s2, 46
	s_cbranch_scc0 .LBB7_1690
; %bb.1689:
	v_cvt_f32_f64_e32 v2, v[0:1]
	s_mov_b32 s0, 0
	s_mov_b32 s5, -1
	v_bfe_u32 v3, v2, 16, 1
	v_cmp_o_f32_e32 vcc_lo, v2, v2
	v_add3_u32 v2, v2, v3, 0x7fff
	v_mov_b32_e32 v3, 0x7fc0
	v_cndmask_b32_sdwa v2, v3, v2, vcc_lo dst_sel:DWORD dst_unused:UNUSED_PAD src0_sel:DWORD src1_sel:WORD_1
	global_store_dword v[8:9], v2, off
.LBB7_1690:
	s_and_b32 vcc_lo, exec_lo, s10
	s_cbranch_vccz .LBB7_1695
; %bb.1691:
	s_cmp_eq_u32 s2, 44
	s_mov_b32 s0, -1
	s_cbranch_scc0 .LBB7_1695
; %bb.1692:
	v_cvt_f32_f64_e32 v2, v[0:1]
	v_mov_b32_e32 v3, 0xff
	s_mov_b32 s5, exec_lo
	v_bfe_u32 v15, v2, 23, 8
	v_cmpx_ne_u32_e32 0xff, v15
	s_cbranch_execz .LBB7_1694
; %bb.1693:
	v_and_b32_e32 v3, 0x400000, v2
	v_and_or_b32 v15, 0x3fffff, v2, v15
	v_lshrrev_b32_e32 v2, 23, v2
	v_cmp_ne_u32_e32 vcc_lo, 0, v3
	v_cmp_ne_u32_e64 s0, 0, v15
	s_and_b32 s0, vcc_lo, s0
	v_cndmask_b32_e64 v3, 0, 1, s0
	v_add_nc_u32_e32 v3, v2, v3
.LBB7_1694:
	s_or_b32 exec_lo, exec_lo, s5
	s_mov_b32 s0, 0
	s_mov_b32 s5, -1
	global_store_byte v[8:9], v3, off
.LBB7_1695:
	s_mov_b32 s10, 0
.LBB7_1696:
	s_and_b32 vcc_lo, exec_lo, s10
	s_cbranch_vccz .LBB7_1699
; %bb.1697:
	s_cmp_eq_u32 s2, 29
	s_mov_b32 s0, -1
	s_cbranch_scc0 .LBB7_1699
; %bb.1698:
	v_trunc_f64_e32 v[2:3], v[0:1]
	s_mov_b32 s0, 0
	s_mov_b32 s5, -1
	v_ldexp_f64 v[15:16], v[2:3], 0xffffffe0
	v_floor_f64_e32 v[15:16], v[15:16]
	v_fma_f64 v[2:3], 0xc1f00000, v[15:16], v[2:3]
	v_cvt_u32_f64_e32 v16, v[15:16]
	v_cvt_u32_f64_e32 v15, v[2:3]
	global_store_dwordx2 v[8:9], v[15:16], off
.LBB7_1699:
	s_mov_b32 s10, 0
.LBB7_1700:
	s_and_b32 vcc_lo, exec_lo, s10
	s_cbranch_vccz .LBB7_1716
; %bb.1701:
	s_cmp_lt_i32 s2, 27
	s_mov_b32 s5, -1
	s_cbranch_scc1 .LBB7_1707
; %bb.1702:
	v_cvt_u32_f64_e32 v2, v[0:1]
	s_cmp_gt_i32 s2, 27
	s_cbranch_scc0 .LBB7_1704
; %bb.1703:
	s_mov_b32 s5, 0
	global_store_dword v[8:9], v2, off
.LBB7_1704:
	s_andn2_b32 vcc_lo, exec_lo, s5
	s_cbranch_vccnz .LBB7_1706
; %bb.1705:
	global_store_short v[8:9], v2, off
.LBB7_1706:
	s_mov_b32 s5, 0
.LBB7_1707:
	s_andn2_b32 vcc_lo, exec_lo, s5
	s_cbranch_vccnz .LBB7_1715
; %bb.1708:
	v_cvt_f32_f64_e32 v2, v[0:1]
	v_mov_b32_e32 v15, 0x80
	s_mov_b32 s5, exec_lo
	v_and_b32_e32 v3, 0x7fffffff, v2
	v_cmpx_gt_u32_e32 0x43800000, v3
	s_cbranch_execz .LBB7_1714
; %bb.1709:
	v_cmp_lt_u32_e32 vcc_lo, 0x3bffffff, v3
	s_mov_b32 s10, 0
                                        ; implicit-def: $vgpr3
	s_and_saveexec_b32 s11, vcc_lo
	s_xor_b32 s11, exec_lo, s11
	s_cbranch_execz .LBB7_2049
; %bb.1710:
	v_bfe_u32 v3, v2, 20, 1
	s_mov_b32 s10, exec_lo
	v_add3_u32 v3, v2, v3, 0x487ffff
	v_lshrrev_b32_e32 v3, 20, v3
	s_andn2_saveexec_b32 s11, s11
	s_cbranch_execnz .LBB7_2050
.LBB7_1711:
	s_or_b32 exec_lo, exec_lo, s11
	v_mov_b32_e32 v15, 0
	s_and_saveexec_b32 s11, s10
.LBB7_1712:
	v_lshrrev_b32_e32 v2, 24, v2
	v_and_or_b32 v15, 0x80, v2, v3
.LBB7_1713:
	s_or_b32 exec_lo, exec_lo, s11
.LBB7_1714:
	s_or_b32 exec_lo, exec_lo, s5
	global_store_byte v[8:9], v15, off
.LBB7_1715:
	s_mov_b32 s5, -1
.LBB7_1716:
	s_mov_b32 s10, 0
.LBB7_1717:
	s_and_b32 vcc_lo, exec_lo, s10
	s_cbranch_vccz .LBB7_1757
; %bb.1718:
	s_cmp_gt_i32 s2, 22
	s_mov_b32 s3, -1
	s_cbranch_scc0 .LBB7_1750
; %bb.1719:
	s_cmp_lt_i32 s2, 24
	s_cbranch_scc1 .LBB7_1739
; %bb.1720:
	s_cmp_gt_i32 s2, 24
	s_cbranch_scc0 .LBB7_1728
; %bb.1721:
	v_cvt_f32_f64_e32 v2, v[0:1]
	v_mov_b32_e32 v15, 0x80
	s_mov_b32 s3, exec_lo
	v_and_b32_e32 v3, 0x7fffffff, v2
	v_cmpx_gt_u32_e32 0x47800000, v3
	s_cbranch_execz .LBB7_1727
; %bb.1722:
	v_cmp_lt_u32_e32 vcc_lo, 0x37ffffff, v3
	s_mov_b32 s5, 0
                                        ; implicit-def: $vgpr3
	s_and_saveexec_b32 s10, vcc_lo
	s_xor_b32 s10, exec_lo, s10
	s_cbranch_execz .LBB7_2052
; %bb.1723:
	v_bfe_u32 v3, v2, 21, 1
	s_mov_b32 s5, exec_lo
	v_add3_u32 v3, v2, v3, 0x88fffff
	v_lshrrev_b32_e32 v3, 21, v3
	s_andn2_saveexec_b32 s10, s10
	s_cbranch_execnz .LBB7_2053
.LBB7_1724:
	s_or_b32 exec_lo, exec_lo, s10
	v_mov_b32_e32 v15, 0
	s_and_saveexec_b32 s10, s5
.LBB7_1725:
	v_lshrrev_b32_e32 v2, 24, v2
	v_and_or_b32 v15, 0x80, v2, v3
.LBB7_1726:
	s_or_b32 exec_lo, exec_lo, s10
.LBB7_1727:
	s_or_b32 exec_lo, exec_lo, s3
	s_mov_b32 s3, 0
	global_store_byte v[8:9], v15, off
.LBB7_1728:
	s_and_b32 vcc_lo, exec_lo, s3
	s_cbranch_vccz .LBB7_1738
; %bb.1729:
	v_cvt_f32_f64_e32 v2, v[0:1]
	s_mov_b32 s3, exec_lo
                                        ; implicit-def: $vgpr3
	v_and_b32_e32 v15, 0x7fffffff, v2
	v_cmpx_gt_u32_e32 0x43f00000, v15
	s_xor_b32 s3, exec_lo, s3
	s_cbranch_execz .LBB7_1735
; %bb.1730:
	s_mov_b32 s5, exec_lo
                                        ; implicit-def: $vgpr3
	v_cmpx_lt_u32_e32 0x3c7fffff, v15
	s_xor_b32 s5, exec_lo, s5
; %bb.1731:
	v_bfe_u32 v3, v2, 20, 1
	v_add3_u32 v3, v2, v3, 0x407ffff
	v_and_b32_e32 v15, 0xff00000, v3
	v_lshrrev_b32_e32 v3, 20, v3
	v_cmp_ne_u32_e32 vcc_lo, 0x7f00000, v15
	v_cndmask_b32_e32 v3, 0x7e, v3, vcc_lo
; %bb.1732:
	s_andn2_saveexec_b32 s5, s5
; %bb.1733:
	v_add_f32_e64 v3, 0x46800000, |v2|
; %bb.1734:
	s_or_b32 exec_lo, exec_lo, s5
                                        ; implicit-def: $vgpr15
.LBB7_1735:
	s_andn2_saveexec_b32 s3, s3
; %bb.1736:
	v_mov_b32_e32 v3, 0x7f
	v_cmp_lt_u32_e32 vcc_lo, 0x7f800000, v15
	v_cndmask_b32_e32 v3, 0x7e, v3, vcc_lo
; %bb.1737:
	s_or_b32 exec_lo, exec_lo, s3
	v_lshrrev_b32_e32 v2, 24, v2
	v_and_or_b32 v2, 0x80, v2, v3
	global_store_byte v[8:9], v2, off
.LBB7_1738:
	s_mov_b32 s3, 0
.LBB7_1739:
	s_andn2_b32 vcc_lo, exec_lo, s3
	s_cbranch_vccnz .LBB7_1749
; %bb.1740:
	v_cvt_f32_f64_e32 v2, v[0:1]
	s_mov_b32 s3, exec_lo
                                        ; implicit-def: $vgpr3
	v_and_b32_e32 v15, 0x7fffffff, v2
	v_cmpx_gt_u32_e32 0x47800000, v15
	s_xor_b32 s3, exec_lo, s3
	s_cbranch_execz .LBB7_1746
; %bb.1741:
	s_mov_b32 s5, exec_lo
                                        ; implicit-def: $vgpr3
	v_cmpx_lt_u32_e32 0x387fffff, v15
	s_xor_b32 s5, exec_lo, s5
; %bb.1742:
	v_bfe_u32 v3, v2, 21, 1
	v_add3_u32 v3, v2, v3, 0x80fffff
	v_lshrrev_b32_e32 v3, 21, v3
; %bb.1743:
	s_andn2_saveexec_b32 s5, s5
; %bb.1744:
	v_add_f32_e64 v3, 0x43000000, |v2|
; %bb.1745:
	s_or_b32 exec_lo, exec_lo, s5
                                        ; implicit-def: $vgpr15
.LBB7_1746:
	s_andn2_saveexec_b32 s3, s3
; %bb.1747:
	v_mov_b32_e32 v3, 0x7f
	v_cmp_lt_u32_e32 vcc_lo, 0x7f800000, v15
	v_cndmask_b32_e32 v3, 0x7c, v3, vcc_lo
; %bb.1748:
	s_or_b32 exec_lo, exec_lo, s3
	v_lshrrev_b32_e32 v2, 24, v2
	v_and_or_b32 v2, 0x80, v2, v3
	global_store_byte v[8:9], v2, off
.LBB7_1749:
	s_mov_b32 s3, 0
	s_mov_b32 s5, -1
.LBB7_1750:
	s_andn2_b32 vcc_lo, exec_lo, s3
	s_mov_b32 s3, 0
	s_cbranch_vccnz .LBB7_1757
; %bb.1751:
	s_cmp_gt_i32 s2, 14
	s_mov_b32 s3, -1
	s_cbranch_scc0 .LBB7_1755
; %bb.1752:
	s_cmp_eq_u32 s2, 15
	s_mov_b32 s0, -1
	s_cbranch_scc0 .LBB7_1754
; %bb.1753:
	v_cvt_f32_f64_e32 v2, v[0:1]
	s_mov_b32 s0, 0
	s_mov_b32 s5, -1
	v_bfe_u32 v3, v2, 16, 1
	v_cmp_o_f32_e32 vcc_lo, v2, v2
	v_add3_u32 v2, v2, v3, 0x7fff
	v_mov_b32_e32 v3, 0x7fc0
	v_cndmask_b32_sdwa v2, v3, v2, vcc_lo dst_sel:DWORD dst_unused:UNUSED_PAD src0_sel:DWORD src1_sel:WORD_1
	global_store_short v[8:9], v2, off
.LBB7_1754:
	s_mov_b32 s3, 0
.LBB7_1755:
	s_and_b32 vcc_lo, exec_lo, s3
	s_mov_b32 s3, 0
	s_cbranch_vccz .LBB7_1757
; %bb.1756:
	s_cmp_lg_u32 s2, 11
	s_mov_b32 s3, -1
	s_cselect_b32 s0, -1, 0
.LBB7_1757:
	s_and_b32 vcc_lo, exec_lo, s0
	s_cbranch_vccnz .LBB7_2051
; %bb.1758:
	s_andn2_b32 vcc_lo, exec_lo, s3
	s_cbranch_vccnz .LBB7_1760
.LBB7_1759:
	v_cmp_neq_f64_e32 vcc_lo, 0, v[0:1]
	s_mov_b32 s5, -1
	v_cndmask_b32_e64 v2, 0, 1, vcc_lo
	global_store_byte v[8:9], v2, off
.LBB7_1760:
	s_mov_b32 s0, 0
	s_branch .LBB7_1762
.LBB7_1761:
	s_mov_b32 s0, -1
	s_mov_b32 s5, 0
.LBB7_1762:
	s_and_b32 vcc_lo, exec_lo, s0
	s_cbranch_vccz .LBB7_1801
; %bb.1763:
	s_and_b32 s0, 0xffff, s16
	s_mov_b32 s2, -1
	s_cmp_lt_i32 s0, 5
	s_cbranch_scc1 .LBB7_1784
; %bb.1764:
	s_cmp_lt_i32 s0, 8
	s_cbranch_scc1 .LBB7_1774
; %bb.1765:
	;; [unrolled: 3-line block ×3, first 2 shown]
	s_cmp_gt_i32 s0, 9
	s_cbranch_scc0 .LBB7_1768
; %bb.1767:
	v_mov_b32_e32 v2, 0
	s_mov_b32 s2, 0
	v_mov_b32_e32 v3, v2
	global_store_dwordx4 v[8:9], v[0:3], off
.LBB7_1768:
	s_andn2_b32 vcc_lo, exec_lo, s2
	s_cbranch_vccnz .LBB7_1770
; %bb.1769:
	v_cvt_f32_f64_e32 v2, v[0:1]
	v_mov_b32_e32 v3, 0
	global_store_dwordx2 v[8:9], v[2:3], off
.LBB7_1770:
	s_mov_b32 s2, 0
.LBB7_1771:
	s_andn2_b32 vcc_lo, exec_lo, s2
	s_cbranch_vccnz .LBB7_1773
; %bb.1772:
	v_and_or_b32 v2, 0x1ff, v1, v0
	v_lshrrev_b32_e32 v3, 8, v1
	v_bfe_u32 v15, v1, 20, 11
	v_cmp_ne_u32_e32 vcc_lo, 0, v2
	v_sub_nc_u32_e32 v16, 0x3f1, v15
	v_add_nc_u32_e32 v15, 0xfffffc10, v15
	v_cndmask_b32_e64 v2, 0, 1, vcc_lo
	v_and_or_b32 v2, 0xffe, v3, v2
	v_med3_i32 v3, v16, 0, 13
	v_or_b32_e32 v16, 0x1000, v2
	v_lshrrev_b32_e32 v17, v3, v16
	v_lshlrev_b32_e32 v3, v3, v17
	v_cmp_ne_u32_e32 vcc_lo, v3, v16
	v_lshl_or_b32 v16, v15, 12, v2
	v_cndmask_b32_e64 v3, 0, 1, vcc_lo
	v_cmp_gt_i32_e32 vcc_lo, 1, v15
	v_or_b32_e32 v3, v17, v3
	v_cndmask_b32_e32 v3, v16, v3, vcc_lo
	v_and_b32_e32 v16, 7, v3
	v_lshrrev_b32_e32 v3, 2, v3
	v_cmp_lt_i32_e32 vcc_lo, 5, v16
	v_cndmask_b32_e64 v17, 0, 1, vcc_lo
	v_cmp_eq_u32_e32 vcc_lo, 3, v16
	v_cndmask_b32_e64 v16, 0, 1, vcc_lo
	v_cmp_ne_u32_e32 vcc_lo, 0, v2
	v_or_b32_e32 v16, v16, v17
	v_mov_b32_e32 v17, 0x7e00
	v_add_nc_u32_e32 v3, v3, v16
	v_cndmask_b32_e32 v2, 0x7c00, v17, vcc_lo
	v_cmp_gt_i32_e32 vcc_lo, 31, v15
	v_cndmask_b32_e32 v3, 0x7c00, v3, vcc_lo
	v_cmp_eq_u32_e32 vcc_lo, 0x40f, v15
	v_cndmask_b32_e32 v2, v3, v2, vcc_lo
	v_lshrrev_b32_e32 v3, 16, v1
	v_and_or_b32 v2, 0x8000, v3, v2
	v_and_b32_e32 v2, 0xffff, v2
	global_store_dword v[8:9], v2, off
.LBB7_1773:
	s_mov_b32 s2, 0
.LBB7_1774:
	s_andn2_b32 vcc_lo, exec_lo, s2
	s_cbranch_vccnz .LBB7_1783
; %bb.1775:
	s_cmp_lt_i32 s0, 6
	s_mov_b32 s2, -1
	s_cbranch_scc1 .LBB7_1781
; %bb.1776:
	s_cmp_gt_i32 s0, 6
	s_cbranch_scc0 .LBB7_1778
; %bb.1777:
	s_mov_b32 s2, 0
	global_store_dwordx2 v[8:9], v[0:1], off
.LBB7_1778:
	s_andn2_b32 vcc_lo, exec_lo, s2
	s_cbranch_vccnz .LBB7_1780
; %bb.1779:
	v_cvt_f32_f64_e32 v2, v[0:1]
	global_store_dword v[8:9], v2, off
.LBB7_1780:
	s_mov_b32 s2, 0
.LBB7_1781:
	s_andn2_b32 vcc_lo, exec_lo, s2
	s_cbranch_vccnz .LBB7_1783
; %bb.1782:
	v_and_or_b32 v2, 0x1ff, v1, v0
	v_lshrrev_b32_e32 v3, 8, v1
	v_bfe_u32 v15, v1, 20, 11
	v_cmp_ne_u32_e32 vcc_lo, 0, v2
	v_sub_nc_u32_e32 v16, 0x3f1, v15
	v_add_nc_u32_e32 v15, 0xfffffc10, v15
	v_cndmask_b32_e64 v2, 0, 1, vcc_lo
	v_and_or_b32 v2, 0xffe, v3, v2
	v_med3_i32 v3, v16, 0, 13
	v_or_b32_e32 v16, 0x1000, v2
	v_lshrrev_b32_e32 v17, v3, v16
	v_lshlrev_b32_e32 v3, v3, v17
	v_cmp_ne_u32_e32 vcc_lo, v3, v16
	v_lshl_or_b32 v16, v15, 12, v2
	v_cndmask_b32_e64 v3, 0, 1, vcc_lo
	v_cmp_gt_i32_e32 vcc_lo, 1, v15
	v_or_b32_e32 v3, v17, v3
	v_cndmask_b32_e32 v3, v16, v3, vcc_lo
	v_and_b32_e32 v16, 7, v3
	v_lshrrev_b32_e32 v3, 2, v3
	v_cmp_lt_i32_e32 vcc_lo, 5, v16
	v_cndmask_b32_e64 v17, 0, 1, vcc_lo
	v_cmp_eq_u32_e32 vcc_lo, 3, v16
	v_cndmask_b32_e64 v16, 0, 1, vcc_lo
	v_cmp_ne_u32_e32 vcc_lo, 0, v2
	v_or_b32_e32 v16, v16, v17
	v_mov_b32_e32 v17, 0x7e00
	v_add_nc_u32_e32 v3, v3, v16
	v_cndmask_b32_e32 v2, 0x7c00, v17, vcc_lo
	v_cmp_gt_i32_e32 vcc_lo, 31, v15
	v_cndmask_b32_e32 v3, 0x7c00, v3, vcc_lo
	v_cmp_eq_u32_e32 vcc_lo, 0x40f, v15
	v_cndmask_b32_e32 v2, v3, v2, vcc_lo
	v_lshrrev_b32_e32 v3, 16, v1
	v_and_or_b32 v2, 0x8000, v3, v2
	global_store_short v[8:9], v2, off
.LBB7_1783:
	s_mov_b32 s2, 0
.LBB7_1784:
	s_andn2_b32 vcc_lo, exec_lo, s2
	s_cbranch_vccnz .LBB7_1800
; %bb.1785:
	s_cmp_lt_i32 s0, 2
	s_mov_b32 s2, -1
	s_cbranch_scc1 .LBB7_1795
; %bb.1786:
	s_cmp_lt_i32 s0, 3
	s_cbranch_scc1 .LBB7_1792
; %bb.1787:
	s_cmp_gt_i32 s0, 3
	s_cbranch_scc0 .LBB7_1789
; %bb.1788:
	v_trunc_f64_e32 v[2:3], v[0:1]
	s_mov_b32 s2, 0
	v_ldexp_f64 v[15:16], v[2:3], 0xffffffe0
	v_floor_f64_e32 v[15:16], v[15:16]
	v_fma_f64 v[2:3], 0xc1f00000, v[15:16], v[2:3]
	v_cvt_i32_f64_e32 v16, v[15:16]
	v_cvt_u32_f64_e32 v15, v[2:3]
	global_store_dwordx2 v[8:9], v[15:16], off
.LBB7_1789:
	s_andn2_b32 vcc_lo, exec_lo, s2
	s_cbranch_vccnz .LBB7_1791
; %bb.1790:
	v_cvt_i32_f64_e32 v2, v[0:1]
	global_store_dword v[8:9], v2, off
.LBB7_1791:
	s_mov_b32 s2, 0
.LBB7_1792:
	s_andn2_b32 vcc_lo, exec_lo, s2
	s_cbranch_vccnz .LBB7_1794
; %bb.1793:
	v_cvt_i32_f64_e32 v2, v[0:1]
	global_store_short v[8:9], v2, off
.LBB7_1794:
	s_mov_b32 s2, 0
.LBB7_1795:
	s_andn2_b32 vcc_lo, exec_lo, s2
	s_cbranch_vccnz .LBB7_1800
; %bb.1796:
	s_cmp_gt_i32 s0, 0
	s_mov_b32 s0, -1
	s_cbranch_scc0 .LBB7_1798
; %bb.1797:
	v_cvt_i32_f64_e32 v2, v[0:1]
	s_mov_b32 s0, 0
	global_store_byte v[8:9], v2, off
.LBB7_1798:
	s_andn2_b32 vcc_lo, exec_lo, s0
	s_cbranch_vccnz .LBB7_1800
; %bb.1799:
	v_trunc_f64_e32 v[0:1], v[0:1]
	v_ldexp_f64 v[2:3], v[0:1], 0xffffffe0
	v_floor_f64_e32 v[2:3], v[2:3]
	v_fma_f64 v[0:1], 0xc1f00000, v[2:3], v[0:1]
	v_cvt_u32_f64_e32 v0, v[0:1]
	global_store_byte v[8:9], v0, off
.LBB7_1800:
	s_mov_b32 s5, -1
.LBB7_1801:
	s_andn2_b32 vcc_lo, exec_lo, s5
	s_cbranch_vccnz .LBB7_1997
; %bb.1802:
	v_mul_f64 v[0:1], v[6:7], v[12:13]
	v_add_nc_u32_e32 v8, s1, v14
	v_cmp_eq_f32_e32 vcc_lo, 1.0, v19
	s_cmp_lt_i32 s16, 11
	v_ashrrev_i32_e32 v2, 31, v8
	v_cndmask_b32_e32 v1, v1, v7, vcc_lo
	v_cndmask_b32_e32 v0, v0, v6, vcc_lo
	v_add_co_u32 v6, vcc_lo, s8, v8
	v_add_co_ci_u32_e64 v7, null, s9, v2, vcc_lo
	s_cbranch_scc1 .LBB7_1880
; %bb.1803:
	s_and_b32 s2, 0xffff, s16
	s_mov_b32 s10, -1
	s_mov_b32 s3, 0
	s_cmp_gt_i32 s2, 25
	s_mov_b32 s5, 0
	s_mov_b32 s0, 0
	s_cbranch_scc0 .LBB7_1836
; %bb.1804:
	s_cmp_gt_i32 s2, 28
	s_cbranch_scc0 .LBB7_1819
; %bb.1805:
	s_cmp_gt_i32 s2, 43
	;; [unrolled: 3-line block ×3, first 2 shown]
	s_cbranch_scc0 .LBB7_1809
; %bb.1807:
	s_mov_b32 s0, -1
	s_mov_b32 s10, 0
	s_cmp_eq_u32 s2, 46
	s_cbranch_scc0 .LBB7_1809
; %bb.1808:
	v_cvt_f32_f64_e32 v2, v[0:1]
	s_mov_b32 s0, 0
	s_mov_b32 s5, -1
	v_bfe_u32 v3, v2, 16, 1
	v_cmp_o_f32_e32 vcc_lo, v2, v2
	v_add3_u32 v2, v2, v3, 0x7fff
	v_mov_b32_e32 v3, 0x7fc0
	v_cndmask_b32_sdwa v2, v3, v2, vcc_lo dst_sel:DWORD dst_unused:UNUSED_PAD src0_sel:DWORD src1_sel:WORD_1
	global_store_dword v[6:7], v2, off
.LBB7_1809:
	s_and_b32 vcc_lo, exec_lo, s10
	s_cbranch_vccz .LBB7_1814
; %bb.1810:
	s_cmp_eq_u32 s2, 44
	s_mov_b32 s0, -1
	s_cbranch_scc0 .LBB7_1814
; %bb.1811:
	v_cvt_f32_f64_e32 v2, v[0:1]
	v_mov_b32_e32 v3, 0xff
	s_mov_b32 s5, exec_lo
	v_bfe_u32 v9, v2, 23, 8
	v_cmpx_ne_u32_e32 0xff, v9
	s_cbranch_execz .LBB7_1813
; %bb.1812:
	v_and_b32_e32 v3, 0x400000, v2
	v_and_or_b32 v9, 0x3fffff, v2, v9
	v_lshrrev_b32_e32 v2, 23, v2
	v_cmp_ne_u32_e32 vcc_lo, 0, v3
	v_cmp_ne_u32_e64 s0, 0, v9
	s_and_b32 s0, vcc_lo, s0
	v_cndmask_b32_e64 v3, 0, 1, s0
	v_add_nc_u32_e32 v3, v2, v3
.LBB7_1813:
	s_or_b32 exec_lo, exec_lo, s5
	s_mov_b32 s0, 0
	s_mov_b32 s5, -1
	global_store_byte v[6:7], v3, off
.LBB7_1814:
	s_mov_b32 s10, 0
.LBB7_1815:
	s_and_b32 vcc_lo, exec_lo, s10
	s_cbranch_vccz .LBB7_1818
; %bb.1816:
	s_cmp_eq_u32 s2, 29
	s_mov_b32 s0, -1
	s_cbranch_scc0 .LBB7_1818
; %bb.1817:
	v_trunc_f64_e32 v[2:3], v[0:1]
	s_mov_b32 s0, 0
	s_mov_b32 s5, -1
	v_ldexp_f64 v[12:13], v[2:3], 0xffffffe0
	v_floor_f64_e32 v[12:13], v[12:13]
	v_fma_f64 v[2:3], 0xc1f00000, v[12:13], v[2:3]
	v_cvt_u32_f64_e32 v13, v[12:13]
	v_cvt_u32_f64_e32 v12, v[2:3]
	global_store_dwordx2 v[6:7], v[12:13], off
.LBB7_1818:
	s_mov_b32 s10, 0
.LBB7_1819:
	s_and_b32 vcc_lo, exec_lo, s10
	s_cbranch_vccz .LBB7_1835
; %bb.1820:
	s_cmp_lt_i32 s2, 27
	s_mov_b32 s5, -1
	s_cbranch_scc1 .LBB7_1826
; %bb.1821:
	v_cvt_u32_f64_e32 v2, v[0:1]
	s_cmp_gt_i32 s2, 27
	s_cbranch_scc0 .LBB7_1823
; %bb.1822:
	s_mov_b32 s5, 0
	global_store_dword v[6:7], v2, off
.LBB7_1823:
	s_andn2_b32 vcc_lo, exec_lo, s5
	s_cbranch_vccnz .LBB7_1825
; %bb.1824:
	global_store_short v[6:7], v2, off
.LBB7_1825:
	s_mov_b32 s5, 0
.LBB7_1826:
	s_andn2_b32 vcc_lo, exec_lo, s5
	s_cbranch_vccnz .LBB7_1834
; %bb.1827:
	v_cvt_f32_f64_e32 v2, v[0:1]
	v_mov_b32_e32 v9, 0x80
	s_mov_b32 s5, exec_lo
	v_and_b32_e32 v3, 0x7fffffff, v2
	v_cmpx_gt_u32_e32 0x43800000, v3
	s_cbranch_execz .LBB7_1833
; %bb.1828:
	v_cmp_lt_u32_e32 vcc_lo, 0x3bffffff, v3
	s_mov_b32 s10, 0
                                        ; implicit-def: $vgpr3
	s_and_saveexec_b32 s11, vcc_lo
	s_xor_b32 s11, exec_lo, s11
	s_cbranch_execz .LBB7_2054
; %bb.1829:
	v_bfe_u32 v3, v2, 20, 1
	s_mov_b32 s10, exec_lo
	v_add3_u32 v3, v2, v3, 0x487ffff
	v_lshrrev_b32_e32 v3, 20, v3
	s_andn2_saveexec_b32 s11, s11
	s_cbranch_execnz .LBB7_2055
.LBB7_1830:
	s_or_b32 exec_lo, exec_lo, s11
	v_mov_b32_e32 v9, 0
	s_and_saveexec_b32 s11, s10
.LBB7_1831:
	v_lshrrev_b32_e32 v2, 24, v2
	v_and_or_b32 v9, 0x80, v2, v3
.LBB7_1832:
	s_or_b32 exec_lo, exec_lo, s11
.LBB7_1833:
	s_or_b32 exec_lo, exec_lo, s5
	global_store_byte v[6:7], v9, off
.LBB7_1834:
	s_mov_b32 s5, -1
.LBB7_1835:
	s_mov_b32 s10, 0
.LBB7_1836:
	s_and_b32 vcc_lo, exec_lo, s10
	s_cbranch_vccz .LBB7_1876
; %bb.1837:
	s_cmp_gt_i32 s2, 22
	s_mov_b32 s3, -1
	s_cbranch_scc0 .LBB7_1869
; %bb.1838:
	s_cmp_lt_i32 s2, 24
	s_cbranch_scc1 .LBB7_1858
; %bb.1839:
	s_cmp_gt_i32 s2, 24
	s_cbranch_scc0 .LBB7_1847
; %bb.1840:
	v_cvt_f32_f64_e32 v2, v[0:1]
	v_mov_b32_e32 v9, 0x80
	s_mov_b32 s3, exec_lo
	v_and_b32_e32 v3, 0x7fffffff, v2
	v_cmpx_gt_u32_e32 0x47800000, v3
	s_cbranch_execz .LBB7_1846
; %bb.1841:
	v_cmp_lt_u32_e32 vcc_lo, 0x37ffffff, v3
	s_mov_b32 s5, 0
                                        ; implicit-def: $vgpr3
	s_and_saveexec_b32 s10, vcc_lo
	s_xor_b32 s10, exec_lo, s10
	s_cbranch_execz .LBB7_2057
; %bb.1842:
	v_bfe_u32 v3, v2, 21, 1
	s_mov_b32 s5, exec_lo
	v_add3_u32 v3, v2, v3, 0x88fffff
	v_lshrrev_b32_e32 v3, 21, v3
	s_andn2_saveexec_b32 s10, s10
	s_cbranch_execnz .LBB7_2058
.LBB7_1843:
	s_or_b32 exec_lo, exec_lo, s10
	v_mov_b32_e32 v9, 0
	s_and_saveexec_b32 s10, s5
.LBB7_1844:
	v_lshrrev_b32_e32 v2, 24, v2
	v_and_or_b32 v9, 0x80, v2, v3
.LBB7_1845:
	s_or_b32 exec_lo, exec_lo, s10
.LBB7_1846:
	s_or_b32 exec_lo, exec_lo, s3
	s_mov_b32 s3, 0
	global_store_byte v[6:7], v9, off
.LBB7_1847:
	s_and_b32 vcc_lo, exec_lo, s3
	s_cbranch_vccz .LBB7_1857
; %bb.1848:
	v_cvt_f32_f64_e32 v2, v[0:1]
	s_mov_b32 s3, exec_lo
                                        ; implicit-def: $vgpr3
	v_and_b32_e32 v9, 0x7fffffff, v2
	v_cmpx_gt_u32_e32 0x43f00000, v9
	s_xor_b32 s3, exec_lo, s3
	s_cbranch_execz .LBB7_1854
; %bb.1849:
	s_mov_b32 s5, exec_lo
                                        ; implicit-def: $vgpr3
	v_cmpx_lt_u32_e32 0x3c7fffff, v9
	s_xor_b32 s5, exec_lo, s5
; %bb.1850:
	v_bfe_u32 v3, v2, 20, 1
	v_add3_u32 v3, v2, v3, 0x407ffff
	v_and_b32_e32 v9, 0xff00000, v3
	v_lshrrev_b32_e32 v3, 20, v3
	v_cmp_ne_u32_e32 vcc_lo, 0x7f00000, v9
	v_cndmask_b32_e32 v3, 0x7e, v3, vcc_lo
; %bb.1851:
	s_andn2_saveexec_b32 s5, s5
; %bb.1852:
	v_add_f32_e64 v3, 0x46800000, |v2|
; %bb.1853:
	s_or_b32 exec_lo, exec_lo, s5
                                        ; implicit-def: $vgpr9
.LBB7_1854:
	s_andn2_saveexec_b32 s3, s3
; %bb.1855:
	v_mov_b32_e32 v3, 0x7f
	v_cmp_lt_u32_e32 vcc_lo, 0x7f800000, v9
	v_cndmask_b32_e32 v3, 0x7e, v3, vcc_lo
; %bb.1856:
	s_or_b32 exec_lo, exec_lo, s3
	v_lshrrev_b32_e32 v2, 24, v2
	v_and_or_b32 v2, 0x80, v2, v3
	global_store_byte v[6:7], v2, off
.LBB7_1857:
	s_mov_b32 s3, 0
.LBB7_1858:
	s_andn2_b32 vcc_lo, exec_lo, s3
	s_cbranch_vccnz .LBB7_1868
; %bb.1859:
	v_cvt_f32_f64_e32 v2, v[0:1]
	s_mov_b32 s3, exec_lo
                                        ; implicit-def: $vgpr3
	v_and_b32_e32 v9, 0x7fffffff, v2
	v_cmpx_gt_u32_e32 0x47800000, v9
	s_xor_b32 s3, exec_lo, s3
	s_cbranch_execz .LBB7_1865
; %bb.1860:
	s_mov_b32 s5, exec_lo
                                        ; implicit-def: $vgpr3
	v_cmpx_lt_u32_e32 0x387fffff, v9
	s_xor_b32 s5, exec_lo, s5
; %bb.1861:
	v_bfe_u32 v3, v2, 21, 1
	v_add3_u32 v3, v2, v3, 0x80fffff
	v_lshrrev_b32_e32 v3, 21, v3
; %bb.1862:
	s_andn2_saveexec_b32 s5, s5
; %bb.1863:
	v_add_f32_e64 v3, 0x43000000, |v2|
; %bb.1864:
	s_or_b32 exec_lo, exec_lo, s5
                                        ; implicit-def: $vgpr9
.LBB7_1865:
	s_andn2_saveexec_b32 s3, s3
; %bb.1866:
	v_mov_b32_e32 v3, 0x7f
	v_cmp_lt_u32_e32 vcc_lo, 0x7f800000, v9
	v_cndmask_b32_e32 v3, 0x7c, v3, vcc_lo
; %bb.1867:
	s_or_b32 exec_lo, exec_lo, s3
	v_lshrrev_b32_e32 v2, 24, v2
	v_and_or_b32 v2, 0x80, v2, v3
	global_store_byte v[6:7], v2, off
.LBB7_1868:
	s_mov_b32 s3, 0
	s_mov_b32 s5, -1
.LBB7_1869:
	s_andn2_b32 vcc_lo, exec_lo, s3
	s_mov_b32 s3, 0
	s_cbranch_vccnz .LBB7_1876
; %bb.1870:
	s_cmp_gt_i32 s2, 14
	s_mov_b32 s3, -1
	s_cbranch_scc0 .LBB7_1874
; %bb.1871:
	s_cmp_eq_u32 s2, 15
	s_mov_b32 s0, -1
	s_cbranch_scc0 .LBB7_1873
; %bb.1872:
	v_cvt_f32_f64_e32 v2, v[0:1]
	s_mov_b32 s0, 0
	s_mov_b32 s5, -1
	v_bfe_u32 v3, v2, 16, 1
	v_cmp_o_f32_e32 vcc_lo, v2, v2
	v_add3_u32 v2, v2, v3, 0x7fff
	v_mov_b32_e32 v3, 0x7fc0
	v_cndmask_b32_sdwa v2, v3, v2, vcc_lo dst_sel:DWORD dst_unused:UNUSED_PAD src0_sel:DWORD src1_sel:WORD_1
	global_store_short v[6:7], v2, off
.LBB7_1873:
	s_mov_b32 s3, 0
.LBB7_1874:
	s_and_b32 vcc_lo, exec_lo, s3
	s_mov_b32 s3, 0
	s_cbranch_vccz .LBB7_1876
; %bb.1875:
	s_cmp_lg_u32 s2, 11
	s_mov_b32 s3, -1
	s_cselect_b32 s0, -1, 0
.LBB7_1876:
	s_and_b32 vcc_lo, exec_lo, s0
	s_cbranch_vccnz .LBB7_2056
; %bb.1877:
	s_andn2_b32 vcc_lo, exec_lo, s3
	s_cbranch_vccnz .LBB7_1879
.LBB7_1878:
	v_cmp_neq_f64_e32 vcc_lo, 0, v[0:1]
	s_mov_b32 s5, -1
	v_cndmask_b32_e64 v2, 0, 1, vcc_lo
	global_store_byte v[6:7], v2, off
.LBB7_1879:
	s_mov_b32 s0, 0
	s_branch .LBB7_1881
.LBB7_1880:
	s_mov_b32 s0, -1
	s_mov_b32 s5, 0
.LBB7_1881:
	s_and_b32 vcc_lo, exec_lo, s0
	s_cbranch_vccz .LBB7_1920
; %bb.1882:
	s_and_b32 s0, 0xffff, s16
	s_mov_b32 s2, -1
	s_cmp_lt_i32 s0, 5
	s_cbranch_scc1 .LBB7_1903
; %bb.1883:
	s_cmp_lt_i32 s0, 8
	s_cbranch_scc1 .LBB7_1893
; %bb.1884:
	;; [unrolled: 3-line block ×3, first 2 shown]
	s_cmp_gt_i32 s0, 9
	s_cbranch_scc0 .LBB7_1887
; %bb.1886:
	v_mov_b32_e32 v2, 0
	s_mov_b32 s2, 0
	v_mov_b32_e32 v3, v2
	global_store_dwordx4 v[6:7], v[0:3], off
.LBB7_1887:
	s_andn2_b32 vcc_lo, exec_lo, s2
	s_cbranch_vccnz .LBB7_1889
; %bb.1888:
	v_cvt_f32_f64_e32 v2, v[0:1]
	v_mov_b32_e32 v3, 0
	global_store_dwordx2 v[6:7], v[2:3], off
.LBB7_1889:
	s_mov_b32 s2, 0
.LBB7_1890:
	s_andn2_b32 vcc_lo, exec_lo, s2
	s_cbranch_vccnz .LBB7_1892
; %bb.1891:
	v_and_or_b32 v2, 0x1ff, v1, v0
	v_lshrrev_b32_e32 v3, 8, v1
	v_bfe_u32 v9, v1, 20, 11
	v_cmp_ne_u32_e32 vcc_lo, 0, v2
	v_sub_nc_u32_e32 v12, 0x3f1, v9
	v_add_nc_u32_e32 v9, 0xfffffc10, v9
	v_cndmask_b32_e64 v2, 0, 1, vcc_lo
	v_and_or_b32 v2, 0xffe, v3, v2
	v_med3_i32 v3, v12, 0, 13
	v_or_b32_e32 v12, 0x1000, v2
	v_lshrrev_b32_e32 v13, v3, v12
	v_lshlrev_b32_e32 v3, v3, v13
	v_cmp_ne_u32_e32 vcc_lo, v3, v12
	v_lshl_or_b32 v12, v9, 12, v2
	v_cndmask_b32_e64 v3, 0, 1, vcc_lo
	v_cmp_gt_i32_e32 vcc_lo, 1, v9
	v_or_b32_e32 v3, v13, v3
	v_cndmask_b32_e32 v3, v12, v3, vcc_lo
	v_and_b32_e32 v12, 7, v3
	v_lshrrev_b32_e32 v3, 2, v3
	v_cmp_lt_i32_e32 vcc_lo, 5, v12
	v_cndmask_b32_e64 v13, 0, 1, vcc_lo
	v_cmp_eq_u32_e32 vcc_lo, 3, v12
	v_cndmask_b32_e64 v12, 0, 1, vcc_lo
	v_cmp_ne_u32_e32 vcc_lo, 0, v2
	v_or_b32_e32 v12, v12, v13
	v_mov_b32_e32 v13, 0x7e00
	v_add_nc_u32_e32 v3, v3, v12
	v_cndmask_b32_e32 v2, 0x7c00, v13, vcc_lo
	v_cmp_gt_i32_e32 vcc_lo, 31, v9
	v_cndmask_b32_e32 v3, 0x7c00, v3, vcc_lo
	v_cmp_eq_u32_e32 vcc_lo, 0x40f, v9
	v_cndmask_b32_e32 v2, v3, v2, vcc_lo
	v_lshrrev_b32_e32 v3, 16, v1
	v_and_or_b32 v2, 0x8000, v3, v2
	v_and_b32_e32 v2, 0xffff, v2
	global_store_dword v[6:7], v2, off
.LBB7_1892:
	s_mov_b32 s2, 0
.LBB7_1893:
	s_andn2_b32 vcc_lo, exec_lo, s2
	s_cbranch_vccnz .LBB7_1902
; %bb.1894:
	s_cmp_lt_i32 s0, 6
	s_mov_b32 s2, -1
	s_cbranch_scc1 .LBB7_1900
; %bb.1895:
	s_cmp_gt_i32 s0, 6
	s_cbranch_scc0 .LBB7_1897
; %bb.1896:
	s_mov_b32 s2, 0
	global_store_dwordx2 v[6:7], v[0:1], off
.LBB7_1897:
	s_andn2_b32 vcc_lo, exec_lo, s2
	s_cbranch_vccnz .LBB7_1899
; %bb.1898:
	v_cvt_f32_f64_e32 v2, v[0:1]
	global_store_dword v[6:7], v2, off
.LBB7_1899:
	s_mov_b32 s2, 0
.LBB7_1900:
	s_andn2_b32 vcc_lo, exec_lo, s2
	s_cbranch_vccnz .LBB7_1902
; %bb.1901:
	v_and_or_b32 v2, 0x1ff, v1, v0
	v_lshrrev_b32_e32 v3, 8, v1
	v_bfe_u32 v9, v1, 20, 11
	v_cmp_ne_u32_e32 vcc_lo, 0, v2
	v_sub_nc_u32_e32 v12, 0x3f1, v9
	v_add_nc_u32_e32 v9, 0xfffffc10, v9
	v_cndmask_b32_e64 v2, 0, 1, vcc_lo
	v_and_or_b32 v2, 0xffe, v3, v2
	v_med3_i32 v3, v12, 0, 13
	v_or_b32_e32 v12, 0x1000, v2
	v_lshrrev_b32_e32 v13, v3, v12
	v_lshlrev_b32_e32 v3, v3, v13
	v_cmp_ne_u32_e32 vcc_lo, v3, v12
	v_lshl_or_b32 v12, v9, 12, v2
	v_cndmask_b32_e64 v3, 0, 1, vcc_lo
	v_cmp_gt_i32_e32 vcc_lo, 1, v9
	v_or_b32_e32 v3, v13, v3
	v_cndmask_b32_e32 v3, v12, v3, vcc_lo
	v_and_b32_e32 v12, 7, v3
	v_lshrrev_b32_e32 v3, 2, v3
	v_cmp_lt_i32_e32 vcc_lo, 5, v12
	v_cndmask_b32_e64 v13, 0, 1, vcc_lo
	v_cmp_eq_u32_e32 vcc_lo, 3, v12
	v_cndmask_b32_e64 v12, 0, 1, vcc_lo
	v_cmp_ne_u32_e32 vcc_lo, 0, v2
	v_or_b32_e32 v12, v12, v13
	v_mov_b32_e32 v13, 0x7e00
	v_add_nc_u32_e32 v3, v3, v12
	v_cndmask_b32_e32 v2, 0x7c00, v13, vcc_lo
	v_cmp_gt_i32_e32 vcc_lo, 31, v9
	v_cndmask_b32_e32 v3, 0x7c00, v3, vcc_lo
	v_cmp_eq_u32_e32 vcc_lo, 0x40f, v9
	v_cndmask_b32_e32 v2, v3, v2, vcc_lo
	v_lshrrev_b32_e32 v3, 16, v1
	v_and_or_b32 v2, 0x8000, v3, v2
	global_store_short v[6:7], v2, off
.LBB7_1902:
	s_mov_b32 s2, 0
.LBB7_1903:
	s_andn2_b32 vcc_lo, exec_lo, s2
	s_cbranch_vccnz .LBB7_1919
; %bb.1904:
	s_cmp_lt_i32 s0, 2
	s_mov_b32 s2, -1
	s_cbranch_scc1 .LBB7_1914
; %bb.1905:
	s_cmp_lt_i32 s0, 3
	s_cbranch_scc1 .LBB7_1911
; %bb.1906:
	s_cmp_gt_i32 s0, 3
	s_cbranch_scc0 .LBB7_1908
; %bb.1907:
	v_trunc_f64_e32 v[2:3], v[0:1]
	s_mov_b32 s2, 0
	v_ldexp_f64 v[12:13], v[2:3], 0xffffffe0
	v_floor_f64_e32 v[12:13], v[12:13]
	v_fma_f64 v[2:3], 0xc1f00000, v[12:13], v[2:3]
	v_cvt_i32_f64_e32 v13, v[12:13]
	v_cvt_u32_f64_e32 v12, v[2:3]
	global_store_dwordx2 v[6:7], v[12:13], off
.LBB7_1908:
	s_andn2_b32 vcc_lo, exec_lo, s2
	s_cbranch_vccnz .LBB7_1910
; %bb.1909:
	v_cvt_i32_f64_e32 v2, v[0:1]
	global_store_dword v[6:7], v2, off
.LBB7_1910:
	s_mov_b32 s2, 0
.LBB7_1911:
	s_andn2_b32 vcc_lo, exec_lo, s2
	s_cbranch_vccnz .LBB7_1913
; %bb.1912:
	v_cvt_i32_f64_e32 v2, v[0:1]
	global_store_short v[6:7], v2, off
.LBB7_1913:
	s_mov_b32 s2, 0
.LBB7_1914:
	s_andn2_b32 vcc_lo, exec_lo, s2
	s_cbranch_vccnz .LBB7_1919
; %bb.1915:
	s_cmp_gt_i32 s0, 0
	s_mov_b32 s0, -1
	s_cbranch_scc0 .LBB7_1917
; %bb.1916:
	v_cvt_i32_f64_e32 v2, v[0:1]
	s_mov_b32 s0, 0
	global_store_byte v[6:7], v2, off
.LBB7_1917:
	s_andn2_b32 vcc_lo, exec_lo, s0
	s_cbranch_vccnz .LBB7_1919
; %bb.1918:
	v_trunc_f64_e32 v[0:1], v[0:1]
	v_ldexp_f64 v[2:3], v[0:1], 0xffffffe0
	v_floor_f64_e32 v[2:3], v[2:3]
	v_fma_f64 v[0:1], 0xc1f00000, v[2:3], v[0:1]
	v_cvt_u32_f64_e32 v0, v[0:1]
	global_store_byte v[6:7], v0, off
.LBB7_1919:
	s_mov_b32 s5, -1
.LBB7_1920:
	s_andn2_b32 vcc_lo, exec_lo, s5
	s_cbranch_vccnz .LBB7_1997
; %bb.1921:
	v_mul_f64 v[0:1], v[4:5], v[10:11]
	v_add_nc_u32_e32 v2, s1, v8
	v_cmp_eq_f32_e32 vcc_lo, 1.0, v18
	s_cmp_lt_i32 s16, 11
	v_ashrrev_i32_e32 v3, 31, v2
	v_cndmask_b32_e32 v1, v1, v5, vcc_lo
	v_cndmask_b32_e32 v0, v0, v4, vcc_lo
	v_add_co_u32 v4, vcc_lo, s8, v2
	v_add_co_ci_u32_e64 v5, null, s9, v3, vcc_lo
	s_cbranch_scc1 .LBB7_2042
; %bb.1922:
	s_and_b32 s1, 0xffff, s16
	s_mov_b32 s3, -1
	s_mov_b32 s2, 0
	s_cmp_gt_i32 s1, 25
	s_mov_b32 s0, 0
	s_cbranch_scc0 .LBB7_1955
; %bb.1923:
	s_cmp_gt_i32 s1, 28
	s_cbranch_scc0 .LBB7_1939
; %bb.1924:
	s_cmp_gt_i32 s1, 43
	;; [unrolled: 3-line block ×3, first 2 shown]
	s_cbranch_scc0 .LBB7_1929
; %bb.1926:
	s_cmp_eq_u32 s1, 46
	s_mov_b32 s0, -1
	s_cbranch_scc0 .LBB7_1928
; %bb.1927:
	v_cvt_f32_f64_e32 v2, v[0:1]
	s_mov_b32 s0, 0
	v_bfe_u32 v3, v2, 16, 1
	v_cmp_o_f32_e32 vcc_lo, v2, v2
	v_add3_u32 v2, v2, v3, 0x7fff
	v_mov_b32_e32 v3, 0x7fc0
	v_cndmask_b32_sdwa v2, v3, v2, vcc_lo dst_sel:DWORD dst_unused:UNUSED_PAD src0_sel:DWORD src1_sel:WORD_1
	global_store_dword v[4:5], v2, off
.LBB7_1928:
	s_mov_b32 s3, 0
.LBB7_1929:
	s_and_b32 vcc_lo, exec_lo, s3
	s_cbranch_vccz .LBB7_1934
; %bb.1930:
	s_cmp_eq_u32 s1, 44
	s_mov_b32 s0, -1
	s_cbranch_scc0 .LBB7_1934
; %bb.1931:
	v_cvt_f32_f64_e32 v2, v[0:1]
	v_mov_b32_e32 v3, 0xff
	s_mov_b32 s3, exec_lo
	v_bfe_u32 v6, v2, 23, 8
	v_cmpx_ne_u32_e32 0xff, v6
	s_cbranch_execz .LBB7_1933
; %bb.1932:
	v_and_b32_e32 v3, 0x400000, v2
	v_and_or_b32 v6, 0x3fffff, v2, v6
	v_lshrrev_b32_e32 v2, 23, v2
	v_cmp_ne_u32_e32 vcc_lo, 0, v3
	v_cmp_ne_u32_e64 s0, 0, v6
	s_and_b32 s0, vcc_lo, s0
	v_cndmask_b32_e64 v3, 0, 1, s0
	v_add_nc_u32_e32 v3, v2, v3
.LBB7_1933:
	s_or_b32 exec_lo, exec_lo, s3
	s_mov_b32 s0, 0
	global_store_byte v[4:5], v3, off
.LBB7_1934:
	s_mov_b32 s3, 0
.LBB7_1935:
	s_and_b32 vcc_lo, exec_lo, s3
	s_cbranch_vccz .LBB7_1938
; %bb.1936:
	s_cmp_eq_u32 s1, 29
	s_mov_b32 s0, -1
	s_cbranch_scc0 .LBB7_1938
; %bb.1937:
	v_trunc_f64_e32 v[2:3], v[0:1]
	s_mov_b32 s0, 0
	v_ldexp_f64 v[6:7], v[2:3], 0xffffffe0
	v_floor_f64_e32 v[6:7], v[6:7]
	v_fma_f64 v[2:3], 0xc1f00000, v[6:7], v[2:3]
	v_cvt_u32_f64_e32 v7, v[6:7]
	v_cvt_u32_f64_e32 v6, v[2:3]
	global_store_dwordx2 v[4:5], v[6:7], off
.LBB7_1938:
	s_mov_b32 s3, 0
.LBB7_1939:
	s_and_b32 vcc_lo, exec_lo, s3
	s_cbranch_vccz .LBB7_1954
; %bb.1940:
	s_cmp_lt_i32 s1, 27
	s_mov_b32 s3, -1
	s_cbranch_scc1 .LBB7_1946
; %bb.1941:
	v_cvt_u32_f64_e32 v2, v[0:1]
	s_cmp_gt_i32 s1, 27
	s_cbranch_scc0 .LBB7_1943
; %bb.1942:
	s_mov_b32 s3, 0
	global_store_dword v[4:5], v2, off
.LBB7_1943:
	s_andn2_b32 vcc_lo, exec_lo, s3
	s_cbranch_vccnz .LBB7_1945
; %bb.1944:
	global_store_short v[4:5], v2, off
.LBB7_1945:
	s_mov_b32 s3, 0
.LBB7_1946:
	s_andn2_b32 vcc_lo, exec_lo, s3
	s_cbranch_vccnz .LBB7_1954
; %bb.1947:
	v_cvt_f32_f64_e32 v2, v[0:1]
	v_mov_b32_e32 v6, 0x80
	s_mov_b32 s3, exec_lo
	v_and_b32_e32 v3, 0x7fffffff, v2
	v_cmpx_gt_u32_e32 0x43800000, v3
	s_cbranch_execz .LBB7_1953
; %bb.1948:
	v_cmp_lt_u32_e32 vcc_lo, 0x3bffffff, v3
	s_mov_b32 s5, 0
                                        ; implicit-def: $vgpr3
	s_and_saveexec_b32 s8, vcc_lo
	s_xor_b32 s8, exec_lo, s8
	s_cbranch_execz .LBB7_2059
; %bb.1949:
	v_bfe_u32 v3, v2, 20, 1
	s_mov_b32 s5, exec_lo
	v_add3_u32 v3, v2, v3, 0x487ffff
	v_lshrrev_b32_e32 v3, 20, v3
	s_andn2_saveexec_b32 s8, s8
	s_cbranch_execnz .LBB7_2060
.LBB7_1950:
	s_or_b32 exec_lo, exec_lo, s8
	v_mov_b32_e32 v6, 0
	s_and_saveexec_b32 s8, s5
.LBB7_1951:
	v_lshrrev_b32_e32 v2, 24, v2
	v_and_or_b32 v6, 0x80, v2, v3
.LBB7_1952:
	s_or_b32 exec_lo, exec_lo, s8
.LBB7_1953:
	s_or_b32 exec_lo, exec_lo, s3
	global_store_byte v[4:5], v6, off
.LBB7_1954:
	s_mov_b32 s3, 0
.LBB7_1955:
	s_and_b32 vcc_lo, exec_lo, s3
	s_cbranch_vccz .LBB7_1995
; %bb.1956:
	s_cmp_gt_i32 s1, 22
	s_mov_b32 s2, -1
	s_cbranch_scc0 .LBB7_1988
; %bb.1957:
	s_cmp_lt_i32 s1, 24
	s_cbranch_scc1 .LBB7_1977
; %bb.1958:
	s_cmp_gt_i32 s1, 24
	s_cbranch_scc0 .LBB7_1966
; %bb.1959:
	v_cvt_f32_f64_e32 v2, v[0:1]
	v_mov_b32_e32 v6, 0x80
	s_mov_b32 s2, exec_lo
	v_and_b32_e32 v3, 0x7fffffff, v2
	v_cmpx_gt_u32_e32 0x47800000, v3
	s_cbranch_execz .LBB7_1965
; %bb.1960:
	v_cmp_lt_u32_e32 vcc_lo, 0x37ffffff, v3
	s_mov_b32 s3, 0
                                        ; implicit-def: $vgpr3
	s_and_saveexec_b32 s5, vcc_lo
	s_xor_b32 s5, exec_lo, s5
	s_cbranch_execz .LBB7_2062
; %bb.1961:
	v_bfe_u32 v3, v2, 21, 1
	s_mov_b32 s3, exec_lo
	v_add3_u32 v3, v2, v3, 0x88fffff
	v_lshrrev_b32_e32 v3, 21, v3
	s_andn2_saveexec_b32 s5, s5
	s_cbranch_execnz .LBB7_2063
.LBB7_1962:
	s_or_b32 exec_lo, exec_lo, s5
	v_mov_b32_e32 v6, 0
	s_and_saveexec_b32 s5, s3
.LBB7_1963:
	v_lshrrev_b32_e32 v2, 24, v2
	v_and_or_b32 v6, 0x80, v2, v3
.LBB7_1964:
	s_or_b32 exec_lo, exec_lo, s5
.LBB7_1965:
	s_or_b32 exec_lo, exec_lo, s2
	s_mov_b32 s2, 0
	global_store_byte v[4:5], v6, off
.LBB7_1966:
	s_and_b32 vcc_lo, exec_lo, s2
	s_cbranch_vccz .LBB7_1976
; %bb.1967:
	v_cvt_f32_f64_e32 v2, v[0:1]
	s_mov_b32 s2, exec_lo
                                        ; implicit-def: $vgpr3
	v_and_b32_e32 v6, 0x7fffffff, v2
	v_cmpx_gt_u32_e32 0x43f00000, v6
	s_xor_b32 s2, exec_lo, s2
	s_cbranch_execz .LBB7_1973
; %bb.1968:
	s_mov_b32 s3, exec_lo
                                        ; implicit-def: $vgpr3
	v_cmpx_lt_u32_e32 0x3c7fffff, v6
	s_xor_b32 s3, exec_lo, s3
; %bb.1969:
	v_bfe_u32 v3, v2, 20, 1
	v_add3_u32 v3, v2, v3, 0x407ffff
	v_and_b32_e32 v6, 0xff00000, v3
	v_lshrrev_b32_e32 v3, 20, v3
	v_cmp_ne_u32_e32 vcc_lo, 0x7f00000, v6
	v_cndmask_b32_e32 v3, 0x7e, v3, vcc_lo
; %bb.1970:
	s_andn2_saveexec_b32 s3, s3
; %bb.1971:
	v_add_f32_e64 v3, 0x46800000, |v2|
; %bb.1972:
	s_or_b32 exec_lo, exec_lo, s3
                                        ; implicit-def: $vgpr6
.LBB7_1973:
	s_andn2_saveexec_b32 s2, s2
; %bb.1974:
	v_mov_b32_e32 v3, 0x7f
	v_cmp_lt_u32_e32 vcc_lo, 0x7f800000, v6
	v_cndmask_b32_e32 v3, 0x7e, v3, vcc_lo
; %bb.1975:
	s_or_b32 exec_lo, exec_lo, s2
	v_lshrrev_b32_e32 v2, 24, v2
	v_and_or_b32 v2, 0x80, v2, v3
	global_store_byte v[4:5], v2, off
.LBB7_1976:
	s_mov_b32 s2, 0
.LBB7_1977:
	s_andn2_b32 vcc_lo, exec_lo, s2
	s_cbranch_vccnz .LBB7_1987
; %bb.1978:
	v_cvt_f32_f64_e32 v2, v[0:1]
	s_mov_b32 s2, exec_lo
                                        ; implicit-def: $vgpr3
	v_and_b32_e32 v6, 0x7fffffff, v2
	v_cmpx_gt_u32_e32 0x47800000, v6
	s_xor_b32 s2, exec_lo, s2
	s_cbranch_execz .LBB7_1984
; %bb.1979:
	s_mov_b32 s3, exec_lo
                                        ; implicit-def: $vgpr3
	v_cmpx_lt_u32_e32 0x387fffff, v6
	s_xor_b32 s3, exec_lo, s3
; %bb.1980:
	v_bfe_u32 v3, v2, 21, 1
	v_add3_u32 v3, v2, v3, 0x80fffff
	v_lshrrev_b32_e32 v3, 21, v3
; %bb.1981:
	s_andn2_saveexec_b32 s3, s3
; %bb.1982:
	v_add_f32_e64 v3, 0x43000000, |v2|
; %bb.1983:
	s_or_b32 exec_lo, exec_lo, s3
                                        ; implicit-def: $vgpr6
.LBB7_1984:
	s_andn2_saveexec_b32 s2, s2
; %bb.1985:
	v_mov_b32_e32 v3, 0x7f
	v_cmp_lt_u32_e32 vcc_lo, 0x7f800000, v6
	v_cndmask_b32_e32 v3, 0x7c, v3, vcc_lo
; %bb.1986:
	s_or_b32 exec_lo, exec_lo, s2
	v_lshrrev_b32_e32 v2, 24, v2
	v_and_or_b32 v2, 0x80, v2, v3
	global_store_byte v[4:5], v2, off
.LBB7_1987:
	s_mov_b32 s2, 0
.LBB7_1988:
	s_andn2_b32 vcc_lo, exec_lo, s2
	s_mov_b32 s2, 0
	s_cbranch_vccnz .LBB7_1995
; %bb.1989:
	s_cmp_gt_i32 s1, 14
	s_mov_b32 s2, -1
	s_cbranch_scc0 .LBB7_1993
; %bb.1990:
	s_cmp_eq_u32 s1, 15
	s_mov_b32 s0, -1
	s_cbranch_scc0 .LBB7_1992
; %bb.1991:
	v_cvt_f32_f64_e32 v2, v[0:1]
	s_mov_b32 s0, 0
	v_bfe_u32 v3, v2, 16, 1
	v_cmp_o_f32_e32 vcc_lo, v2, v2
	v_add3_u32 v2, v2, v3, 0x7fff
	v_mov_b32_e32 v3, 0x7fc0
	v_cndmask_b32_sdwa v2, v3, v2, vcc_lo dst_sel:DWORD dst_unused:UNUSED_PAD src0_sel:DWORD src1_sel:WORD_1
	global_store_short v[4:5], v2, off
.LBB7_1992:
	s_mov_b32 s2, 0
.LBB7_1993:
	s_and_b32 vcc_lo, exec_lo, s2
	s_mov_b32 s2, 0
	s_cbranch_vccz .LBB7_1995
; %bb.1994:
	s_cmp_lg_u32 s1, 11
	s_mov_b32 s2, -1
	s_cselect_b32 s0, -1, 0
.LBB7_1995:
	s_and_b32 vcc_lo, exec_lo, s0
	s_cbranch_vccnz .LBB7_2061
.LBB7_1996:
	s_mov_b32 s0, 0
	s_branch .LBB7_1998
.LBB7_1997:
	s_mov_b32 s0, 0
	s_mov_b32 s2, 0
                                        ; implicit-def: $sgpr16
                                        ; implicit-def: $vgpr4_vgpr5
                                        ; implicit-def: $vgpr0_vgpr1
.LBB7_1998:
	s_andn2_b32 s1, s7, exec_lo
	s_and_b32 s3, s4, exec_lo
	s_and_b32 s0, s0, exec_lo
	s_and_b32 s4, s2, exec_lo
	s_or_b32 s7, s1, s3
.LBB7_1999:
	s_or_b32 exec_lo, exec_lo, s6
	s_and_saveexec_b32 s1, s7
	s_cbranch_execz .LBB7_2002
; %bb.2000:
	; divergent unreachable
	s_or_b32 exec_lo, exec_lo, s1
	s_and_saveexec_b32 s1, s4
	s_xor_b32 s1, exec_lo, s1
	s_cbranch_execnz .LBB7_2003
.LBB7_2001:
	s_or_b32 exec_lo, exec_lo, s1
	s_and_saveexec_b32 s1, s0
	s_cbranch_execnz .LBB7_2004
	s_branch .LBB7_2041
.LBB7_2002:
	s_or_b32 exec_lo, exec_lo, s1
	s_and_saveexec_b32 s1, s4
	s_xor_b32 s1, exec_lo, s1
	s_cbranch_execz .LBB7_2001
.LBB7_2003:
	s_waitcnt vmcnt(0)
	v_cmp_neq_f64_e32 vcc_lo, 0, v[0:1]
	v_cndmask_b32_e64 v2, 0, 1, vcc_lo
	global_store_byte v[4:5], v2, off
	s_or_b32 exec_lo, exec_lo, s1
	s_and_saveexec_b32 s1, s0
	s_cbranch_execz .LBB7_2041
.LBB7_2004:
	s_sext_i32_i16 s1, s16
	s_mov_b32 s0, -1
	s_cmp_lt_i32 s1, 5
	s_cbranch_scc1 .LBB7_2025
; %bb.2005:
	s_cmp_lt_i32 s1, 8
	s_cbranch_scc1 .LBB7_2015
; %bb.2006:
	;; [unrolled: 3-line block ×3, first 2 shown]
	s_cmp_gt_i32 s1, 9
	s_cbranch_scc0 .LBB7_2009
; %bb.2008:
	s_waitcnt vmcnt(0)
	v_mov_b32_e32 v2, 0
	s_mov_b32 s0, 0
	v_mov_b32_e32 v3, v2
	global_store_dwordx4 v[4:5], v[0:3], off
.LBB7_2009:
	s_andn2_b32 vcc_lo, exec_lo, s0
	s_cbranch_vccnz .LBB7_2011
; %bb.2010:
	s_waitcnt vmcnt(0)
	v_cvt_f32_f64_e32 v2, v[0:1]
	v_mov_b32_e32 v3, 0
	global_store_dwordx2 v[4:5], v[2:3], off
.LBB7_2011:
	s_mov_b32 s0, 0
.LBB7_2012:
	s_andn2_b32 vcc_lo, exec_lo, s0
	s_cbranch_vccnz .LBB7_2014
; %bb.2013:
	s_waitcnt vmcnt(0)
	v_and_or_b32 v2, 0x1ff, v1, v0
	v_lshrrev_b32_e32 v3, 8, v1
	v_bfe_u32 v6, v1, 20, 11
	v_cmp_ne_u32_e32 vcc_lo, 0, v2
	v_sub_nc_u32_e32 v7, 0x3f1, v6
	v_add_nc_u32_e32 v6, 0xfffffc10, v6
	v_cndmask_b32_e64 v2, 0, 1, vcc_lo
	v_and_or_b32 v2, 0xffe, v3, v2
	v_med3_i32 v3, v7, 0, 13
	v_or_b32_e32 v7, 0x1000, v2
	v_lshrrev_b32_e32 v8, v3, v7
	v_lshlrev_b32_e32 v3, v3, v8
	v_cmp_ne_u32_e32 vcc_lo, v3, v7
	v_lshl_or_b32 v7, v6, 12, v2
	v_cndmask_b32_e64 v3, 0, 1, vcc_lo
	v_cmp_gt_i32_e32 vcc_lo, 1, v6
	v_or_b32_e32 v3, v8, v3
	v_cndmask_b32_e32 v3, v7, v3, vcc_lo
	v_and_b32_e32 v7, 7, v3
	v_lshrrev_b32_e32 v3, 2, v3
	v_cmp_lt_i32_e32 vcc_lo, 5, v7
	v_cndmask_b32_e64 v8, 0, 1, vcc_lo
	v_cmp_eq_u32_e32 vcc_lo, 3, v7
	v_cndmask_b32_e64 v7, 0, 1, vcc_lo
	v_cmp_ne_u32_e32 vcc_lo, 0, v2
	v_or_b32_e32 v7, v7, v8
	v_mov_b32_e32 v8, 0x7e00
	v_add_nc_u32_e32 v3, v3, v7
	v_cndmask_b32_e32 v2, 0x7c00, v8, vcc_lo
	v_cmp_gt_i32_e32 vcc_lo, 31, v6
	v_cndmask_b32_e32 v3, 0x7c00, v3, vcc_lo
	v_cmp_eq_u32_e32 vcc_lo, 0x40f, v6
	v_cndmask_b32_e32 v2, v3, v2, vcc_lo
	v_lshrrev_b32_e32 v3, 16, v1
	v_and_or_b32 v2, 0x8000, v3, v2
	v_and_b32_e32 v2, 0xffff, v2
	global_store_dword v[4:5], v2, off
.LBB7_2014:
	s_mov_b32 s0, 0
.LBB7_2015:
	s_andn2_b32 vcc_lo, exec_lo, s0
	s_cbranch_vccnz .LBB7_2024
; %bb.2016:
	s_sext_i32_i16 s1, s16
	s_mov_b32 s0, -1
	s_cmp_lt_i32 s1, 6
	s_cbranch_scc1 .LBB7_2022
; %bb.2017:
	s_cmp_gt_i32 s1, 6
	s_cbranch_scc0 .LBB7_2019
; %bb.2018:
	s_mov_b32 s0, 0
	s_waitcnt vmcnt(0)
	global_store_dwordx2 v[4:5], v[0:1], off
.LBB7_2019:
	s_andn2_b32 vcc_lo, exec_lo, s0
	s_cbranch_vccnz .LBB7_2021
; %bb.2020:
	s_waitcnt vmcnt(0)
	v_cvt_f32_f64_e32 v2, v[0:1]
	global_store_dword v[4:5], v2, off
.LBB7_2021:
	s_mov_b32 s0, 0
.LBB7_2022:
	s_andn2_b32 vcc_lo, exec_lo, s0
	s_cbranch_vccnz .LBB7_2024
; %bb.2023:
	s_waitcnt vmcnt(0)
	v_and_or_b32 v2, 0x1ff, v1, v0
	v_lshrrev_b32_e32 v3, 8, v1
	v_bfe_u32 v6, v1, 20, 11
	v_cmp_ne_u32_e32 vcc_lo, 0, v2
	v_sub_nc_u32_e32 v7, 0x3f1, v6
	v_add_nc_u32_e32 v6, 0xfffffc10, v6
	v_cndmask_b32_e64 v2, 0, 1, vcc_lo
	v_and_or_b32 v2, 0xffe, v3, v2
	v_med3_i32 v3, v7, 0, 13
	v_or_b32_e32 v7, 0x1000, v2
	v_lshrrev_b32_e32 v8, v3, v7
	v_lshlrev_b32_e32 v3, v3, v8
	v_cmp_ne_u32_e32 vcc_lo, v3, v7
	v_lshl_or_b32 v7, v6, 12, v2
	v_cndmask_b32_e64 v3, 0, 1, vcc_lo
	v_cmp_gt_i32_e32 vcc_lo, 1, v6
	v_or_b32_e32 v3, v8, v3
	v_cndmask_b32_e32 v3, v7, v3, vcc_lo
	v_and_b32_e32 v7, 7, v3
	v_lshrrev_b32_e32 v3, 2, v3
	v_cmp_lt_i32_e32 vcc_lo, 5, v7
	v_cndmask_b32_e64 v8, 0, 1, vcc_lo
	v_cmp_eq_u32_e32 vcc_lo, 3, v7
	v_cndmask_b32_e64 v7, 0, 1, vcc_lo
	v_cmp_ne_u32_e32 vcc_lo, 0, v2
	v_or_b32_e32 v7, v7, v8
	v_mov_b32_e32 v8, 0x7e00
	v_add_nc_u32_e32 v3, v3, v7
	v_cndmask_b32_e32 v2, 0x7c00, v8, vcc_lo
	v_cmp_gt_i32_e32 vcc_lo, 31, v6
	v_cndmask_b32_e32 v3, 0x7c00, v3, vcc_lo
	v_cmp_eq_u32_e32 vcc_lo, 0x40f, v6
	v_cndmask_b32_e32 v2, v3, v2, vcc_lo
	v_lshrrev_b32_e32 v3, 16, v1
	v_and_or_b32 v2, 0x8000, v3, v2
	global_store_short v[4:5], v2, off
.LBB7_2024:
	s_mov_b32 s0, 0
.LBB7_2025:
	s_andn2_b32 vcc_lo, exec_lo, s0
	s_cbranch_vccnz .LBB7_2041
; %bb.2026:
	s_sext_i32_i16 s1, s16
	s_mov_b32 s0, -1
	s_cmp_lt_i32 s1, 2
	s_cbranch_scc1 .LBB7_2036
; %bb.2027:
	s_cmp_lt_i32 s1, 3
	s_cbranch_scc1 .LBB7_2033
; %bb.2028:
	s_cmp_gt_i32 s1, 3
	s_cbranch_scc0 .LBB7_2030
; %bb.2029:
	s_waitcnt vmcnt(0)
	v_trunc_f64_e32 v[2:3], v[0:1]
	s_mov_b32 s0, 0
	v_ldexp_f64 v[6:7], v[2:3], 0xffffffe0
	v_floor_f64_e32 v[6:7], v[6:7]
	v_fma_f64 v[2:3], 0xc1f00000, v[6:7], v[2:3]
	v_cvt_i32_f64_e32 v7, v[6:7]
	v_cvt_u32_f64_e32 v6, v[2:3]
	global_store_dwordx2 v[4:5], v[6:7], off
.LBB7_2030:
	s_andn2_b32 vcc_lo, exec_lo, s0
	s_cbranch_vccnz .LBB7_2032
; %bb.2031:
	s_waitcnt vmcnt(0)
	v_cvt_i32_f64_e32 v2, v[0:1]
	global_store_dword v[4:5], v2, off
.LBB7_2032:
	s_mov_b32 s0, 0
.LBB7_2033:
	s_andn2_b32 vcc_lo, exec_lo, s0
	s_cbranch_vccnz .LBB7_2035
; %bb.2034:
	s_waitcnt vmcnt(0)
	v_cvt_i32_f64_e32 v2, v[0:1]
	global_store_short v[4:5], v2, off
.LBB7_2035:
	s_mov_b32 s0, 0
.LBB7_2036:
	s_andn2_b32 vcc_lo, exec_lo, s0
	s_cbranch_vccnz .LBB7_2041
; %bb.2037:
	s_sext_i32_i16 s0, s16
	s_cmp_gt_i32 s0, 0
	s_mov_b32 s0, -1
	s_cbranch_scc0 .LBB7_2039
; %bb.2038:
	s_waitcnt vmcnt(0)
	v_cvt_i32_f64_e32 v2, v[0:1]
	s_mov_b32 s0, 0
	global_store_byte v[4:5], v2, off
.LBB7_2039:
	s_andn2_b32 vcc_lo, exec_lo, s0
	s_cbranch_vccnz .LBB7_2041
; %bb.2040:
	s_waitcnt vmcnt(0)
	v_trunc_f64_e32 v[0:1], v[0:1]
	v_ldexp_f64 v[2:3], v[0:1], 0xffffffe0
	v_floor_f64_e32 v[2:3], v[2:3]
	v_fma_f64 v[0:1], 0xc1f00000, v[2:3], v[0:1]
	v_cvt_u32_f64_e32 v0, v[0:1]
	global_store_byte v[4:5], v0, off
	s_endpgm
.LBB7_2041:
	s_endpgm
.LBB7_2042:
	s_mov_b32 s2, 0
	s_mov_b32 s0, -1
	s_branch .LBB7_1998
.LBB7_2043:
	s_or_b32 s4, s4, exec_lo
	s_trap 2
	s_cbranch_execz .LBB7_1510
	s_branch .LBB7_1511
.LBB7_2044:
	s_andn2_saveexec_b32 s11, s11
	s_cbranch_execz .LBB7_1592
.LBB7_2045:
	v_add_f32_e64 v3, 0x46000000, |v2|
	s_andn2_b32 s10, s10, exec_lo
	v_and_b32_e32 v3, 0xff, v3
	v_cmp_ne_u32_e32 vcc_lo, 0, v3
	s_and_b32 s12, vcc_lo, exec_lo
	s_or_b32 s10, s10, s12
	s_or_b32 exec_lo, exec_lo, s11
	v_mov_b32_e32 v22, 0
	s_and_saveexec_b32 s11, s10
	s_cbranch_execnz .LBB7_1593
	s_branch .LBB7_1594
.LBB7_2046:
	s_or_b32 s4, s4, exec_lo
	s_trap 2
	s_cbranch_execz .LBB7_1640
	s_branch .LBB7_1641
.LBB7_2047:
	s_andn2_saveexec_b32 s10, s10
	s_cbranch_execz .LBB7_1605
.LBB7_2048:
	v_add_f32_e64 v3, 0x42800000, |v2|
	s_andn2_b32 s5, s5, exec_lo
	v_and_b32_e32 v3, 0xff, v3
	v_cmp_ne_u32_e32 vcc_lo, 0, v3
	s_and_b32 s11, vcc_lo, exec_lo
	s_or_b32 s5, s5, s11
	s_or_b32 exec_lo, exec_lo, s10
	v_mov_b32_e32 v22, 0
	s_and_saveexec_b32 s10, s5
	s_cbranch_execnz .LBB7_1606
	s_branch .LBB7_1607
.LBB7_2049:
	s_andn2_saveexec_b32 s11, s11
	s_cbranch_execz .LBB7_1711
.LBB7_2050:
	v_add_f32_e64 v3, 0x46000000, |v2|
	s_andn2_b32 s10, s10, exec_lo
	v_and_b32_e32 v3, 0xff, v3
	v_cmp_ne_u32_e32 vcc_lo, 0, v3
	s_and_b32 s12, vcc_lo, exec_lo
	s_or_b32 s10, s10, s12
	s_or_b32 exec_lo, exec_lo, s11
	v_mov_b32_e32 v15, 0
	s_and_saveexec_b32 s11, s10
	s_cbranch_execnz .LBB7_1712
	s_branch .LBB7_1713
.LBB7_2051:
	s_or_b32 s4, s4, exec_lo
	s_trap 2
	s_cbranch_execz .LBB7_1759
	s_branch .LBB7_1760
.LBB7_2052:
	s_andn2_saveexec_b32 s10, s10
	s_cbranch_execz .LBB7_1724
.LBB7_2053:
	v_add_f32_e64 v3, 0x42800000, |v2|
	s_andn2_b32 s5, s5, exec_lo
	v_and_b32_e32 v3, 0xff, v3
	v_cmp_ne_u32_e32 vcc_lo, 0, v3
	s_and_b32 s11, vcc_lo, exec_lo
	s_or_b32 s5, s5, s11
	s_or_b32 exec_lo, exec_lo, s10
	v_mov_b32_e32 v15, 0
	s_and_saveexec_b32 s10, s5
	s_cbranch_execnz .LBB7_1725
	s_branch .LBB7_1726
.LBB7_2054:
	s_andn2_saveexec_b32 s11, s11
	s_cbranch_execz .LBB7_1830
.LBB7_2055:
	v_add_f32_e64 v3, 0x46000000, |v2|
	s_andn2_b32 s10, s10, exec_lo
	v_and_b32_e32 v3, 0xff, v3
	v_cmp_ne_u32_e32 vcc_lo, 0, v3
	s_and_b32 s12, vcc_lo, exec_lo
	s_or_b32 s10, s10, s12
	s_or_b32 exec_lo, exec_lo, s11
	v_mov_b32_e32 v9, 0
	s_and_saveexec_b32 s11, s10
	s_cbranch_execnz .LBB7_1831
	s_branch .LBB7_1832
.LBB7_2056:
	s_or_b32 s4, s4, exec_lo
	s_trap 2
	s_cbranch_execz .LBB7_1878
	s_branch .LBB7_1879
.LBB7_2057:
	s_andn2_saveexec_b32 s10, s10
	s_cbranch_execz .LBB7_1843
.LBB7_2058:
	v_add_f32_e64 v3, 0x42800000, |v2|
	s_andn2_b32 s5, s5, exec_lo
	v_and_b32_e32 v3, 0xff, v3
	v_cmp_ne_u32_e32 vcc_lo, 0, v3
	s_and_b32 s11, vcc_lo, exec_lo
	s_or_b32 s5, s5, s11
	s_or_b32 exec_lo, exec_lo, s10
	v_mov_b32_e32 v9, 0
	s_and_saveexec_b32 s10, s5
	s_cbranch_execnz .LBB7_1844
	s_branch .LBB7_1845
.LBB7_2059:
	s_andn2_saveexec_b32 s8, s8
	s_cbranch_execz .LBB7_1950
.LBB7_2060:
	v_add_f32_e64 v3, 0x46000000, |v2|
	s_andn2_b32 s5, s5, exec_lo
	v_and_b32_e32 v3, 0xff, v3
	v_cmp_ne_u32_e32 vcc_lo, 0, v3
	s_and_b32 s9, vcc_lo, exec_lo
	s_or_b32 s5, s5, s9
	s_or_b32 exec_lo, exec_lo, s8
	v_mov_b32_e32 v6, 0
	s_and_saveexec_b32 s8, s5
	s_cbranch_execnz .LBB7_1951
	s_branch .LBB7_1952
.LBB7_2061:
	s_mov_b32 s2, 0
	s_or_b32 s4, s4, exec_lo
	s_trap 2
	s_branch .LBB7_1996
.LBB7_2062:
	s_andn2_saveexec_b32 s5, s5
	s_cbranch_execz .LBB7_1962
.LBB7_2063:
	v_add_f32_e64 v3, 0x42800000, |v2|
	s_andn2_b32 s3, s3, exec_lo
	v_and_b32_e32 v3, 0xff, v3
	v_cmp_ne_u32_e32 vcc_lo, 0, v3
	s_and_b32 s8, vcc_lo, exec_lo
	s_or_b32 s3, s3, s8
	s_or_b32 exec_lo, exec_lo, s5
	v_mov_b32_e32 v6, 0
	s_and_saveexec_b32 s5, s3
	s_cbranch_execnz .LBB7_1963
	s_branch .LBB7_1964
	.section	.rodata,"a",@progbits
	.p2align	6, 0x0
	.amdhsa_kernel _ZN2at6native32elementwise_kernel_manual_unrollILi128ELi4EZNS0_15gpu_kernel_implIZZZNS0_12_GLOBAL__N_139_amp_non_finite_check_and_unscale_cuda_ERNS_6TensorES5_RKS4_ENKUlvE_clEvENKUlvE_clEvEUldE_EEvRNS_18TensorIteratorBaseERKT_EUlibE_EEviT1_
		.amdhsa_group_segment_fixed_size 0
		.amdhsa_private_segment_fixed_size 0
		.amdhsa_kernarg_size 56
		.amdhsa_user_sgpr_count 6
		.amdhsa_user_sgpr_private_segment_buffer 1
		.amdhsa_user_sgpr_dispatch_ptr 0
		.amdhsa_user_sgpr_queue_ptr 0
		.amdhsa_user_sgpr_kernarg_segment_ptr 1
		.amdhsa_user_sgpr_dispatch_id 0
		.amdhsa_user_sgpr_flat_scratch_init 0
		.amdhsa_user_sgpr_private_segment_size 0
		.amdhsa_wavefront_size32 1
		.amdhsa_uses_dynamic_stack 0
		.amdhsa_system_sgpr_private_segment_wavefront_offset 0
		.amdhsa_system_sgpr_workgroup_id_x 1
		.amdhsa_system_sgpr_workgroup_id_y 0
		.amdhsa_system_sgpr_workgroup_id_z 0
		.amdhsa_system_sgpr_workgroup_info 0
		.amdhsa_system_vgpr_workitem_id 0
		.amdhsa_next_free_vgpr 25
		.amdhsa_next_free_sgpr 30
		.amdhsa_reserve_vcc 1
		.amdhsa_reserve_flat_scratch 0
		.amdhsa_float_round_mode_32 0
		.amdhsa_float_round_mode_16_64 0
		.amdhsa_float_denorm_mode_32 3
		.amdhsa_float_denorm_mode_16_64 3
		.amdhsa_dx10_clamp 1
		.amdhsa_ieee_mode 1
		.amdhsa_fp16_overflow 0
		.amdhsa_workgroup_processor_mode 1
		.amdhsa_memory_ordered 1
		.amdhsa_forward_progress 1
		.amdhsa_shared_vgpr_count 0
		.amdhsa_exception_fp_ieee_invalid_op 0
		.amdhsa_exception_fp_denorm_src 0
		.amdhsa_exception_fp_ieee_div_zero 0
		.amdhsa_exception_fp_ieee_overflow 0
		.amdhsa_exception_fp_ieee_underflow 0
		.amdhsa_exception_fp_ieee_inexact 0
		.amdhsa_exception_int_div_zero 0
	.end_amdhsa_kernel
	.section	.text._ZN2at6native32elementwise_kernel_manual_unrollILi128ELi4EZNS0_15gpu_kernel_implIZZZNS0_12_GLOBAL__N_139_amp_non_finite_check_and_unscale_cuda_ERNS_6TensorES5_RKS4_ENKUlvE_clEvENKUlvE_clEvEUldE_EEvRNS_18TensorIteratorBaseERKT_EUlibE_EEviT1_,"axG",@progbits,_ZN2at6native32elementwise_kernel_manual_unrollILi128ELi4EZNS0_15gpu_kernel_implIZZZNS0_12_GLOBAL__N_139_amp_non_finite_check_and_unscale_cuda_ERNS_6TensorES5_RKS4_ENKUlvE_clEvENKUlvE_clEvEUldE_EEvRNS_18TensorIteratorBaseERKT_EUlibE_EEviT1_,comdat
.Lfunc_end7:
	.size	_ZN2at6native32elementwise_kernel_manual_unrollILi128ELi4EZNS0_15gpu_kernel_implIZZZNS0_12_GLOBAL__N_139_amp_non_finite_check_and_unscale_cuda_ERNS_6TensorES5_RKS4_ENKUlvE_clEvENKUlvE_clEvEUldE_EEvRNS_18TensorIteratorBaseERKT_EUlibE_EEviT1_, .Lfunc_end7-_ZN2at6native32elementwise_kernel_manual_unrollILi128ELi4EZNS0_15gpu_kernel_implIZZZNS0_12_GLOBAL__N_139_amp_non_finite_check_and_unscale_cuda_ERNS_6TensorES5_RKS4_ENKUlvE_clEvENKUlvE_clEvEUldE_EEvRNS_18TensorIteratorBaseERKT_EUlibE_EEviT1_
                                        ; -- End function
	.set _ZN2at6native32elementwise_kernel_manual_unrollILi128ELi4EZNS0_15gpu_kernel_implIZZZNS0_12_GLOBAL__N_139_amp_non_finite_check_and_unscale_cuda_ERNS_6TensorES5_RKS4_ENKUlvE_clEvENKUlvE_clEvEUldE_EEvRNS_18TensorIteratorBaseERKT_EUlibE_EEviT1_.num_vgpr, 25
	.set _ZN2at6native32elementwise_kernel_manual_unrollILi128ELi4EZNS0_15gpu_kernel_implIZZZNS0_12_GLOBAL__N_139_amp_non_finite_check_and_unscale_cuda_ERNS_6TensorES5_RKS4_ENKUlvE_clEvENKUlvE_clEvEUldE_EEvRNS_18TensorIteratorBaseERKT_EUlibE_EEviT1_.num_agpr, 0
	.set _ZN2at6native32elementwise_kernel_manual_unrollILi128ELi4EZNS0_15gpu_kernel_implIZZZNS0_12_GLOBAL__N_139_amp_non_finite_check_and_unscale_cuda_ERNS_6TensorES5_RKS4_ENKUlvE_clEvENKUlvE_clEvEUldE_EEvRNS_18TensorIteratorBaseERKT_EUlibE_EEviT1_.numbered_sgpr, 30
	.set _ZN2at6native32elementwise_kernel_manual_unrollILi128ELi4EZNS0_15gpu_kernel_implIZZZNS0_12_GLOBAL__N_139_amp_non_finite_check_and_unscale_cuda_ERNS_6TensorES5_RKS4_ENKUlvE_clEvENKUlvE_clEvEUldE_EEvRNS_18TensorIteratorBaseERKT_EUlibE_EEviT1_.num_named_barrier, 0
	.set _ZN2at6native32elementwise_kernel_manual_unrollILi128ELi4EZNS0_15gpu_kernel_implIZZZNS0_12_GLOBAL__N_139_amp_non_finite_check_and_unscale_cuda_ERNS_6TensorES5_RKS4_ENKUlvE_clEvENKUlvE_clEvEUldE_EEvRNS_18TensorIteratorBaseERKT_EUlibE_EEviT1_.private_seg_size, 0
	.set _ZN2at6native32elementwise_kernel_manual_unrollILi128ELi4EZNS0_15gpu_kernel_implIZZZNS0_12_GLOBAL__N_139_amp_non_finite_check_and_unscale_cuda_ERNS_6TensorES5_RKS4_ENKUlvE_clEvENKUlvE_clEvEUldE_EEvRNS_18TensorIteratorBaseERKT_EUlibE_EEviT1_.uses_vcc, 1
	.set _ZN2at6native32elementwise_kernel_manual_unrollILi128ELi4EZNS0_15gpu_kernel_implIZZZNS0_12_GLOBAL__N_139_amp_non_finite_check_and_unscale_cuda_ERNS_6TensorES5_RKS4_ENKUlvE_clEvENKUlvE_clEvEUldE_EEvRNS_18TensorIteratorBaseERKT_EUlibE_EEviT1_.uses_flat_scratch, 0
	.set _ZN2at6native32elementwise_kernel_manual_unrollILi128ELi4EZNS0_15gpu_kernel_implIZZZNS0_12_GLOBAL__N_139_amp_non_finite_check_and_unscale_cuda_ERNS_6TensorES5_RKS4_ENKUlvE_clEvENKUlvE_clEvEUldE_EEvRNS_18TensorIteratorBaseERKT_EUlibE_EEviT1_.has_dyn_sized_stack, 0
	.set _ZN2at6native32elementwise_kernel_manual_unrollILi128ELi4EZNS0_15gpu_kernel_implIZZZNS0_12_GLOBAL__N_139_amp_non_finite_check_and_unscale_cuda_ERNS_6TensorES5_RKS4_ENKUlvE_clEvENKUlvE_clEvEUldE_EEvRNS_18TensorIteratorBaseERKT_EUlibE_EEviT1_.has_recursion, 0
	.set _ZN2at6native32elementwise_kernel_manual_unrollILi128ELi4EZNS0_15gpu_kernel_implIZZZNS0_12_GLOBAL__N_139_amp_non_finite_check_and_unscale_cuda_ERNS_6TensorES5_RKS4_ENKUlvE_clEvENKUlvE_clEvEUldE_EEvRNS_18TensorIteratorBaseERKT_EUlibE_EEviT1_.has_indirect_call, 0
	.section	.AMDGPU.csdata,"",@progbits
; Kernel info:
; codeLenInByte = 35084
; TotalNumSgprs: 32
; NumVgprs: 25
; ScratchSize: 0
; MemoryBound: 1
; FloatMode: 240
; IeeeMode: 1
; LDSByteSize: 0 bytes/workgroup (compile time only)
; SGPRBlocks: 0
; VGPRBlocks: 3
; NumSGPRsForWavesPerEU: 32
; NumVGPRsForWavesPerEU: 25
; Occupancy: 16
; WaveLimiterHint : 0
; COMPUTE_PGM_RSRC2:SCRATCH_EN: 0
; COMPUTE_PGM_RSRC2:USER_SGPR: 6
; COMPUTE_PGM_RSRC2:TRAP_HANDLER: 0
; COMPUTE_PGM_RSRC2:TGID_X_EN: 1
; COMPUTE_PGM_RSRC2:TGID_Y_EN: 0
; COMPUTE_PGM_RSRC2:TGID_Z_EN: 0
; COMPUTE_PGM_RSRC2:TIDIG_COMP_CNT: 0
	.section	.text._ZN2at6native32elementwise_kernel_manual_unrollILi128ELi4EZNS0_15gpu_kernel_implIZZZNS0_12_GLOBAL__N_139_amp_non_finite_check_and_unscale_cuda_ERNS_6TensorES5_RKS4_ENKUlvE_clEvENKUlvE_clEvEUldE_EEvRNS_18TensorIteratorBaseERKT_EUlibE0_EEviT1_,"axG",@progbits,_ZN2at6native32elementwise_kernel_manual_unrollILi128ELi4EZNS0_15gpu_kernel_implIZZZNS0_12_GLOBAL__N_139_amp_non_finite_check_and_unscale_cuda_ERNS_6TensorES5_RKS4_ENKUlvE_clEvENKUlvE_clEvEUldE_EEvRNS_18TensorIteratorBaseERKT_EUlibE0_EEviT1_,comdat
	.globl	_ZN2at6native32elementwise_kernel_manual_unrollILi128ELi4EZNS0_15gpu_kernel_implIZZZNS0_12_GLOBAL__N_139_amp_non_finite_check_and_unscale_cuda_ERNS_6TensorES5_RKS4_ENKUlvE_clEvENKUlvE_clEvEUldE_EEvRNS_18TensorIteratorBaseERKT_EUlibE0_EEviT1_ ; -- Begin function _ZN2at6native32elementwise_kernel_manual_unrollILi128ELi4EZNS0_15gpu_kernel_implIZZZNS0_12_GLOBAL__N_139_amp_non_finite_check_and_unscale_cuda_ERNS_6TensorES5_RKS4_ENKUlvE_clEvENKUlvE_clEvEUldE_EEvRNS_18TensorIteratorBaseERKT_EUlibE0_EEviT1_
	.p2align	8
	.type	_ZN2at6native32elementwise_kernel_manual_unrollILi128ELi4EZNS0_15gpu_kernel_implIZZZNS0_12_GLOBAL__N_139_amp_non_finite_check_and_unscale_cuda_ERNS_6TensorES5_RKS4_ENKUlvE_clEvENKUlvE_clEvEUldE_EEvRNS_18TensorIteratorBaseERKT_EUlibE0_EEviT1_,@function
_ZN2at6native32elementwise_kernel_manual_unrollILi128ELi4EZNS0_15gpu_kernel_implIZZZNS0_12_GLOBAL__N_139_amp_non_finite_check_and_unscale_cuda_ERNS_6TensorES5_RKS4_ENKUlvE_clEvENKUlvE_clEvEUldE_EEvRNS_18TensorIteratorBaseERKT_EUlibE0_EEviT1_: ; @_ZN2at6native32elementwise_kernel_manual_unrollILi128ELi4EZNS0_15gpu_kernel_implIZZZNS0_12_GLOBAL__N_139_amp_non_finite_check_and_unscale_cuda_ERNS_6TensorES5_RKS4_ENKUlvE_clEvENKUlvE_clEvEUldE_EEvRNS_18TensorIteratorBaseERKT_EUlibE0_EEviT1_
; %bb.0:
	s_clause 0x1
	s_load_dword s28, s[4:5], 0x8
	s_load_dword s37, s[4:5], 0x0
	v_lshl_or_b32 v10, s6, 9, v0
	s_add_u32 s2, s4, 8
	s_addc_u32 s3, s5, 0
	s_mov_b32 s1, -1
	s_mov_b32 s30, 0
	v_or_b32_e32 v13, 0x180, v10
	s_mov_b32 s16, 0
	s_mov_b32 s0, exec_lo
	s_waitcnt lgkmcnt(0)
	s_add_i32 s29, s28, -1
	s_cmp_gt_u32 s29, 1
	s_cselect_b32 s31, -1, 0
	v_cmpx_le_i32_e64 s37, v13
	s_xor_b32 s33, exec_lo, s0
	s_cbranch_execz .LBB8_1097
; %bb.1:
	s_clause 0x4
	s_load_dword s34, s[2:3], 0x168
	s_load_dwordx4 s[20:23], s[2:3], 0x4
	s_load_dwordx2 s[6:7], s[2:3], 0x14
	s_load_dwordx4 s[16:19], s[2:3], 0xc4
	s_load_dwordx8 s[8:15], s[2:3], 0x148
	s_cmp_lg_u32 s28, 0
	s_mov_b32 s43, 0
	s_cselect_b32 s39, -1, 0
	s_add_u32 s24, s2, 0xc4
	s_addc_u32 s25, s3, 0
	s_min_u32 s38, s29, 15
	s_cmp_gt_u32 s28, 1
	s_mov_b32 s41, 0
	s_cselect_b32 s36, -1, 0
	s_mov_b32 s40, 0
	s_mov_b32 s42, exec_lo
	s_waitcnt lgkmcnt(0)
	s_bfe_u32 s35, s34, 0x80008
	v_cmpx_gt_i32_e64 s37, v10
	s_cbranch_execz .LBB8_268
; %bb.2:
	s_andn2_b32 vcc_lo, exec_lo, s31
	s_cbranch_vccnz .LBB8_7
; %bb.3:
	s_andn2_b32 vcc_lo, exec_lo, s39
	s_cbranch_vccnz .LBB8_8
; %bb.4:
	s_add_i32 s41, s38, 1
	s_cmp_eq_u32 s29, 2
	s_cbranch_scc1 .LBB8_9
; %bb.5:
	v_mov_b32_e32 v2, 0
	v_mov_b32_e32 v0, 0
	;; [unrolled: 1-line block ×3, first 2 shown]
	s_and_b32 s40, s41, 28
	s_mov_b32 s44, 0
	s_mov_b64 s[0:1], s[2:3]
	s_mov_b64 s[26:27], s[24:25]
.LBB8_6:                                ; =>This Inner Loop Header: Depth=1
	s_clause 0x1
	s_load_dwordx8 s[48:55], s[0:1], 0x4
	s_load_dwordx4 s[64:67], s[0:1], 0x24
	s_load_dwordx8 s[56:63], s[26:27], 0x0
	s_add_u32 s0, s0, 48
	s_addc_u32 s1, s1, 0
	s_add_i32 s44, s44, 4
	s_add_u32 s26, s26, 32
	s_addc_u32 s27, s27, 0
	s_cmp_lg_u32 s40, s44
	s_waitcnt lgkmcnt(0)
	v_mul_hi_u32 v3, s49, v1
	v_add_nc_u32_e32 v3, v1, v3
	v_lshrrev_b32_e32 v3, s50, v3
	v_mul_hi_u32 v4, s52, v3
	v_mul_lo_u32 v6, v3, s48
	v_add_nc_u32_e32 v4, v3, v4
	v_sub_nc_u32_e32 v1, v1, v6
	v_lshrrev_b32_e32 v4, s53, v4
	v_mul_lo_u32 v6, v1, s56
	v_mul_lo_u32 v8, v1, s57
	v_mul_hi_u32 v5, s55, v4
	v_add_nc_u32_e32 v5, v4, v5
	v_lshrrev_b32_e32 v5, s64, v5
	v_mul_hi_u32 v7, s66, v5
	v_mul_lo_u32 v9, v5, s54
	v_add_nc_u32_e32 v1, v5, v7
	v_mul_lo_u32 v7, v4, s51
	v_sub_nc_u32_e32 v4, v4, v9
	v_lshrrev_b32_e32 v1, s67, v1
	v_mul_lo_u32 v9, v4, s60
	v_mul_lo_u32 v4, v4, s61
	v_sub_nc_u32_e32 v3, v3, v7
	v_mul_lo_u32 v11, v1, s65
	v_mul_lo_u32 v7, v3, s58
	;; [unrolled: 1-line block ×3, first 2 shown]
	v_sub_nc_u32_e32 v5, v5, v11
	v_add3_u32 v0, v6, v0, v7
	v_mul_lo_u32 v11, v5, s62
	v_mul_lo_u32 v5, v5, s63
	v_add3_u32 v2, v8, v2, v3
	v_add3_u32 v0, v9, v0, v11
	;; [unrolled: 1-line block ×3, first 2 shown]
	s_cbranch_scc1 .LBB8_6
	s_branch .LBB8_10
.LBB8_7:
                                        ; implicit-def: $vgpr0
                                        ; implicit-def: $vgpr2
	s_branch .LBB8_14
.LBB8_8:
	v_mov_b32_e32 v0, 0
	v_mov_b32_e32 v2, 0
	s_branch .LBB8_13
.LBB8_9:
	v_mov_b32_e32 v0, 0
	v_mov_b32_e32 v2, 0
	;; [unrolled: 1-line block ×3, first 2 shown]
.LBB8_10:
	s_and_b32 s41, s41, 3
	s_cmp_eq_u32 s41, 0
	s_cbranch_scc1 .LBB8_13
; %bb.11:
	s_lshl_b32 s0, s40, 3
	s_mul_i32 s26, s40, 12
	s_add_u32 s0, s2, s0
	s_addc_u32 s1, s3, 0
	s_add_u32 s0, s0, 0xc4
	s_addc_u32 s1, s1, 0
	;; [unrolled: 2-line block ×3, first 2 shown]
	.p2align	6
.LBB8_12:                               ; =>This Inner Loop Header: Depth=1
	s_clause 0x1
	s_load_dwordx2 s[44:45], s[26:27], 0x4
	s_load_dword s40, s[26:27], 0xc
	s_load_dwordx2 s[46:47], s[0:1], 0x0
	s_add_u32 s26, s26, 12
	s_addc_u32 s27, s27, 0
	s_add_u32 s0, s0, 8
	s_addc_u32 s1, s1, 0
	s_add_i32 s41, s41, -1
	s_cmp_lg_u32 s41, 0
	s_waitcnt lgkmcnt(0)
	v_mul_hi_u32 v3, s45, v1
	v_add_nc_u32_e32 v3, v1, v3
	v_lshrrev_b32_e32 v4, s40, v3
	v_mul_lo_u32 v3, v4, s44
	v_sub_nc_u32_e32 v3, v1, v3
	v_mad_u64_u32 v[0:1], null, v3, s46, v[0:1]
	v_mad_u64_u32 v[2:3], null, v3, s47, v[2:3]
	v_mov_b32_e32 v1, v4
	s_cbranch_scc1 .LBB8_12
.LBB8_13:
	s_cbranch_execnz .LBB8_16
.LBB8_14:
	v_mul_hi_u32 v0, s21, v10
	s_andn2_b32 vcc_lo, exec_lo, s36
	v_add_nc_u32_e32 v0, v10, v0
	v_lshrrev_b32_e32 v1, s22, v0
	v_mul_lo_u32 v0, v1, s20
	v_sub_nc_u32_e32 v2, v10, v0
	v_mul_lo_u32 v0, v2, s16
	v_mul_lo_u32 v2, v2, s17
	s_cbranch_vccnz .LBB8_16
; %bb.15:
	v_mul_hi_u32 v3, s6, v1
	v_add_nc_u32_e32 v3, v1, v3
	v_lshrrev_b32_e32 v3, s7, v3
	v_mul_lo_u32 v3, v3, s23
	v_sub_nc_u32_e32 v3, v1, v3
	v_mad_u64_u32 v[0:1], null, v3, s18, v[0:1]
	v_mad_u64_u32 v[2:3], null, v3, s19, v[2:3]
.LBB8_16:
	v_add_co_u32 v1, s0, s10, v2
	v_add_co_ci_u32_e64 v2, null, s11, 0, s0
	s_and_b32 s0, 0xffff, s35
	s_cmp_lt_i32 s0, 11
	s_cbranch_scc1 .LBB8_23
; %bb.17:
	s_cmp_gt_i32 s0, 25
	s_cbranch_scc0 .LBB8_34
; %bb.18:
	s_cmp_gt_i32 s0, 28
	s_cbranch_scc0 .LBB8_37
	;; [unrolled: 3-line block ×4, first 2 shown]
; %bb.21:
	s_cmp_eq_u32 s0, 46
	s_mov_b32 s27, 0
	s_cbranch_scc0 .LBB8_43
; %bb.22:
	global_load_dword v3, v[1:2], off
	s_mov_b32 s26, -1
	s_mov_b32 s1, 0
	s_waitcnt vmcnt(0)
	v_lshlrev_b32_e32 v3, 16, v3
	v_cvt_f64_f32_e32 v[6:7], v3
	s_branch .LBB8_45
.LBB8_23:
	s_mov_b32 s1, 0
	s_mov_b32 s26, 0
                                        ; implicit-def: $vgpr6_vgpr7
	s_cbranch_execnz .LBB8_218
.LBB8_24:
	s_andn2_b32 vcc_lo, exec_lo, s26
	s_cbranch_vccnz .LBB8_265
.LBB8_25:
	s_waitcnt vmcnt(0)
	v_cvt_f32_f64_e32 v1, v[6:7]
	s_mov_b32 s0, exec_lo
	v_cmpx_nlg_f32_e64 0x7f800000, |v1|
	s_cbranch_execz .LBB8_27
; %bb.26:
	v_mov_b32_e32 v1, 0
	v_mov_b32_e32 v2, 1.0
	global_store_dword v1, v2, s[12:13]
.LBB8_27:
	s_or_b32 exec_lo, exec_lo, s0
	v_mov_b32_e32 v1, 0
	s_and_b32 s26, s34, 0xff
	s_cmp_lt_i32 s26, 11
	global_load_dword v4, v1, s[14:15]
	s_waitcnt vmcnt(0)
	v_cvt_f64_f32_e32 v[1:2], v4
	v_cmp_eq_f32_e32 vcc_lo, 1.0, v4
	v_add_co_u32 v4, s0, s8, v0
	v_add_co_ci_u32_e64 v5, null, s9, 0, s0
	v_mul_f64 v[2:3], v[6:7], v[1:2]
	v_cndmask_b32_e32 v1, v3, v7, vcc_lo
	v_cndmask_b32_e32 v0, v2, v6, vcc_lo
	s_cbranch_scc1 .LBB8_35
; %bb.28:
	s_and_b32 s27, 0xffff, s26
	s_cmp_gt_i32 s27, 25
	s_cbranch_scc0 .LBB8_38
; %bb.29:
	s_cmp_gt_i32 s27, 28
	s_cbranch_scc0 .LBB8_40
; %bb.30:
	;; [unrolled: 3-line block ×4, first 2 shown]
	s_mov_b32 s41, 0
	s_mov_b32 s0, -1
	s_cmp_eq_u32 s27, 46
	s_mov_b32 s40, 0
	s_cbranch_scc0 .LBB8_49
; %bb.33:
	v_cvt_f32_f64_e32 v2, v[0:1]
	s_mov_b32 s40, -1
	s_mov_b32 s0, 0
	v_bfe_u32 v3, v2, 16, 1
	v_cmp_o_f32_e32 vcc_lo, v2, v2
	v_add3_u32 v2, v2, v3, 0x7fff
	v_mov_b32_e32 v3, 0x7fc0
	v_cndmask_b32_sdwa v2, v3, v2, vcc_lo dst_sel:DWORD dst_unused:UNUSED_PAD src0_sel:DWORD src1_sel:WORD_1
	global_store_dword v[4:5], v2, off
	s_branch .LBB8_49
.LBB8_34:
	s_mov_b32 s1, 0
	s_mov_b32 s26, 0
                                        ; implicit-def: $vgpr6_vgpr7
	s_cbranch_execnz .LBB8_185
	s_branch .LBB8_217
.LBB8_35:
	s_mov_b32 s0, 0
	s_mov_b32 s40, 0
	s_cbranch_execnz .LBB8_118
.LBB8_36:
	s_andn2_b32 vcc_lo, exec_lo, s40
	s_cbranch_vccz .LBB8_156
	s_branch .LBB8_266
.LBB8_37:
	s_mov_b32 s27, -1
	s_mov_b32 s1, 0
	s_mov_b32 s26, 0
                                        ; implicit-def: $vgpr6_vgpr7
	s_branch .LBB8_164
.LBB8_38:
	s_mov_b32 s41, -1
	s_mov_b32 s0, 0
	s_mov_b32 s40, 0
	s_branch .LBB8_76
.LBB8_39:
	s_mov_b32 s27, -1
	s_mov_b32 s1, 0
	s_mov_b32 s26, 0
                                        ; implicit-def: $vgpr6_vgpr7
	s_branch .LBB8_159
.LBB8_40:
	s_mov_b32 s41, -1
	s_mov_b32 s0, 0
	s_mov_b32 s40, 0
	s_branch .LBB8_59
.LBB8_41:
	s_mov_b32 s27, -1
	s_mov_b32 s1, 0
	s_branch .LBB8_44
.LBB8_42:
	s_mov_b32 s41, -1
	s_mov_b32 s0, 0
	s_mov_b32 s40, 0
	s_branch .LBB8_55
.LBB8_43:
	s_mov_b32 s1, -1
.LBB8_44:
	s_mov_b32 s26, 0
                                        ; implicit-def: $vgpr6_vgpr7
.LBB8_45:
	s_and_b32 vcc_lo, exec_lo, s27
	s_cbranch_vccz .LBB8_158
; %bb.46:
	s_cmp_eq_u32 s0, 44
	s_cbranch_scc0 .LBB8_157
; %bb.47:
	global_load_ubyte v5, v[1:2], off
	s_mov_b32 s1, 0
	s_mov_b32 s26, -1
	s_waitcnt vmcnt(0)
	v_lshlrev_b32_e32 v3, 23, v5
	v_cmp_ne_u32_e32 vcc_lo, 0xff, v5
	v_cvt_f64_f32_e32 v[3:4], v3
	v_cndmask_b32_e32 v3, 0x20000000, v3, vcc_lo
	v_cndmask_b32_e32 v4, 0x7ff80000, v4, vcc_lo
	v_cmp_ne_u32_e32 vcc_lo, 0, v5
	v_cndmask_b32_e32 v7, 0x38000000, v4, vcc_lo
	v_cndmask_b32_e32 v6, 0, v3, vcc_lo
	s_branch .LBB8_158
.LBB8_48:
	s_mov_b32 s41, -1
	s_mov_b32 s0, 0
	s_mov_b32 s40, 0
.LBB8_49:
	s_and_b32 vcc_lo, exec_lo, s41
	s_cbranch_vccz .LBB8_54
; %bb.50:
	s_cmp_eq_u32 s27, 44
	s_mov_b32 s0, -1
	s_cbranch_scc0 .LBB8_54
; %bb.51:
	v_cvt_f32_f64_e32 v2, v[0:1]
	v_mov_b32_e32 v3, 0xff
	s_mov_b32 s40, exec_lo
	v_bfe_u32 v6, v2, 23, 8
	v_cmpx_ne_u32_e32 0xff, v6
	s_cbranch_execz .LBB8_53
; %bb.52:
	v_and_b32_e32 v3, 0x400000, v2
	v_and_or_b32 v6, 0x3fffff, v2, v6
	v_lshrrev_b32_e32 v2, 23, v2
	v_cmp_ne_u32_e32 vcc_lo, 0, v3
	v_cmp_ne_u32_e64 s0, 0, v6
	s_and_b32 s0, vcc_lo, s0
	v_cndmask_b32_e64 v3, 0, 1, s0
	v_add_nc_u32_e32 v3, v2, v3
.LBB8_53:
	s_or_b32 exec_lo, exec_lo, s40
	s_mov_b32 s40, -1
	s_mov_b32 s0, 0
	global_store_byte v[4:5], v3, off
.LBB8_54:
	s_mov_b32 s41, 0
.LBB8_55:
	s_and_b32 vcc_lo, exec_lo, s41
	s_cbranch_vccz .LBB8_58
; %bb.56:
	s_cmp_eq_u32 s27, 29
	s_mov_b32 s0, -1
	s_cbranch_scc0 .LBB8_58
; %bb.57:
	v_trunc_f64_e32 v[2:3], v[0:1]
	s_mov_b32 s40, -1
	s_mov_b32 s0, 0
	s_mov_b32 s41, 0
	v_ldexp_f64 v[6:7], v[2:3], 0xffffffe0
	v_floor_f64_e32 v[6:7], v[6:7]
	v_fma_f64 v[2:3], 0xc1f00000, v[6:7], v[2:3]
	v_cvt_u32_f64_e32 v7, v[6:7]
	v_cvt_u32_f64_e32 v6, v[2:3]
	global_store_dwordx2 v[4:5], v[6:7], off
	s_branch .LBB8_59
.LBB8_58:
	s_mov_b32 s41, 0
.LBB8_59:
	s_and_b32 vcc_lo, exec_lo, s41
	s_cbranch_vccz .LBB8_75
; %bb.60:
	s_cmp_lt_i32 s27, 27
	s_mov_b32 s40, -1
	s_cbranch_scc1 .LBB8_66
; %bb.61:
	v_cvt_u32_f64_e32 v2, v[0:1]
	s_cmp_gt_i32 s27, 27
	s_cbranch_scc0 .LBB8_63
; %bb.62:
	s_mov_b32 s40, 0
	global_store_dword v[4:5], v2, off
.LBB8_63:
	s_andn2_b32 vcc_lo, exec_lo, s40
	s_cbranch_vccnz .LBB8_65
; %bb.64:
	global_store_short v[4:5], v2, off
.LBB8_65:
	s_mov_b32 s40, 0
.LBB8_66:
	s_andn2_b32 vcc_lo, exec_lo, s40
	s_cbranch_vccnz .LBB8_74
; %bb.67:
	v_cvt_f32_f64_e32 v2, v[0:1]
	v_mov_b32_e32 v6, 0x80
	s_mov_b32 s40, exec_lo
	v_and_b32_e32 v3, 0x7fffffff, v2
	v_cmpx_gt_u32_e32 0x43800000, v3
	s_cbranch_execz .LBB8_73
; %bb.68:
	v_cmp_lt_u32_e32 vcc_lo, 0x3bffffff, v3
	s_mov_b32 s41, 0
                                        ; implicit-def: $vgpr3
	s_and_saveexec_b32 s44, vcc_lo
	s_xor_b32 s44, exec_lo, s44
	s_cbranch_execz .LBB8_311
; %bb.69:
	v_bfe_u32 v3, v2, 20, 1
	s_mov_b32 s41, exec_lo
	v_add3_u32 v3, v2, v3, 0x487ffff
	v_lshrrev_b32_e32 v3, 20, v3
	s_andn2_saveexec_b32 s44, s44
	s_cbranch_execnz .LBB8_312
.LBB8_70:
	s_or_b32 exec_lo, exec_lo, s44
	v_mov_b32_e32 v6, 0
	s_and_saveexec_b32 s44, s41
.LBB8_71:
	v_lshrrev_b32_e32 v2, 24, v2
	v_and_or_b32 v6, 0x80, v2, v3
.LBB8_72:
	s_or_b32 exec_lo, exec_lo, s44
.LBB8_73:
	s_or_b32 exec_lo, exec_lo, s40
	global_store_byte v[4:5], v6, off
.LBB8_74:
	s_mov_b32 s40, -1
.LBB8_75:
	s_mov_b32 s41, 0
.LBB8_76:
	s_and_b32 vcc_lo, exec_lo, s41
	s_cbranch_vccz .LBB8_117
; %bb.77:
	s_cmp_gt_i32 s27, 22
	s_mov_b32 s41, -1
	s_cbranch_scc0 .LBB8_109
; %bb.78:
	s_cmp_lt_i32 s27, 24
	s_mov_b32 s40, -1
	s_cbranch_scc1 .LBB8_98
; %bb.79:
	s_cmp_gt_i32 s27, 24
	s_cbranch_scc0 .LBB8_87
; %bb.80:
	v_cvt_f32_f64_e32 v2, v[0:1]
	v_mov_b32_e32 v6, 0x80
	s_mov_b32 s40, exec_lo
	v_and_b32_e32 v3, 0x7fffffff, v2
	v_cmpx_gt_u32_e32 0x47800000, v3
	s_cbranch_execz .LBB8_86
; %bb.81:
	v_cmp_lt_u32_e32 vcc_lo, 0x37ffffff, v3
	s_mov_b32 s41, 0
                                        ; implicit-def: $vgpr3
	s_and_saveexec_b32 s44, vcc_lo
	s_xor_b32 s44, exec_lo, s44
	s_cbranch_execz .LBB8_315
; %bb.82:
	v_bfe_u32 v3, v2, 21, 1
	s_mov_b32 s41, exec_lo
	v_add3_u32 v3, v2, v3, 0x88fffff
	v_lshrrev_b32_e32 v3, 21, v3
	s_andn2_saveexec_b32 s44, s44
	s_cbranch_execnz .LBB8_316
.LBB8_83:
	s_or_b32 exec_lo, exec_lo, s44
	v_mov_b32_e32 v6, 0
	s_and_saveexec_b32 s44, s41
.LBB8_84:
	v_lshrrev_b32_e32 v2, 24, v2
	v_and_or_b32 v6, 0x80, v2, v3
.LBB8_85:
	s_or_b32 exec_lo, exec_lo, s44
.LBB8_86:
	s_or_b32 exec_lo, exec_lo, s40
	s_mov_b32 s40, 0
	global_store_byte v[4:5], v6, off
.LBB8_87:
	s_and_b32 vcc_lo, exec_lo, s40
	s_cbranch_vccz .LBB8_97
; %bb.88:
	v_cvt_f32_f64_e32 v2, v[0:1]
	s_mov_b32 s40, exec_lo
                                        ; implicit-def: $vgpr3
	v_and_b32_e32 v6, 0x7fffffff, v2
	v_cmpx_gt_u32_e32 0x43f00000, v6
	s_xor_b32 s40, exec_lo, s40
	s_cbranch_execz .LBB8_94
; %bb.89:
	s_mov_b32 s41, exec_lo
                                        ; implicit-def: $vgpr3
	v_cmpx_lt_u32_e32 0x3c7fffff, v6
	s_xor_b32 s41, exec_lo, s41
; %bb.90:
	v_bfe_u32 v3, v2, 20, 1
	v_add3_u32 v3, v2, v3, 0x407ffff
	v_and_b32_e32 v6, 0xff00000, v3
	v_lshrrev_b32_e32 v3, 20, v3
	v_cmp_ne_u32_e32 vcc_lo, 0x7f00000, v6
	v_cndmask_b32_e32 v3, 0x7e, v3, vcc_lo
; %bb.91:
	s_andn2_saveexec_b32 s41, s41
; %bb.92:
	v_add_f32_e64 v3, 0x46800000, |v2|
; %bb.93:
	s_or_b32 exec_lo, exec_lo, s41
                                        ; implicit-def: $vgpr6
.LBB8_94:
	s_andn2_saveexec_b32 s40, s40
; %bb.95:
	v_mov_b32_e32 v3, 0x7f
	v_cmp_lt_u32_e32 vcc_lo, 0x7f800000, v6
	v_cndmask_b32_e32 v3, 0x7e, v3, vcc_lo
; %bb.96:
	s_or_b32 exec_lo, exec_lo, s40
	v_lshrrev_b32_e32 v2, 24, v2
	v_and_or_b32 v2, 0x80, v2, v3
	global_store_byte v[4:5], v2, off
.LBB8_97:
	s_mov_b32 s40, 0
.LBB8_98:
	s_andn2_b32 vcc_lo, exec_lo, s40
	s_cbranch_vccnz .LBB8_108
; %bb.99:
	v_cvt_f32_f64_e32 v2, v[0:1]
	s_mov_b32 s40, exec_lo
                                        ; implicit-def: $vgpr3
	v_and_b32_e32 v6, 0x7fffffff, v2
	v_cmpx_gt_u32_e32 0x47800000, v6
	s_xor_b32 s40, exec_lo, s40
	s_cbranch_execz .LBB8_105
; %bb.100:
	s_mov_b32 s41, exec_lo
                                        ; implicit-def: $vgpr3
	v_cmpx_lt_u32_e32 0x387fffff, v6
	s_xor_b32 s41, exec_lo, s41
; %bb.101:
	v_bfe_u32 v3, v2, 21, 1
	v_add3_u32 v3, v2, v3, 0x80fffff
	v_lshrrev_b32_e32 v3, 21, v3
; %bb.102:
	s_andn2_saveexec_b32 s41, s41
; %bb.103:
	v_add_f32_e64 v3, 0x43000000, |v2|
; %bb.104:
	s_or_b32 exec_lo, exec_lo, s41
                                        ; implicit-def: $vgpr6
.LBB8_105:
	s_andn2_saveexec_b32 s40, s40
; %bb.106:
	v_mov_b32_e32 v3, 0x7f
	v_cmp_lt_u32_e32 vcc_lo, 0x7f800000, v6
	v_cndmask_b32_e32 v3, 0x7c, v3, vcc_lo
; %bb.107:
	s_or_b32 exec_lo, exec_lo, s40
	v_lshrrev_b32_e32 v2, 24, v2
	v_and_or_b32 v2, 0x80, v2, v3
	global_store_byte v[4:5], v2, off
.LBB8_108:
	s_mov_b32 s41, 0
	s_mov_b32 s40, -1
.LBB8_109:
	s_andn2_b32 vcc_lo, exec_lo, s41
	s_cbranch_vccnz .LBB8_117
; %bb.110:
	s_cmp_gt_i32 s27, 14
	s_mov_b32 s41, -1
	s_cbranch_scc0 .LBB8_114
; %bb.111:
	s_cmp_eq_u32 s27, 15
	s_mov_b32 s0, -1
	s_cbranch_scc0 .LBB8_113
; %bb.112:
	v_cvt_f32_f64_e32 v2, v[0:1]
	s_mov_b32 s40, -1
	s_mov_b32 s0, 0
	v_bfe_u32 v3, v2, 16, 1
	v_cmp_o_f32_e32 vcc_lo, v2, v2
	v_add3_u32 v2, v2, v3, 0x7fff
	v_mov_b32_e32 v3, 0x7fc0
	v_cndmask_b32_sdwa v2, v3, v2, vcc_lo dst_sel:DWORD dst_unused:UNUSED_PAD src0_sel:DWORD src1_sel:WORD_1
	global_store_short v[4:5], v2, off
.LBB8_113:
	s_mov_b32 s41, 0
.LBB8_114:
	s_and_b32 vcc_lo, exec_lo, s41
	s_cbranch_vccz .LBB8_117
; %bb.115:
	s_cmp_eq_u32 s27, 11
	s_mov_b32 s0, -1
	s_cbranch_scc0 .LBB8_117
; %bb.116:
	v_cmp_neq_f64_e32 vcc_lo, 0, v[0:1]
	s_mov_b32 s40, -1
	s_mov_b32 s0, 0
	v_cndmask_b32_e64 v2, 0, 1, vcc_lo
	global_store_byte v[4:5], v2, off
.LBB8_117:
	s_branch .LBB8_36
.LBB8_118:
	s_and_b32 s26, 0xffff, s26
	s_mov_b32 s27, -1
	s_cmp_lt_i32 s26, 5
	s_cbranch_scc1 .LBB8_139
; %bb.119:
	s_cmp_lt_i32 s26, 8
	s_cbranch_scc1 .LBB8_129
; %bb.120:
	;; [unrolled: 3-line block ×3, first 2 shown]
	s_cmp_gt_i32 s26, 9
	s_cbranch_scc0 .LBB8_123
; %bb.122:
	v_mov_b32_e32 v2, 0
	s_mov_b32 s27, 0
	v_mov_b32_e32 v3, v2
	global_store_dwordx4 v[4:5], v[0:3], off
.LBB8_123:
	s_andn2_b32 vcc_lo, exec_lo, s27
	s_cbranch_vccnz .LBB8_125
; %bb.124:
	v_cvt_f32_f64_e32 v2, v[0:1]
	v_mov_b32_e32 v3, 0
	global_store_dwordx2 v[4:5], v[2:3], off
.LBB8_125:
	s_mov_b32 s27, 0
.LBB8_126:
	s_andn2_b32 vcc_lo, exec_lo, s27
	s_cbranch_vccnz .LBB8_128
; %bb.127:
	v_and_or_b32 v2, 0x1ff, v1, v0
	v_lshrrev_b32_e32 v3, 8, v1
	v_bfe_u32 v6, v1, 20, 11
	v_cmp_ne_u32_e32 vcc_lo, 0, v2
	v_sub_nc_u32_e32 v7, 0x3f1, v6
	v_add_nc_u32_e32 v6, 0xfffffc10, v6
	v_cndmask_b32_e64 v2, 0, 1, vcc_lo
	v_and_or_b32 v2, 0xffe, v3, v2
	v_med3_i32 v3, v7, 0, 13
	v_or_b32_e32 v7, 0x1000, v2
	v_lshrrev_b32_e32 v8, v3, v7
	v_lshlrev_b32_e32 v3, v3, v8
	v_cmp_ne_u32_e32 vcc_lo, v3, v7
	v_lshl_or_b32 v7, v6, 12, v2
	v_cndmask_b32_e64 v3, 0, 1, vcc_lo
	v_cmp_gt_i32_e32 vcc_lo, 1, v6
	v_or_b32_e32 v3, v8, v3
	v_cndmask_b32_e32 v3, v7, v3, vcc_lo
	v_and_b32_e32 v7, 7, v3
	v_lshrrev_b32_e32 v3, 2, v3
	v_cmp_lt_i32_e32 vcc_lo, 5, v7
	v_cndmask_b32_e64 v8, 0, 1, vcc_lo
	v_cmp_eq_u32_e32 vcc_lo, 3, v7
	v_cndmask_b32_e64 v7, 0, 1, vcc_lo
	v_cmp_ne_u32_e32 vcc_lo, 0, v2
	v_or_b32_e32 v7, v7, v8
	v_mov_b32_e32 v8, 0x7e00
	v_add_nc_u32_e32 v3, v3, v7
	v_cndmask_b32_e32 v2, 0x7c00, v8, vcc_lo
	v_cmp_gt_i32_e32 vcc_lo, 31, v6
	v_cndmask_b32_e32 v3, 0x7c00, v3, vcc_lo
	v_cmp_eq_u32_e32 vcc_lo, 0x40f, v6
	v_cndmask_b32_e32 v2, v3, v2, vcc_lo
	v_lshrrev_b32_e32 v3, 16, v1
	v_and_or_b32 v2, 0x8000, v3, v2
	v_and_b32_e32 v2, 0xffff, v2
	global_store_dword v[4:5], v2, off
.LBB8_128:
	s_mov_b32 s27, 0
.LBB8_129:
	s_andn2_b32 vcc_lo, exec_lo, s27
	s_cbranch_vccnz .LBB8_138
; %bb.130:
	s_cmp_lt_i32 s26, 6
	s_mov_b32 s27, -1
	s_cbranch_scc1 .LBB8_136
; %bb.131:
	s_cmp_gt_i32 s26, 6
	s_cbranch_scc0 .LBB8_133
; %bb.132:
	s_mov_b32 s27, 0
	global_store_dwordx2 v[4:5], v[0:1], off
.LBB8_133:
	s_andn2_b32 vcc_lo, exec_lo, s27
	s_cbranch_vccnz .LBB8_135
; %bb.134:
	v_cvt_f32_f64_e32 v2, v[0:1]
	global_store_dword v[4:5], v2, off
.LBB8_135:
	s_mov_b32 s27, 0
.LBB8_136:
	s_andn2_b32 vcc_lo, exec_lo, s27
	s_cbranch_vccnz .LBB8_138
; %bb.137:
	v_and_or_b32 v2, 0x1ff, v1, v0
	v_lshrrev_b32_e32 v3, 8, v1
	v_bfe_u32 v6, v1, 20, 11
	v_cmp_ne_u32_e32 vcc_lo, 0, v2
	v_sub_nc_u32_e32 v7, 0x3f1, v6
	v_add_nc_u32_e32 v6, 0xfffffc10, v6
	v_cndmask_b32_e64 v2, 0, 1, vcc_lo
	v_and_or_b32 v2, 0xffe, v3, v2
	v_med3_i32 v3, v7, 0, 13
	v_or_b32_e32 v7, 0x1000, v2
	v_lshrrev_b32_e32 v8, v3, v7
	v_lshlrev_b32_e32 v3, v3, v8
	v_cmp_ne_u32_e32 vcc_lo, v3, v7
	v_lshl_or_b32 v7, v6, 12, v2
	v_cndmask_b32_e64 v3, 0, 1, vcc_lo
	v_cmp_gt_i32_e32 vcc_lo, 1, v6
	v_or_b32_e32 v3, v8, v3
	v_cndmask_b32_e32 v3, v7, v3, vcc_lo
	v_and_b32_e32 v7, 7, v3
	v_lshrrev_b32_e32 v3, 2, v3
	v_cmp_lt_i32_e32 vcc_lo, 5, v7
	v_cndmask_b32_e64 v8, 0, 1, vcc_lo
	v_cmp_eq_u32_e32 vcc_lo, 3, v7
	v_cndmask_b32_e64 v7, 0, 1, vcc_lo
	v_cmp_ne_u32_e32 vcc_lo, 0, v2
	v_or_b32_e32 v7, v7, v8
	v_mov_b32_e32 v8, 0x7e00
	v_add_nc_u32_e32 v3, v3, v7
	v_cndmask_b32_e32 v2, 0x7c00, v8, vcc_lo
	v_cmp_gt_i32_e32 vcc_lo, 31, v6
	v_cndmask_b32_e32 v3, 0x7c00, v3, vcc_lo
	v_cmp_eq_u32_e32 vcc_lo, 0x40f, v6
	v_cndmask_b32_e32 v2, v3, v2, vcc_lo
	v_lshrrev_b32_e32 v3, 16, v1
	v_and_or_b32 v2, 0x8000, v3, v2
	global_store_short v[4:5], v2, off
.LBB8_138:
	s_mov_b32 s27, 0
.LBB8_139:
	s_andn2_b32 vcc_lo, exec_lo, s27
	s_cbranch_vccnz .LBB8_155
; %bb.140:
	s_cmp_lt_i32 s26, 2
	s_mov_b32 s27, -1
	s_cbranch_scc1 .LBB8_150
; %bb.141:
	s_cmp_lt_i32 s26, 3
	s_cbranch_scc1 .LBB8_147
; %bb.142:
	s_cmp_gt_i32 s26, 3
	s_cbranch_scc0 .LBB8_144
; %bb.143:
	v_trunc_f64_e32 v[2:3], v[0:1]
	s_mov_b32 s27, 0
	v_ldexp_f64 v[6:7], v[2:3], 0xffffffe0
	v_floor_f64_e32 v[6:7], v[6:7]
	v_fma_f64 v[2:3], 0xc1f00000, v[6:7], v[2:3]
	v_cvt_i32_f64_e32 v7, v[6:7]
	v_cvt_u32_f64_e32 v6, v[2:3]
	global_store_dwordx2 v[4:5], v[6:7], off
.LBB8_144:
	s_andn2_b32 vcc_lo, exec_lo, s27
	s_cbranch_vccnz .LBB8_146
; %bb.145:
	v_cvt_i32_f64_e32 v2, v[0:1]
	global_store_dword v[4:5], v2, off
.LBB8_146:
	s_mov_b32 s27, 0
.LBB8_147:
	s_andn2_b32 vcc_lo, exec_lo, s27
	s_cbranch_vccnz .LBB8_149
; %bb.148:
	v_cvt_i32_f64_e32 v2, v[0:1]
	global_store_short v[4:5], v2, off
.LBB8_149:
	s_mov_b32 s27, 0
.LBB8_150:
	s_andn2_b32 vcc_lo, exec_lo, s27
	s_cbranch_vccnz .LBB8_155
; %bb.151:
	s_cmp_gt_i32 s26, 0
	s_mov_b32 s26, -1
	s_cbranch_scc0 .LBB8_153
; %bb.152:
	v_cvt_i32_f64_e32 v2, v[0:1]
	s_mov_b32 s26, 0
	global_store_byte v[4:5], v2, off
.LBB8_153:
	s_andn2_b32 vcc_lo, exec_lo, s26
	s_cbranch_vccnz .LBB8_155
; %bb.154:
	v_trunc_f64_e32 v[0:1], v[0:1]
	v_ldexp_f64 v[2:3], v[0:1], 0xffffffe0
	v_floor_f64_e32 v[2:3], v[2:3]
	v_fma_f64 v[0:1], 0xc1f00000, v[2:3], v[0:1]
	v_cvt_u32_f64_e32 v0, v[0:1]
	global_store_byte v[4:5], v0, off
.LBB8_155:
.LBB8_156:
	v_add_nc_u32_e32 v10, 0x80, v10
	s_mov_b32 s26, -1
	s_branch .LBB8_267
.LBB8_157:
	s_mov_b32 s1, -1
                                        ; implicit-def: $vgpr6_vgpr7
.LBB8_158:
	s_mov_b32 s27, 0
.LBB8_159:
	s_and_b32 vcc_lo, exec_lo, s27
	s_cbranch_vccz .LBB8_163
; %bb.160:
	s_cmp_eq_u32 s0, 29
	s_cbranch_scc0 .LBB8_162
; %bb.161:
	global_load_dwordx2 v[3:4], v[1:2], off
	s_mov_b32 s26, -1
	s_mov_b32 s1, 0
	s_mov_b32 s27, 0
	s_waitcnt vmcnt(0)
	v_cvt_f64_u32_e32 v[4:5], v4
	v_cvt_f64_u32_e32 v[6:7], v3
	v_ldexp_f64 v[4:5], v[4:5], 32
	v_add_f64 v[6:7], v[4:5], v[6:7]
	s_branch .LBB8_164
.LBB8_162:
	s_mov_b32 s1, -1
                                        ; implicit-def: $vgpr6_vgpr7
.LBB8_163:
	s_mov_b32 s27, 0
.LBB8_164:
	s_and_b32 vcc_lo, exec_lo, s27
	s_cbranch_vccz .LBB8_184
; %bb.165:
	s_cmp_lt_i32 s0, 27
	s_cbranch_scc1 .LBB8_168
; %bb.166:
	s_cmp_gt_i32 s0, 27
	s_cbranch_scc0 .LBB8_169
; %bb.167:
	global_load_dword v3, v[1:2], off
	s_mov_b32 s26, 0
	s_waitcnt vmcnt(0)
	v_cvt_f64_u32_e32 v[6:7], v3
	s_branch .LBB8_170
.LBB8_168:
	s_mov_b32 s26, -1
                                        ; implicit-def: $vgpr6_vgpr7
	s_branch .LBB8_173
.LBB8_169:
	s_mov_b32 s26, -1
                                        ; implicit-def: $vgpr6_vgpr7
.LBB8_170:
	s_andn2_b32 vcc_lo, exec_lo, s26
	s_cbranch_vccnz .LBB8_172
; %bb.171:
	global_load_ushort v3, v[1:2], off
	s_waitcnt vmcnt(0)
	v_cvt_f64_u32_e32 v[6:7], v3
.LBB8_172:
	s_mov_b32 s26, 0
.LBB8_173:
	s_andn2_b32 vcc_lo, exec_lo, s26
	s_cbranch_vccnz .LBB8_183
; %bb.174:
	global_load_ubyte v3, v[1:2], off
	s_mov_b32 s26, 0
	s_mov_b32 s27, exec_lo
	s_waitcnt vmcnt(0)
	v_cmpx_lt_i16_e32 0x7f, v3
	s_xor_b32 s27, exec_lo, s27
	s_cbranch_execz .LBB8_178
; %bb.175:
	s_mov_b32 s26, -1
	s_mov_b32 s40, exec_lo
	v_cmpx_eq_u16_e32 0x80, v3
; %bb.176:
	s_xor_b32 s26, exec_lo, -1
; %bb.177:
	s_or_b32 exec_lo, exec_lo, s40
	s_and_b32 s26, s26, exec_lo
.LBB8_178:
	s_or_saveexec_b32 s27, s27
	v_bfrev_b32_e32 v6, 4
	v_mov_b32_e32 v7, 0x7ff80000
	s_xor_b32 exec_lo, exec_lo, s27
; %bb.179:
	v_cmp_ne_u16_e32 vcc_lo, 0, v3
	v_mov_b32_e32 v6, 0
	v_mov_b32_e32 v7, 0
	s_andn2_b32 s26, s26, exec_lo
	s_and_b32 s40, vcc_lo, exec_lo
	s_or_b32 s26, s26, s40
; %bb.180:
	s_or_b32 exec_lo, exec_lo, s27
	s_and_saveexec_b32 s27, s26
	s_cbranch_execz .LBB8_182
; %bb.181:
	v_and_b32_e32 v4, 0xffff, v3
	v_lshlrev_b32_e32 v3, 24, v3
	v_and_b32_e32 v5, 7, v4
	v_bfe_u32 v8, v4, 3, 4
	v_and_b32_e32 v3, 0x80000000, v3
	v_ffbh_u32_e32 v6, v5
	v_cmp_eq_u32_e32 vcc_lo, 0, v8
	v_min_u32_e32 v6, 32, v6
	v_subrev_nc_u32_e32 v7, 28, v6
	v_sub_nc_u32_e32 v6, 29, v6
	v_lshlrev_b32_e32 v4, v7, v4
	v_cndmask_b32_e32 v6, v8, v6, vcc_lo
	v_and_b32_e32 v4, 7, v4
	v_cndmask_b32_e32 v4, v5, v4, vcc_lo
	v_lshl_add_u32 v5, v6, 23, 0x3b800000
	v_lshlrev_b32_e32 v4, 20, v4
	v_or3_b32 v3, v3, v5, v4
	v_cvt_f64_f32_e32 v[6:7], v3
.LBB8_182:
	s_or_b32 exec_lo, exec_lo, s27
.LBB8_183:
	s_mov_b32 s26, -1
.LBB8_184:
	s_branch .LBB8_217
.LBB8_185:
	s_cmp_gt_i32 s0, 22
	s_cbranch_scc0 .LBB8_197
; %bb.186:
	s_cmp_lt_i32 s0, 24
	s_cbranch_scc1 .LBB8_198
; %bb.187:
	s_cmp_gt_i32 s0, 24
	s_cbranch_scc0 .LBB8_199
; %bb.188:
	global_load_ubyte v3, v[1:2], off
	s_mov_b32 s26, 0
	s_mov_b32 s27, exec_lo
	s_waitcnt vmcnt(0)
	v_cmpx_lt_i16_e32 0x7f, v3
	s_xor_b32 s27, exec_lo, s27
	s_cbranch_execz .LBB8_192
; %bb.189:
	s_mov_b32 s26, -1
	s_mov_b32 s40, exec_lo
	v_cmpx_eq_u16_e32 0x80, v3
; %bb.190:
	s_xor_b32 s26, exec_lo, -1
; %bb.191:
	s_or_b32 exec_lo, exec_lo, s40
	s_and_b32 s26, s26, exec_lo
.LBB8_192:
	s_or_saveexec_b32 s27, s27
	v_bfrev_b32_e32 v6, 4
	v_mov_b32_e32 v7, 0x7ff80000
	s_xor_b32 exec_lo, exec_lo, s27
; %bb.193:
	v_cmp_ne_u16_e32 vcc_lo, 0, v3
	v_mov_b32_e32 v6, 0
	v_mov_b32_e32 v7, 0
	s_andn2_b32 s26, s26, exec_lo
	s_and_b32 s40, vcc_lo, exec_lo
	s_or_b32 s26, s26, s40
; %bb.194:
	s_or_b32 exec_lo, exec_lo, s27
	s_and_saveexec_b32 s27, s26
	s_cbranch_execz .LBB8_196
; %bb.195:
	v_and_b32_e32 v4, 0xffff, v3
	v_lshlrev_b32_e32 v3, 24, v3
	v_and_b32_e32 v5, 3, v4
	v_bfe_u32 v8, v4, 2, 5
	v_and_b32_e32 v3, 0x80000000, v3
	v_ffbh_u32_e32 v6, v5
	v_cmp_eq_u32_e32 vcc_lo, 0, v8
	v_min_u32_e32 v6, 32, v6
	v_subrev_nc_u32_e32 v7, 29, v6
	v_sub_nc_u32_e32 v6, 30, v6
	v_lshlrev_b32_e32 v4, v7, v4
	v_cndmask_b32_e32 v6, v8, v6, vcc_lo
	v_and_b32_e32 v4, 3, v4
	v_cndmask_b32_e32 v4, v5, v4, vcc_lo
	v_lshl_add_u32 v5, v6, 23, 0x37800000
	v_lshlrev_b32_e32 v4, 21, v4
	v_or3_b32 v3, v3, v5, v4
	v_cvt_f64_f32_e32 v[6:7], v3
.LBB8_196:
	s_or_b32 exec_lo, exec_lo, s27
	s_mov_b32 s26, 0
	s_branch .LBB8_200
.LBB8_197:
	s_mov_b32 s27, -1
                                        ; implicit-def: $vgpr6_vgpr7
	s_branch .LBB8_206
.LBB8_198:
	s_mov_b32 s26, -1
                                        ; implicit-def: $vgpr6_vgpr7
	s_branch .LBB8_203
.LBB8_199:
	s_mov_b32 s26, -1
                                        ; implicit-def: $vgpr6_vgpr7
.LBB8_200:
	s_and_b32 vcc_lo, exec_lo, s26
	s_cbranch_vccz .LBB8_202
; %bb.201:
	global_load_ubyte v3, v[1:2], off
	s_waitcnt vmcnt(0)
	v_lshlrev_b32_e32 v3, 24, v3
	v_and_b32_e32 v4, 0x7f000000, v3
	v_ffbh_u32_e32 v5, v4
	v_add_nc_u32_e32 v7, 0x1000000, v4
	v_cmp_ne_u32_e32 vcc_lo, 0, v4
	v_min_u32_e32 v5, 32, v5
	v_sub_nc_u32_e64 v5, v5, 4 clamp
	v_lshlrev_b32_e32 v6, v5, v4
	v_lshlrev_b32_e32 v5, 23, v5
	v_lshrrev_b32_e32 v6, 4, v6
	v_sub_nc_u32_e32 v5, v6, v5
	v_ashrrev_i32_e32 v6, 8, v7
	v_add_nc_u32_e32 v5, 0x3c000000, v5
	v_and_or_b32 v5, 0x7f800000, v6, v5
	v_cndmask_b32_e32 v4, 0, v5, vcc_lo
	v_and_or_b32 v3, 0x80000000, v3, v4
	v_cvt_f64_f32_e32 v[6:7], v3
.LBB8_202:
	s_mov_b32 s26, 0
.LBB8_203:
	s_andn2_b32 vcc_lo, exec_lo, s26
	s_cbranch_vccnz .LBB8_205
; %bb.204:
	global_load_ubyte v3, v[1:2], off
	s_waitcnt vmcnt(0)
	v_lshlrev_b32_e32 v4, 25, v3
	v_lshlrev_b16 v3, 8, v3
	v_lshrrev_b32_e32 v5, 4, v4
	v_and_or_b32 v6, 0x7f00, v3, 0.5
	v_cmp_gt_u32_e32 vcc_lo, 0x8000000, v4
	v_bfe_i32 v3, v3, 0, 16
	v_or_b32_e32 v5, 0x70000000, v5
	v_add_f32_e32 v6, -0.5, v6
	v_mul_f32_e32 v5, 0x7800000, v5
	v_cndmask_b32_e32 v4, v5, v6, vcc_lo
	v_and_or_b32 v3, 0x80000000, v3, v4
	v_cvt_f64_f32_e32 v[6:7], v3
.LBB8_205:
	s_mov_b32 s27, 0
	s_mov_b32 s26, -1
.LBB8_206:
	s_andn2_b32 vcc_lo, exec_lo, s27
	s_cbranch_vccnz .LBB8_217
; %bb.207:
	s_cmp_gt_i32 s0, 14
	s_cbranch_scc0 .LBB8_210
; %bb.208:
	s_cmp_eq_u32 s0, 15
	s_cbranch_scc0 .LBB8_211
; %bb.209:
	global_load_ushort v3, v[1:2], off
	s_mov_b32 s26, -1
	s_mov_b32 s1, 0
	s_waitcnt vmcnt(0)
	v_lshlrev_b32_e32 v3, 16, v3
	v_cvt_f64_f32_e32 v[6:7], v3
	s_branch .LBB8_212
.LBB8_210:
	s_mov_b32 s27, -1
                                        ; implicit-def: $vgpr6_vgpr7
	s_branch .LBB8_213
.LBB8_211:
	s_mov_b32 s1, -1
                                        ; implicit-def: $vgpr6_vgpr7
.LBB8_212:
	s_mov_b32 s27, 0
.LBB8_213:
	s_and_b32 vcc_lo, exec_lo, s27
	s_cbranch_vccz .LBB8_217
; %bb.214:
	s_cmp_eq_u32 s0, 11
	s_cbranch_scc0 .LBB8_216
; %bb.215:
	global_load_ubyte v3, v[1:2], off
	v_mov_b32_e32 v6, 0
	s_mov_b32 s1, 0
	s_mov_b32 s26, -1
	s_waitcnt vmcnt(0)
	v_cmp_ne_u16_e32 vcc_lo, 0, v3
	v_cndmask_b32_e64 v7, 0, 0x3ff00000, vcc_lo
	s_branch .LBB8_217
.LBB8_216:
	s_mov_b32 s1, -1
                                        ; implicit-def: $vgpr6_vgpr7
.LBB8_217:
	s_branch .LBB8_24
.LBB8_218:
	s_cmp_lt_i32 s0, 5
	s_cbranch_scc1 .LBB8_223
; %bb.219:
	s_cmp_lt_i32 s0, 8
	s_cbranch_scc1 .LBB8_224
; %bb.220:
	s_cmp_lt_i32 s0, 9
	s_cbranch_scc1 .LBB8_225
; %bb.221:
	s_cmp_gt_i32 s0, 9
	s_cbranch_scc0 .LBB8_226
; %bb.222:
	global_load_dwordx2 v[6:7], v[1:2], off
	s_mov_b32 s26, 0
	s_branch .LBB8_227
.LBB8_223:
                                        ; implicit-def: $vgpr6_vgpr7
	s_branch .LBB8_245
.LBB8_224:
	s_mov_b32 s26, -1
                                        ; implicit-def: $vgpr6_vgpr7
	s_branch .LBB8_233
.LBB8_225:
	s_mov_b32 s26, -1
                                        ; implicit-def: $vgpr6_vgpr7
	s_branch .LBB8_230
.LBB8_226:
	s_mov_b32 s26, -1
                                        ; implicit-def: $vgpr6_vgpr7
.LBB8_227:
	s_andn2_b32 vcc_lo, exec_lo, s26
	s_cbranch_vccnz .LBB8_229
; %bb.228:
	global_load_dword v3, v[1:2], off
	s_waitcnt vmcnt(0)
	v_cvt_f64_f32_e32 v[6:7], v3
.LBB8_229:
	s_mov_b32 s26, 0
.LBB8_230:
	s_andn2_b32 vcc_lo, exec_lo, s26
	s_cbranch_vccnz .LBB8_232
; %bb.231:
	global_load_dword v3, v[1:2], off
	s_waitcnt vmcnt(0)
	v_cvt_f32_f16_e32 v3, v3
	v_cvt_f64_f32_e32 v[6:7], v3
.LBB8_232:
	s_mov_b32 s26, 0
.LBB8_233:
	s_andn2_b32 vcc_lo, exec_lo, s26
	s_cbranch_vccnz .LBB8_244
; %bb.234:
	s_cmp_lt_i32 s0, 6
	s_cbranch_scc1 .LBB8_237
; %bb.235:
	s_cmp_gt_i32 s0, 6
	s_cbranch_scc0 .LBB8_238
; %bb.236:
	global_load_dwordx2 v[6:7], v[1:2], off
	s_mov_b32 s26, 0
	s_branch .LBB8_239
.LBB8_237:
	s_mov_b32 s26, -1
                                        ; implicit-def: $vgpr6_vgpr7
	s_branch .LBB8_242
.LBB8_238:
	s_mov_b32 s26, -1
                                        ; implicit-def: $vgpr6_vgpr7
.LBB8_239:
	s_andn2_b32 vcc_lo, exec_lo, s26
	s_cbranch_vccnz .LBB8_241
; %bb.240:
	global_load_dword v3, v[1:2], off
	s_waitcnt vmcnt(0)
	v_cvt_f64_f32_e32 v[6:7], v3
.LBB8_241:
	s_mov_b32 s26, 0
.LBB8_242:
	s_andn2_b32 vcc_lo, exec_lo, s26
	s_cbranch_vccnz .LBB8_244
; %bb.243:
	global_load_ushort v3, v[1:2], off
	s_waitcnt vmcnt(0)
	v_cvt_f32_f16_e32 v3, v3
	v_cvt_f64_f32_e32 v[6:7], v3
.LBB8_244:
	s_cbranch_execnz .LBB8_264
.LBB8_245:
	s_cmp_lt_i32 s0, 2
	s_cbranch_scc1 .LBB8_249
; %bb.246:
	s_cmp_lt_i32 s0, 3
	s_cbranch_scc1 .LBB8_250
; %bb.247:
	s_cmp_gt_i32 s0, 3
	s_cbranch_scc0 .LBB8_251
; %bb.248:
	global_load_dwordx2 v[3:4], v[1:2], off
	s_mov_b32 s26, 0
	s_waitcnt vmcnt(0)
	v_cvt_f64_i32_e32 v[4:5], v4
	v_cvt_f64_u32_e32 v[6:7], v3
	v_ldexp_f64 v[4:5], v[4:5], 32
	v_add_f64 v[6:7], v[4:5], v[6:7]
	s_branch .LBB8_252
.LBB8_249:
	s_mov_b32 s26, -1
                                        ; implicit-def: $vgpr6_vgpr7
	s_branch .LBB8_258
.LBB8_250:
	s_mov_b32 s26, -1
                                        ; implicit-def: $vgpr6_vgpr7
	s_branch .LBB8_255
.LBB8_251:
	s_mov_b32 s26, -1
                                        ; implicit-def: $vgpr6_vgpr7
.LBB8_252:
	s_andn2_b32 vcc_lo, exec_lo, s26
	s_cbranch_vccnz .LBB8_254
; %bb.253:
	global_load_dword v3, v[1:2], off
	s_waitcnt vmcnt(0)
	v_cvt_f64_i32_e32 v[6:7], v3
.LBB8_254:
	s_mov_b32 s26, 0
.LBB8_255:
	s_andn2_b32 vcc_lo, exec_lo, s26
	s_cbranch_vccnz .LBB8_257
; %bb.256:
	global_load_sshort v3, v[1:2], off
	s_waitcnt vmcnt(0)
	v_cvt_f64_i32_e32 v[6:7], v3
.LBB8_257:
	s_mov_b32 s26, 0
.LBB8_258:
	s_andn2_b32 vcc_lo, exec_lo, s26
	s_cbranch_vccnz .LBB8_264
; %bb.259:
	s_cmp_gt_i32 s0, 0
	s_mov_b32 s0, 0
	s_cbranch_scc0 .LBB8_261
; %bb.260:
	global_load_sbyte v3, v[1:2], off
	s_waitcnt vmcnt(0)
	v_cvt_f64_i32_e32 v[6:7], v3
	s_branch .LBB8_262
.LBB8_261:
	s_mov_b32 s0, -1
                                        ; implicit-def: $vgpr6_vgpr7
.LBB8_262:
	s_andn2_b32 vcc_lo, exec_lo, s0
	s_cbranch_vccnz .LBB8_264
; %bb.263:
	global_load_ubyte v1, v[1:2], off
	s_waitcnt vmcnt(0)
	v_cvt_f64_u32_e32 v[6:7], v1
.LBB8_264:
	s_branch .LBB8_25
.LBB8_265:
	s_mov_b32 s0, 0
.LBB8_266:
	s_mov_b32 s26, 0
                                        ; implicit-def: $vgpr10
.LBB8_267:
	s_and_b32 s40, s0, exec_lo
	s_and_b32 s41, s1, exec_lo
	s_orn2_b32 s1, s26, exec_lo
.LBB8_268:
	s_or_b32 exec_lo, exec_lo, s42
	s_mov_b32 s26, 0
	s_mov_b32 s0, 0
                                        ; implicit-def: $vgpr0_vgpr1
                                        ; implicit-def: $vgpr2
                                        ; implicit-def: $vgpr6_vgpr7
	s_and_saveexec_b32 s42, s1
	s_cbranch_execz .LBB8_275
; %bb.269:
	s_mov_b32 s0, -1
	s_mov_b32 s43, s41
	s_mov_b32 s44, s40
	s_mov_b32 s45, exec_lo
	v_cmpx_gt_i32_e64 s37, v10
	s_cbranch_execz .LBB8_547
; %bb.270:
	s_andn2_b32 vcc_lo, exec_lo, s31
	s_cbranch_vccnz .LBB8_278
; %bb.271:
	s_andn2_b32 vcc_lo, exec_lo, s39
	s_cbranch_vccnz .LBB8_279
; %bb.272:
	s_add_i32 s44, s38, 1
	s_cmp_eq_u32 s29, 2
	s_cbranch_scc1 .LBB8_280
; %bb.273:
	v_mov_b32_e32 v2, 0
	v_mov_b32_e32 v0, 0
	;; [unrolled: 1-line block ×3, first 2 shown]
	s_and_b32 s43, s44, 28
	s_mov_b32 s46, 0
	s_mov_b64 s[0:1], s[2:3]
	s_mov_b64 s[26:27], s[24:25]
.LBB8_274:                              ; =>This Inner Loop Header: Depth=1
	s_clause 0x1
	s_load_dwordx8 s[48:55], s[0:1], 0x4
	s_load_dwordx4 s[64:67], s[0:1], 0x24
	s_load_dwordx8 s[56:63], s[26:27], 0x0
	s_add_u32 s0, s0, 48
	s_addc_u32 s1, s1, 0
	s_add_i32 s46, s46, 4
	s_add_u32 s26, s26, 32
	s_addc_u32 s27, s27, 0
	s_cmp_eq_u32 s43, s46
	s_waitcnt lgkmcnt(0)
	v_mul_hi_u32 v3, s49, v1
	v_add_nc_u32_e32 v3, v1, v3
	v_lshrrev_b32_e32 v3, s50, v3
	v_mul_hi_u32 v4, s52, v3
	s_waitcnt vmcnt(0)
	v_mul_lo_u32 v6, v3, s48
	v_add_nc_u32_e32 v4, v3, v4
	v_sub_nc_u32_e32 v1, v1, v6
	v_lshrrev_b32_e32 v4, s53, v4
	v_mul_lo_u32 v6, v1, s56
	v_mul_lo_u32 v8, v1, s57
	v_mul_hi_u32 v5, s55, v4
	v_add_nc_u32_e32 v5, v4, v5
	v_lshrrev_b32_e32 v5, s64, v5
	v_mul_hi_u32 v7, s66, v5
	v_mul_lo_u32 v9, v5, s54
	v_add_nc_u32_e32 v1, v5, v7
	v_mul_lo_u32 v7, v4, s51
	v_sub_nc_u32_e32 v4, v4, v9
	v_lshrrev_b32_e32 v1, s67, v1
	v_mul_lo_u32 v9, v4, s60
	v_mul_lo_u32 v4, v4, s61
	v_sub_nc_u32_e32 v3, v3, v7
	v_mul_lo_u32 v11, v1, s65
	v_mul_lo_u32 v7, v3, s58
	;; [unrolled: 1-line block ×3, first 2 shown]
	v_sub_nc_u32_e32 v5, v5, v11
	v_add3_u32 v0, v6, v0, v7
	v_mul_lo_u32 v11, v5, s62
	v_mul_lo_u32 v5, v5, s63
	v_add3_u32 v2, v8, v2, v3
	v_add3_u32 v0, v9, v0, v11
	;; [unrolled: 1-line block ×3, first 2 shown]
	s_cbranch_scc0 .LBB8_274
	s_branch .LBB8_281
.LBB8_275:
	s_or_b32 exec_lo, exec_lo, s42
	s_mov_b32 s1, 0
	s_and_saveexec_b32 s6, s41
	s_cbranch_execnz .LBB8_927
.LBB8_276:
	s_or_b32 exec_lo, exec_lo, s6
	s_and_saveexec_b32 s6, s43
	s_xor_b32 s6, exec_lo, s6
	s_cbranch_execz .LBB8_928
.LBB8_277:
	global_load_ubyte v3, v[0:1], off
	s_waitcnt vmcnt(1)
	v_mov_b32_e32 v6, 0
	s_or_b32 s0, s0, exec_lo
	s_waitcnt vmcnt(0)
	v_cmp_ne_u16_e32 vcc_lo, 0, v3
	v_cndmask_b32_e64 v7, 0, 0x3ff00000, vcc_lo
	s_or_b32 exec_lo, exec_lo, s6
	s_and_saveexec_b32 s6, s26
	s_cbranch_execz .LBB8_974
	s_branch .LBB8_929
.LBB8_278:
                                        ; implicit-def: $vgpr0
                                        ; implicit-def: $vgpr2
	s_andn2_b32 vcc_lo, exec_lo, s0
	s_cbranch_vccz .LBB8_285
	s_branch .LBB8_287
.LBB8_279:
	v_mov_b32_e32 v0, 0
	v_mov_b32_e32 v2, 0
	s_branch .LBB8_284
.LBB8_280:
	v_mov_b32_e32 v0, 0
	v_mov_b32_e32 v2, 0
	;; [unrolled: 1-line block ×3, first 2 shown]
	s_mov_b32 s43, 0
.LBB8_281:
	s_and_b32 s44, s44, 3
	s_cmp_eq_u32 s44, 0
	s_cbranch_scc1 .LBB8_284
; %bb.282:
	s_lshl_b32 s0, s43, 3
	s_mul_i32 s26, s43, 12
	s_add_u32 s0, s2, s0
	s_addc_u32 s1, s3, 0
	s_add_u32 s0, s0, 0xc4
	s_addc_u32 s1, s1, 0
	;; [unrolled: 2-line block ×3, first 2 shown]
	.p2align	6
.LBB8_283:                              ; =>This Inner Loop Header: Depth=1
	s_clause 0x1
	s_load_dwordx2 s[46:47], s[26:27], 0x4
	s_load_dword s43, s[26:27], 0xc
	s_load_dwordx2 s[48:49], s[0:1], 0x0
	s_add_u32 s26, s26, 12
	s_addc_u32 s27, s27, 0
	s_add_u32 s0, s0, 8
	s_addc_u32 s1, s1, 0
	s_add_i32 s44, s44, -1
	s_cmp_lg_u32 s44, 0
	s_waitcnt lgkmcnt(0)
	v_mul_hi_u32 v3, s47, v1
	v_add_nc_u32_e32 v3, v1, v3
	v_lshrrev_b32_e32 v4, s43, v3
	v_mul_lo_u32 v3, v4, s46
	v_sub_nc_u32_e32 v3, v1, v3
	v_mad_u64_u32 v[0:1], null, v3, s48, v[0:1]
	v_mad_u64_u32 v[2:3], null, v3, s49, v[2:3]
	v_mov_b32_e32 v1, v4
	s_cbranch_scc1 .LBB8_283
.LBB8_284:
	s_cbranch_execnz .LBB8_287
.LBB8_285:
	v_mul_hi_u32 v0, s21, v10
	s_andn2_b32 vcc_lo, exec_lo, s36
	v_add_nc_u32_e32 v0, v10, v0
	v_lshrrev_b32_e32 v1, s22, v0
	v_mul_lo_u32 v0, v1, s20
	v_sub_nc_u32_e32 v2, v10, v0
	v_mul_lo_u32 v0, v2, s16
	v_mul_lo_u32 v2, v2, s17
	s_cbranch_vccnz .LBB8_287
; %bb.286:
	v_mul_hi_u32 v3, s6, v1
	v_add_nc_u32_e32 v3, v1, v3
	v_lshrrev_b32_e32 v3, s7, v3
	v_mul_lo_u32 v3, v3, s23
	v_sub_nc_u32_e32 v3, v1, v3
	v_mad_u64_u32 v[0:1], null, v3, s18, v[0:1]
	v_mad_u64_u32 v[2:3], null, v3, s19, v[2:3]
.LBB8_287:
	v_add_co_u32 v1, s0, s10, v2
	v_add_co_ci_u32_e64 v2, null, s11, 0, s0
	s_and_b32 s0, 0xffff, s35
	s_cmp_lt_i32 s0, 11
	s_cbranch_scc1 .LBB8_294
; %bb.288:
	s_cmp_gt_i32 s0, 25
	s_cbranch_scc0 .LBB8_305
; %bb.289:
	s_cmp_gt_i32 s0, 28
	s_cbranch_scc0 .LBB8_307
	;; [unrolled: 3-line block ×4, first 2 shown]
; %bb.292:
	s_cmp_eq_u32 s0, 46
	s_mov_b32 s27, 0
	s_cbranch_scc0 .LBB8_317
; %bb.293:
	global_load_dword v3, v[1:2], off
	s_mov_b32 s26, -1
	s_mov_b32 s1, 0
	s_waitcnt vmcnt(0)
	v_lshlrev_b32_e32 v3, 16, v3
	v_cvt_f64_f32_e32 v[6:7], v3
	s_branch .LBB8_319
.LBB8_294:
	s_mov_b32 s26, 0
	s_mov_b32 s1, s41
                                        ; implicit-def: $vgpr6_vgpr7
	s_cbranch_execnz .LBB8_496
.LBB8_295:
	s_andn2_b32 vcc_lo, exec_lo, s26
	s_cbranch_vccnz .LBB8_544
.LBB8_296:
	s_waitcnt vmcnt(0)
	v_cvt_f32_f64_e32 v1, v[6:7]
	s_mov_b32 s0, exec_lo
	v_cmpx_nlg_f32_e64 0x7f800000, |v1|
	s_cbranch_execz .LBB8_298
; %bb.297:
	v_mov_b32_e32 v1, 0
	v_mov_b32_e32 v2, 1.0
	global_store_dword v1, v2, s[12:13]
.LBB8_298:
	s_or_b32 exec_lo, exec_lo, s0
	v_mov_b32_e32 v1, 0
	s_and_b32 s26, s34, 0xff
	s_cmp_lt_i32 s26, 11
	global_load_dword v4, v1, s[14:15]
	s_waitcnt vmcnt(0)
	v_cvt_f64_f32_e32 v[1:2], v4
	v_cmp_eq_f32_e32 vcc_lo, 1.0, v4
	v_add_co_u32 v4, s0, s8, v0
	v_add_co_ci_u32_e64 v5, null, s9, 0, s0
	v_mul_f64 v[2:3], v[6:7], v[1:2]
	v_cndmask_b32_e32 v1, v3, v7, vcc_lo
	v_cndmask_b32_e32 v0, v2, v6, vcc_lo
	s_cbranch_scc1 .LBB8_306
; %bb.299:
	s_and_b32 s27, 0xffff, s26
	s_cmp_gt_i32 s27, 25
	s_cbranch_scc0 .LBB8_308
; %bb.300:
	s_cmp_gt_i32 s27, 28
	s_cbranch_scc0 .LBB8_310
; %bb.301:
	;; [unrolled: 3-line block ×4, first 2 shown]
	s_mov_b32 s44, 0
	s_mov_b32 s0, -1
	s_cmp_eq_u32 s27, 46
	s_mov_b32 s43, 0
	s_cbranch_scc0 .LBB8_323
; %bb.304:
	v_cvt_f32_f64_e32 v2, v[0:1]
	s_mov_b32 s43, -1
	s_mov_b32 s0, 0
	v_bfe_u32 v3, v2, 16, 1
	v_cmp_o_f32_e32 vcc_lo, v2, v2
	v_add3_u32 v2, v2, v3, 0x7fff
	v_mov_b32_e32 v3, 0x7fc0
	v_cndmask_b32_sdwa v2, v3, v2, vcc_lo dst_sel:DWORD dst_unused:UNUSED_PAD src0_sel:DWORD src1_sel:WORD_1
	global_store_dword v[4:5], v2, off
	s_branch .LBB8_323
.LBB8_305:
	s_mov_b32 s27, -1
	s_mov_b32 s26, 0
	s_mov_b32 s1, s41
                                        ; implicit-def: $vgpr6_vgpr7
	s_branch .LBB8_462
.LBB8_306:
	s_mov_b32 s27, -1
	s_mov_b32 s43, 0
	s_mov_b32 s0, s40
	s_branch .LBB8_392
.LBB8_307:
	s_mov_b32 s27, -1
	s_mov_b32 s26, 0
	s_mov_b32 s1, s41
                                        ; implicit-def: $vgpr6_vgpr7
	s_branch .LBB8_441
.LBB8_308:
	s_mov_b32 s44, -1
	s_mov_b32 s43, 0
	s_mov_b32 s0, s40
	s_branch .LBB8_350
.LBB8_309:
	s_mov_b32 s27, -1
	s_mov_b32 s26, 0
	s_mov_b32 s1, s41
                                        ; implicit-def: $vgpr6_vgpr7
	s_branch .LBB8_436
.LBB8_310:
	s_mov_b32 s44, -1
	s_mov_b32 s43, 0
	s_mov_b32 s0, s40
	s_branch .LBB8_333
.LBB8_311:
	s_andn2_saveexec_b32 s44, s44
	s_cbranch_execz .LBB8_70
.LBB8_312:
	v_add_f32_e64 v3, 0x46000000, |v2|
	s_andn2_b32 s41, s41, exec_lo
	v_and_b32_e32 v3, 0xff, v3
	v_cmp_ne_u32_e32 vcc_lo, 0, v3
	s_and_b32 s45, vcc_lo, exec_lo
	s_or_b32 s41, s41, s45
	s_or_b32 exec_lo, exec_lo, s44
	v_mov_b32_e32 v6, 0
	s_and_saveexec_b32 s44, s41
	s_cbranch_execnz .LBB8_71
	s_branch .LBB8_72
.LBB8_313:
	s_mov_b32 s27, -1
	s_mov_b32 s26, 0
	s_mov_b32 s1, s41
	s_branch .LBB8_318
.LBB8_314:
	s_mov_b32 s44, -1
	s_mov_b32 s43, 0
	s_mov_b32 s0, s40
	s_branch .LBB8_329
.LBB8_315:
	s_andn2_saveexec_b32 s44, s44
	s_cbranch_execz .LBB8_83
.LBB8_316:
	v_add_f32_e64 v3, 0x42800000, |v2|
	s_andn2_b32 s41, s41, exec_lo
	v_and_b32_e32 v3, 0xff, v3
	v_cmp_ne_u32_e32 vcc_lo, 0, v3
	s_and_b32 s45, vcc_lo, exec_lo
	s_or_b32 s41, s41, s45
	s_or_b32 exec_lo, exec_lo, s44
	v_mov_b32_e32 v6, 0
	s_and_saveexec_b32 s44, s41
	s_cbranch_execnz .LBB8_84
	s_branch .LBB8_85
.LBB8_317:
	s_mov_b32 s1, -1
	s_mov_b32 s26, 0
.LBB8_318:
                                        ; implicit-def: $vgpr6_vgpr7
.LBB8_319:
	s_and_b32 vcc_lo, exec_lo, s27
	s_cbranch_vccz .LBB8_435
; %bb.320:
	s_cmp_eq_u32 s0, 44
	s_cbranch_scc0 .LBB8_434
; %bb.321:
	global_load_ubyte v5, v[1:2], off
	s_mov_b32 s1, 0
	s_mov_b32 s26, -1
	s_waitcnt vmcnt(0)
	v_lshlrev_b32_e32 v3, 23, v5
	v_cmp_ne_u32_e32 vcc_lo, 0xff, v5
	v_cvt_f64_f32_e32 v[3:4], v3
	v_cndmask_b32_e32 v3, 0x20000000, v3, vcc_lo
	v_cndmask_b32_e32 v4, 0x7ff80000, v4, vcc_lo
	v_cmp_ne_u32_e32 vcc_lo, 0, v5
	v_cndmask_b32_e32 v7, 0x38000000, v4, vcc_lo
	v_cndmask_b32_e32 v6, 0, v3, vcc_lo
	s_branch .LBB8_435
.LBB8_322:
	s_mov_b32 s44, -1
	s_mov_b32 s43, 0
	s_mov_b32 s0, s40
.LBB8_323:
	s_and_b32 vcc_lo, exec_lo, s44
	s_cbranch_vccz .LBB8_328
; %bb.324:
	s_cmp_eq_u32 s27, 44
	s_mov_b32 s0, -1
	s_cbranch_scc0 .LBB8_328
; %bb.325:
	v_cvt_f32_f64_e32 v2, v[0:1]
	v_mov_b32_e32 v3, 0xff
	s_mov_b32 s43, exec_lo
	v_bfe_u32 v6, v2, 23, 8
	v_cmpx_ne_u32_e32 0xff, v6
	s_cbranch_execz .LBB8_327
; %bb.326:
	v_and_b32_e32 v3, 0x400000, v2
	v_and_or_b32 v6, 0x3fffff, v2, v6
	v_lshrrev_b32_e32 v2, 23, v2
	v_cmp_ne_u32_e32 vcc_lo, 0, v3
	v_cmp_ne_u32_e64 s0, 0, v6
	s_and_b32 s0, vcc_lo, s0
	v_cndmask_b32_e64 v3, 0, 1, s0
	v_add_nc_u32_e32 v3, v2, v3
.LBB8_327:
	s_or_b32 exec_lo, exec_lo, s43
	s_mov_b32 s43, -1
	s_mov_b32 s0, 0
	global_store_byte v[4:5], v3, off
.LBB8_328:
	s_mov_b32 s44, 0
.LBB8_329:
	s_and_b32 vcc_lo, exec_lo, s44
	s_cbranch_vccz .LBB8_332
; %bb.330:
	s_cmp_eq_u32 s27, 29
	s_mov_b32 s0, -1
	s_cbranch_scc0 .LBB8_332
; %bb.331:
	v_trunc_f64_e32 v[2:3], v[0:1]
	s_mov_b32 s43, -1
	s_mov_b32 s0, 0
	s_mov_b32 s44, 0
	v_ldexp_f64 v[6:7], v[2:3], 0xffffffe0
	v_floor_f64_e32 v[6:7], v[6:7]
	v_fma_f64 v[2:3], 0xc1f00000, v[6:7], v[2:3]
	v_cvt_u32_f64_e32 v7, v[6:7]
	v_cvt_u32_f64_e32 v6, v[2:3]
	global_store_dwordx2 v[4:5], v[6:7], off
	s_branch .LBB8_333
.LBB8_332:
	s_mov_b32 s44, 0
.LBB8_333:
	s_and_b32 vcc_lo, exec_lo, s44
	s_cbranch_vccz .LBB8_349
; %bb.334:
	s_cmp_lt_i32 s27, 27
	s_mov_b32 s43, -1
	s_cbranch_scc1 .LBB8_340
; %bb.335:
	v_cvt_u32_f64_e32 v2, v[0:1]
	s_cmp_gt_i32 s27, 27
	s_cbranch_scc0 .LBB8_337
; %bb.336:
	s_mov_b32 s43, 0
	global_store_dword v[4:5], v2, off
.LBB8_337:
	s_andn2_b32 vcc_lo, exec_lo, s43
	s_cbranch_vccnz .LBB8_339
; %bb.338:
	global_store_short v[4:5], v2, off
.LBB8_339:
	s_mov_b32 s43, 0
.LBB8_340:
	s_andn2_b32 vcc_lo, exec_lo, s43
	s_cbranch_vccnz .LBB8_348
; %bb.341:
	v_cvt_f32_f64_e32 v2, v[0:1]
	v_mov_b32_e32 v6, 0x80
	s_mov_b32 s43, exec_lo
	v_and_b32_e32 v3, 0x7fffffff, v2
	v_cmpx_gt_u32_e32 0x43800000, v3
	s_cbranch_execz .LBB8_347
; %bb.342:
	v_cmp_lt_u32_e32 vcc_lo, 0x3bffffff, v3
	s_mov_b32 s44, 0
                                        ; implicit-def: $vgpr3
	s_and_saveexec_b32 s46, vcc_lo
	s_xor_b32 s46, exec_lo, s46
	s_cbranch_execz .LBB8_575
; %bb.343:
	v_bfe_u32 v3, v2, 20, 1
	s_mov_b32 s44, exec_lo
	v_add3_u32 v3, v2, v3, 0x487ffff
	v_lshrrev_b32_e32 v3, 20, v3
	s_andn2_saveexec_b32 s46, s46
	s_cbranch_execnz .LBB8_576
.LBB8_344:
	s_or_b32 exec_lo, exec_lo, s46
	v_mov_b32_e32 v6, 0
	s_and_saveexec_b32 s46, s44
.LBB8_345:
	v_lshrrev_b32_e32 v2, 24, v2
	v_and_or_b32 v6, 0x80, v2, v3
.LBB8_346:
	s_or_b32 exec_lo, exec_lo, s46
.LBB8_347:
	s_or_b32 exec_lo, exec_lo, s43
	global_store_byte v[4:5], v6, off
.LBB8_348:
	s_mov_b32 s43, -1
.LBB8_349:
	s_mov_b32 s44, 0
.LBB8_350:
	s_and_b32 vcc_lo, exec_lo, s44
	s_cbranch_vccz .LBB8_391
; %bb.351:
	s_cmp_gt_i32 s27, 22
	s_mov_b32 s44, -1
	s_cbranch_scc0 .LBB8_383
; %bb.352:
	s_cmp_lt_i32 s27, 24
	s_mov_b32 s43, -1
	s_cbranch_scc1 .LBB8_372
; %bb.353:
	s_cmp_gt_i32 s27, 24
	s_cbranch_scc0 .LBB8_361
; %bb.354:
	v_cvt_f32_f64_e32 v2, v[0:1]
	v_mov_b32_e32 v6, 0x80
	s_mov_b32 s43, exec_lo
	v_and_b32_e32 v3, 0x7fffffff, v2
	v_cmpx_gt_u32_e32 0x47800000, v3
	s_cbranch_execz .LBB8_360
; %bb.355:
	v_cmp_lt_u32_e32 vcc_lo, 0x37ffffff, v3
	s_mov_b32 s44, 0
                                        ; implicit-def: $vgpr3
	s_and_saveexec_b32 s46, vcc_lo
	s_xor_b32 s46, exec_lo, s46
	s_cbranch_execz .LBB8_578
; %bb.356:
	v_bfe_u32 v3, v2, 21, 1
	s_mov_b32 s44, exec_lo
	v_add3_u32 v3, v2, v3, 0x88fffff
	v_lshrrev_b32_e32 v3, 21, v3
	s_andn2_saveexec_b32 s46, s46
	s_cbranch_execnz .LBB8_579
.LBB8_357:
	s_or_b32 exec_lo, exec_lo, s46
	v_mov_b32_e32 v6, 0
	s_and_saveexec_b32 s46, s44
.LBB8_358:
	v_lshrrev_b32_e32 v2, 24, v2
	v_and_or_b32 v6, 0x80, v2, v3
.LBB8_359:
	s_or_b32 exec_lo, exec_lo, s46
.LBB8_360:
	s_or_b32 exec_lo, exec_lo, s43
	s_mov_b32 s43, 0
	global_store_byte v[4:5], v6, off
.LBB8_361:
	s_and_b32 vcc_lo, exec_lo, s43
	s_cbranch_vccz .LBB8_371
; %bb.362:
	v_cvt_f32_f64_e32 v2, v[0:1]
	s_mov_b32 s43, exec_lo
                                        ; implicit-def: $vgpr3
	v_and_b32_e32 v6, 0x7fffffff, v2
	v_cmpx_gt_u32_e32 0x43f00000, v6
	s_xor_b32 s43, exec_lo, s43
	s_cbranch_execz .LBB8_368
; %bb.363:
	s_mov_b32 s44, exec_lo
                                        ; implicit-def: $vgpr3
	v_cmpx_lt_u32_e32 0x3c7fffff, v6
	s_xor_b32 s44, exec_lo, s44
; %bb.364:
	v_bfe_u32 v3, v2, 20, 1
	v_add3_u32 v3, v2, v3, 0x407ffff
	v_and_b32_e32 v6, 0xff00000, v3
	v_lshrrev_b32_e32 v3, 20, v3
	v_cmp_ne_u32_e32 vcc_lo, 0x7f00000, v6
	v_cndmask_b32_e32 v3, 0x7e, v3, vcc_lo
; %bb.365:
	s_andn2_saveexec_b32 s44, s44
; %bb.366:
	v_add_f32_e64 v3, 0x46800000, |v2|
; %bb.367:
	s_or_b32 exec_lo, exec_lo, s44
                                        ; implicit-def: $vgpr6
.LBB8_368:
	s_andn2_saveexec_b32 s43, s43
; %bb.369:
	v_mov_b32_e32 v3, 0x7f
	v_cmp_lt_u32_e32 vcc_lo, 0x7f800000, v6
	v_cndmask_b32_e32 v3, 0x7e, v3, vcc_lo
; %bb.370:
	s_or_b32 exec_lo, exec_lo, s43
	v_lshrrev_b32_e32 v2, 24, v2
	v_and_or_b32 v2, 0x80, v2, v3
	global_store_byte v[4:5], v2, off
.LBB8_371:
	s_mov_b32 s43, 0
.LBB8_372:
	s_andn2_b32 vcc_lo, exec_lo, s43
	s_cbranch_vccnz .LBB8_382
; %bb.373:
	v_cvt_f32_f64_e32 v2, v[0:1]
	s_mov_b32 s43, exec_lo
                                        ; implicit-def: $vgpr3
	v_and_b32_e32 v6, 0x7fffffff, v2
	v_cmpx_gt_u32_e32 0x47800000, v6
	s_xor_b32 s43, exec_lo, s43
	s_cbranch_execz .LBB8_379
; %bb.374:
	s_mov_b32 s44, exec_lo
                                        ; implicit-def: $vgpr3
	v_cmpx_lt_u32_e32 0x387fffff, v6
	s_xor_b32 s44, exec_lo, s44
; %bb.375:
	v_bfe_u32 v3, v2, 21, 1
	v_add3_u32 v3, v2, v3, 0x80fffff
	v_lshrrev_b32_e32 v3, 21, v3
; %bb.376:
	s_andn2_saveexec_b32 s44, s44
; %bb.377:
	v_add_f32_e64 v3, 0x43000000, |v2|
; %bb.378:
	s_or_b32 exec_lo, exec_lo, s44
                                        ; implicit-def: $vgpr6
.LBB8_379:
	s_andn2_saveexec_b32 s43, s43
; %bb.380:
	v_mov_b32_e32 v3, 0x7f
	v_cmp_lt_u32_e32 vcc_lo, 0x7f800000, v6
	v_cndmask_b32_e32 v3, 0x7c, v3, vcc_lo
; %bb.381:
	s_or_b32 exec_lo, exec_lo, s43
	v_lshrrev_b32_e32 v2, 24, v2
	v_and_or_b32 v2, 0x80, v2, v3
	global_store_byte v[4:5], v2, off
.LBB8_382:
	s_mov_b32 s44, 0
	s_mov_b32 s43, -1
.LBB8_383:
	s_andn2_b32 vcc_lo, exec_lo, s44
	s_cbranch_vccnz .LBB8_391
; %bb.384:
	s_cmp_gt_i32 s27, 14
	s_mov_b32 s44, -1
	s_cbranch_scc0 .LBB8_388
; %bb.385:
	s_cmp_eq_u32 s27, 15
	s_mov_b32 s0, -1
	s_cbranch_scc0 .LBB8_387
; %bb.386:
	v_cvt_f32_f64_e32 v2, v[0:1]
	s_mov_b32 s43, -1
	s_mov_b32 s0, 0
	v_bfe_u32 v3, v2, 16, 1
	v_cmp_o_f32_e32 vcc_lo, v2, v2
	v_add3_u32 v2, v2, v3, 0x7fff
	v_mov_b32_e32 v3, 0x7fc0
	v_cndmask_b32_sdwa v2, v3, v2, vcc_lo dst_sel:DWORD dst_unused:UNUSED_PAD src0_sel:DWORD src1_sel:WORD_1
	global_store_short v[4:5], v2, off
.LBB8_387:
	s_mov_b32 s44, 0
.LBB8_388:
	s_and_b32 vcc_lo, exec_lo, s44
	s_cbranch_vccz .LBB8_391
; %bb.389:
	s_cmp_eq_u32 s27, 11
	s_mov_b32 s0, -1
	s_cbranch_scc0 .LBB8_391
; %bb.390:
	v_cmp_neq_f64_e32 vcc_lo, 0, v[0:1]
	s_mov_b32 s43, -1
	s_mov_b32 s0, 0
	v_cndmask_b32_e64 v2, 0, 1, vcc_lo
	global_store_byte v[4:5], v2, off
.LBB8_391:
	s_mov_b32 s27, 0
.LBB8_392:
	s_and_b32 vcc_lo, exec_lo, s27
	s_cbranch_vccz .LBB8_431
; %bb.393:
	s_and_b32 s26, 0xffff, s26
	s_mov_b32 s27, -1
	s_cmp_lt_i32 s26, 5
	s_cbranch_scc1 .LBB8_414
; %bb.394:
	s_cmp_lt_i32 s26, 8
	s_cbranch_scc1 .LBB8_404
; %bb.395:
	;; [unrolled: 3-line block ×3, first 2 shown]
	s_cmp_gt_i32 s26, 9
	s_cbranch_scc0 .LBB8_398
; %bb.397:
	v_mov_b32_e32 v2, 0
	s_mov_b32 s27, 0
	v_mov_b32_e32 v3, v2
	global_store_dwordx4 v[4:5], v[0:3], off
.LBB8_398:
	s_andn2_b32 vcc_lo, exec_lo, s27
	s_cbranch_vccnz .LBB8_400
; %bb.399:
	v_cvt_f32_f64_e32 v2, v[0:1]
	v_mov_b32_e32 v3, 0
	global_store_dwordx2 v[4:5], v[2:3], off
.LBB8_400:
	s_mov_b32 s27, 0
.LBB8_401:
	s_andn2_b32 vcc_lo, exec_lo, s27
	s_cbranch_vccnz .LBB8_403
; %bb.402:
	v_and_or_b32 v2, 0x1ff, v1, v0
	v_lshrrev_b32_e32 v3, 8, v1
	v_bfe_u32 v6, v1, 20, 11
	v_cmp_ne_u32_e32 vcc_lo, 0, v2
	v_sub_nc_u32_e32 v7, 0x3f1, v6
	v_add_nc_u32_e32 v6, 0xfffffc10, v6
	v_cndmask_b32_e64 v2, 0, 1, vcc_lo
	v_and_or_b32 v2, 0xffe, v3, v2
	v_med3_i32 v3, v7, 0, 13
	v_or_b32_e32 v7, 0x1000, v2
	v_lshrrev_b32_e32 v8, v3, v7
	v_lshlrev_b32_e32 v3, v3, v8
	v_cmp_ne_u32_e32 vcc_lo, v3, v7
	v_lshl_or_b32 v7, v6, 12, v2
	v_cndmask_b32_e64 v3, 0, 1, vcc_lo
	v_cmp_gt_i32_e32 vcc_lo, 1, v6
	v_or_b32_e32 v3, v8, v3
	v_cndmask_b32_e32 v3, v7, v3, vcc_lo
	v_and_b32_e32 v7, 7, v3
	v_lshrrev_b32_e32 v3, 2, v3
	v_cmp_lt_i32_e32 vcc_lo, 5, v7
	v_cndmask_b32_e64 v8, 0, 1, vcc_lo
	v_cmp_eq_u32_e32 vcc_lo, 3, v7
	v_cndmask_b32_e64 v7, 0, 1, vcc_lo
	v_cmp_ne_u32_e32 vcc_lo, 0, v2
	v_or_b32_e32 v7, v7, v8
	v_mov_b32_e32 v8, 0x7e00
	v_add_nc_u32_e32 v3, v3, v7
	v_cndmask_b32_e32 v2, 0x7c00, v8, vcc_lo
	v_cmp_gt_i32_e32 vcc_lo, 31, v6
	v_cndmask_b32_e32 v3, 0x7c00, v3, vcc_lo
	v_cmp_eq_u32_e32 vcc_lo, 0x40f, v6
	v_cndmask_b32_e32 v2, v3, v2, vcc_lo
	v_lshrrev_b32_e32 v3, 16, v1
	v_and_or_b32 v2, 0x8000, v3, v2
	v_and_b32_e32 v2, 0xffff, v2
	global_store_dword v[4:5], v2, off
.LBB8_403:
	s_mov_b32 s27, 0
.LBB8_404:
	s_andn2_b32 vcc_lo, exec_lo, s27
	s_cbranch_vccnz .LBB8_413
; %bb.405:
	s_cmp_lt_i32 s26, 6
	s_mov_b32 s27, -1
	s_cbranch_scc1 .LBB8_411
; %bb.406:
	s_cmp_gt_i32 s26, 6
	s_cbranch_scc0 .LBB8_408
; %bb.407:
	s_mov_b32 s27, 0
	global_store_dwordx2 v[4:5], v[0:1], off
.LBB8_408:
	s_andn2_b32 vcc_lo, exec_lo, s27
	s_cbranch_vccnz .LBB8_410
; %bb.409:
	v_cvt_f32_f64_e32 v2, v[0:1]
	global_store_dword v[4:5], v2, off
.LBB8_410:
	s_mov_b32 s27, 0
.LBB8_411:
	s_andn2_b32 vcc_lo, exec_lo, s27
	s_cbranch_vccnz .LBB8_413
; %bb.412:
	v_and_or_b32 v2, 0x1ff, v1, v0
	v_lshrrev_b32_e32 v3, 8, v1
	v_bfe_u32 v6, v1, 20, 11
	v_cmp_ne_u32_e32 vcc_lo, 0, v2
	v_sub_nc_u32_e32 v7, 0x3f1, v6
	v_add_nc_u32_e32 v6, 0xfffffc10, v6
	v_cndmask_b32_e64 v2, 0, 1, vcc_lo
	v_and_or_b32 v2, 0xffe, v3, v2
	v_med3_i32 v3, v7, 0, 13
	v_or_b32_e32 v7, 0x1000, v2
	v_lshrrev_b32_e32 v8, v3, v7
	v_lshlrev_b32_e32 v3, v3, v8
	v_cmp_ne_u32_e32 vcc_lo, v3, v7
	v_lshl_or_b32 v7, v6, 12, v2
	v_cndmask_b32_e64 v3, 0, 1, vcc_lo
	v_cmp_gt_i32_e32 vcc_lo, 1, v6
	v_or_b32_e32 v3, v8, v3
	v_cndmask_b32_e32 v3, v7, v3, vcc_lo
	v_and_b32_e32 v7, 7, v3
	v_lshrrev_b32_e32 v3, 2, v3
	v_cmp_lt_i32_e32 vcc_lo, 5, v7
	v_cndmask_b32_e64 v8, 0, 1, vcc_lo
	v_cmp_eq_u32_e32 vcc_lo, 3, v7
	v_cndmask_b32_e64 v7, 0, 1, vcc_lo
	v_cmp_ne_u32_e32 vcc_lo, 0, v2
	v_or_b32_e32 v7, v7, v8
	v_mov_b32_e32 v8, 0x7e00
	v_add_nc_u32_e32 v3, v3, v7
	v_cndmask_b32_e32 v2, 0x7c00, v8, vcc_lo
	v_cmp_gt_i32_e32 vcc_lo, 31, v6
	v_cndmask_b32_e32 v3, 0x7c00, v3, vcc_lo
	v_cmp_eq_u32_e32 vcc_lo, 0x40f, v6
	v_cndmask_b32_e32 v2, v3, v2, vcc_lo
	v_lshrrev_b32_e32 v3, 16, v1
	v_and_or_b32 v2, 0x8000, v3, v2
	global_store_short v[4:5], v2, off
.LBB8_413:
	s_mov_b32 s27, 0
.LBB8_414:
	s_andn2_b32 vcc_lo, exec_lo, s27
	s_cbranch_vccnz .LBB8_430
; %bb.415:
	s_cmp_lt_i32 s26, 2
	s_mov_b32 s27, -1
	s_cbranch_scc1 .LBB8_425
; %bb.416:
	s_cmp_lt_i32 s26, 3
	s_cbranch_scc1 .LBB8_422
; %bb.417:
	s_cmp_gt_i32 s26, 3
	s_cbranch_scc0 .LBB8_419
; %bb.418:
	v_trunc_f64_e32 v[2:3], v[0:1]
	s_mov_b32 s27, 0
	v_ldexp_f64 v[6:7], v[2:3], 0xffffffe0
	v_floor_f64_e32 v[6:7], v[6:7]
	v_fma_f64 v[2:3], 0xc1f00000, v[6:7], v[2:3]
	v_cvt_i32_f64_e32 v7, v[6:7]
	v_cvt_u32_f64_e32 v6, v[2:3]
	global_store_dwordx2 v[4:5], v[6:7], off
.LBB8_419:
	s_andn2_b32 vcc_lo, exec_lo, s27
	s_cbranch_vccnz .LBB8_421
; %bb.420:
	v_cvt_i32_f64_e32 v2, v[0:1]
	global_store_dword v[4:5], v2, off
.LBB8_421:
	s_mov_b32 s27, 0
.LBB8_422:
	s_andn2_b32 vcc_lo, exec_lo, s27
	s_cbranch_vccnz .LBB8_424
; %bb.423:
	v_cvt_i32_f64_e32 v2, v[0:1]
	global_store_short v[4:5], v2, off
.LBB8_424:
	s_mov_b32 s27, 0
.LBB8_425:
	s_andn2_b32 vcc_lo, exec_lo, s27
	s_cbranch_vccnz .LBB8_430
; %bb.426:
	s_cmp_gt_i32 s26, 0
	s_mov_b32 s26, -1
	s_cbranch_scc0 .LBB8_428
; %bb.427:
	v_cvt_i32_f64_e32 v2, v[0:1]
	s_mov_b32 s26, 0
	global_store_byte v[4:5], v2, off
.LBB8_428:
	s_andn2_b32 vcc_lo, exec_lo, s26
	s_cbranch_vccnz .LBB8_430
; %bb.429:
	v_trunc_f64_e32 v[0:1], v[0:1]
	v_ldexp_f64 v[2:3], v[0:1], 0xffffffe0
	v_floor_f64_e32 v[2:3], v[2:3]
	v_fma_f64 v[0:1], 0xc1f00000, v[2:3], v[0:1]
	v_cvt_u32_f64_e32 v0, v[0:1]
	global_store_byte v[4:5], v0, off
.LBB8_430:
	s_mov_b32 s43, -1
.LBB8_431:
	s_andn2_b32 vcc_lo, exec_lo, s43
	s_cbranch_vccnz .LBB8_433
; %bb.432:
	v_add_nc_u32_e32 v10, 0x80, v10
	s_mov_b32 s26, -1
	s_branch .LBB8_546
.LBB8_433:
	s_mov_b32 s26, 0
	s_branch .LBB8_545
.LBB8_434:
	s_mov_b32 s1, -1
                                        ; implicit-def: $vgpr6_vgpr7
.LBB8_435:
	s_mov_b32 s27, 0
.LBB8_436:
	s_and_b32 vcc_lo, exec_lo, s27
	s_cbranch_vccz .LBB8_440
; %bb.437:
	s_cmp_eq_u32 s0, 29
	s_cbranch_scc0 .LBB8_439
; %bb.438:
	global_load_dwordx2 v[3:4], v[1:2], off
	s_mov_b32 s26, -1
	s_mov_b32 s1, 0
	s_mov_b32 s27, 0
	s_waitcnt vmcnt(0)
	v_cvt_f64_u32_e32 v[4:5], v4
	v_cvt_f64_u32_e32 v[6:7], v3
	v_ldexp_f64 v[4:5], v[4:5], 32
	v_add_f64 v[6:7], v[4:5], v[6:7]
	s_branch .LBB8_441
.LBB8_439:
	s_mov_b32 s1, -1
                                        ; implicit-def: $vgpr6_vgpr7
.LBB8_440:
	s_mov_b32 s27, 0
.LBB8_441:
	s_and_b32 vcc_lo, exec_lo, s27
	s_cbranch_vccz .LBB8_461
; %bb.442:
	s_cmp_lt_i32 s0, 27
	s_cbranch_scc1 .LBB8_445
; %bb.443:
	s_cmp_gt_i32 s0, 27
	s_cbranch_scc0 .LBB8_446
; %bb.444:
	global_load_dword v3, v[1:2], off
	s_mov_b32 s26, 0
	s_waitcnt vmcnt(0)
	v_cvt_f64_u32_e32 v[6:7], v3
	s_branch .LBB8_447
.LBB8_445:
	s_mov_b32 s26, -1
                                        ; implicit-def: $vgpr6_vgpr7
	s_branch .LBB8_450
.LBB8_446:
	s_mov_b32 s26, -1
                                        ; implicit-def: $vgpr6_vgpr7
.LBB8_447:
	s_andn2_b32 vcc_lo, exec_lo, s26
	s_cbranch_vccnz .LBB8_449
; %bb.448:
	global_load_ushort v3, v[1:2], off
	s_waitcnt vmcnt(0)
	v_cvt_f64_u32_e32 v[6:7], v3
.LBB8_449:
	s_mov_b32 s26, 0
.LBB8_450:
	s_andn2_b32 vcc_lo, exec_lo, s26
	s_cbranch_vccnz .LBB8_460
; %bb.451:
	global_load_ubyte v3, v[1:2], off
	s_mov_b32 s26, 0
	s_mov_b32 s27, exec_lo
	s_waitcnt vmcnt(0)
	v_cmpx_lt_i16_e32 0x7f, v3
	s_xor_b32 s27, exec_lo, s27
	s_cbranch_execz .LBB8_455
; %bb.452:
	s_mov_b32 s26, -1
	s_mov_b32 s43, exec_lo
	v_cmpx_eq_u16_e32 0x80, v3
; %bb.453:
	s_xor_b32 s26, exec_lo, -1
; %bb.454:
	s_or_b32 exec_lo, exec_lo, s43
	s_and_b32 s26, s26, exec_lo
.LBB8_455:
	s_or_saveexec_b32 s27, s27
	v_bfrev_b32_e32 v6, 4
	v_mov_b32_e32 v7, 0x7ff80000
	s_xor_b32 exec_lo, exec_lo, s27
; %bb.456:
	v_cmp_ne_u16_e32 vcc_lo, 0, v3
	v_mov_b32_e32 v6, 0
	v_mov_b32_e32 v7, 0
	s_andn2_b32 s26, s26, exec_lo
	s_and_b32 s43, vcc_lo, exec_lo
	s_or_b32 s26, s26, s43
; %bb.457:
	s_or_b32 exec_lo, exec_lo, s27
	s_and_saveexec_b32 s27, s26
	s_cbranch_execz .LBB8_459
; %bb.458:
	v_and_b32_e32 v4, 0xffff, v3
	v_lshlrev_b32_e32 v3, 24, v3
	v_and_b32_e32 v5, 7, v4
	v_bfe_u32 v8, v4, 3, 4
	v_and_b32_e32 v3, 0x80000000, v3
	v_ffbh_u32_e32 v6, v5
	v_cmp_eq_u32_e32 vcc_lo, 0, v8
	v_min_u32_e32 v6, 32, v6
	v_subrev_nc_u32_e32 v7, 28, v6
	v_sub_nc_u32_e32 v6, 29, v6
	v_lshlrev_b32_e32 v4, v7, v4
	v_cndmask_b32_e32 v6, v8, v6, vcc_lo
	v_and_b32_e32 v4, 7, v4
	v_cndmask_b32_e32 v4, v5, v4, vcc_lo
	v_lshl_add_u32 v5, v6, 23, 0x3b800000
	v_lshlrev_b32_e32 v4, 20, v4
	v_or3_b32 v3, v3, v5, v4
	v_cvt_f64_f32_e32 v[6:7], v3
.LBB8_459:
	s_or_b32 exec_lo, exec_lo, s27
.LBB8_460:
	s_mov_b32 s26, -1
.LBB8_461:
	s_mov_b32 s27, 0
.LBB8_462:
	s_and_b32 vcc_lo, exec_lo, s27
	s_cbranch_vccz .LBB8_495
; %bb.463:
	s_cmp_gt_i32 s0, 22
	s_cbranch_scc0 .LBB8_475
; %bb.464:
	s_cmp_lt_i32 s0, 24
	s_cbranch_scc1 .LBB8_476
; %bb.465:
	s_cmp_gt_i32 s0, 24
	s_cbranch_scc0 .LBB8_477
; %bb.466:
	global_load_ubyte v3, v[1:2], off
	s_mov_b32 s26, 0
	s_mov_b32 s27, exec_lo
	s_waitcnt vmcnt(0)
	v_cmpx_lt_i16_e32 0x7f, v3
	s_xor_b32 s27, exec_lo, s27
	s_cbranch_execz .LBB8_470
; %bb.467:
	s_mov_b32 s26, -1
	s_mov_b32 s43, exec_lo
	v_cmpx_eq_u16_e32 0x80, v3
; %bb.468:
	s_xor_b32 s26, exec_lo, -1
; %bb.469:
	s_or_b32 exec_lo, exec_lo, s43
	s_and_b32 s26, s26, exec_lo
.LBB8_470:
	s_or_saveexec_b32 s27, s27
	v_bfrev_b32_e32 v6, 4
	v_mov_b32_e32 v7, 0x7ff80000
	s_xor_b32 exec_lo, exec_lo, s27
; %bb.471:
	v_cmp_ne_u16_e32 vcc_lo, 0, v3
	v_mov_b32_e32 v6, 0
	v_mov_b32_e32 v7, 0
	s_andn2_b32 s26, s26, exec_lo
	s_and_b32 s43, vcc_lo, exec_lo
	s_or_b32 s26, s26, s43
; %bb.472:
	s_or_b32 exec_lo, exec_lo, s27
	s_and_saveexec_b32 s27, s26
	s_cbranch_execz .LBB8_474
; %bb.473:
	v_and_b32_e32 v4, 0xffff, v3
	v_lshlrev_b32_e32 v3, 24, v3
	v_and_b32_e32 v5, 3, v4
	v_bfe_u32 v8, v4, 2, 5
	v_and_b32_e32 v3, 0x80000000, v3
	v_ffbh_u32_e32 v6, v5
	v_cmp_eq_u32_e32 vcc_lo, 0, v8
	v_min_u32_e32 v6, 32, v6
	v_subrev_nc_u32_e32 v7, 29, v6
	v_sub_nc_u32_e32 v6, 30, v6
	v_lshlrev_b32_e32 v4, v7, v4
	v_cndmask_b32_e32 v6, v8, v6, vcc_lo
	v_and_b32_e32 v4, 3, v4
	v_cndmask_b32_e32 v4, v5, v4, vcc_lo
	v_lshl_add_u32 v5, v6, 23, 0x37800000
	v_lshlrev_b32_e32 v4, 21, v4
	v_or3_b32 v3, v3, v5, v4
	v_cvt_f64_f32_e32 v[6:7], v3
.LBB8_474:
	s_or_b32 exec_lo, exec_lo, s27
	s_mov_b32 s26, 0
	s_branch .LBB8_478
.LBB8_475:
	s_mov_b32 s27, -1
                                        ; implicit-def: $vgpr6_vgpr7
	s_branch .LBB8_484
.LBB8_476:
	s_mov_b32 s26, -1
                                        ; implicit-def: $vgpr6_vgpr7
	s_branch .LBB8_481
.LBB8_477:
	s_mov_b32 s26, -1
                                        ; implicit-def: $vgpr6_vgpr7
.LBB8_478:
	s_and_b32 vcc_lo, exec_lo, s26
	s_cbranch_vccz .LBB8_480
; %bb.479:
	global_load_ubyte v3, v[1:2], off
	s_waitcnt vmcnt(0)
	v_lshlrev_b32_e32 v3, 24, v3
	v_and_b32_e32 v4, 0x7f000000, v3
	v_ffbh_u32_e32 v5, v4
	v_add_nc_u32_e32 v7, 0x1000000, v4
	v_cmp_ne_u32_e32 vcc_lo, 0, v4
	v_min_u32_e32 v5, 32, v5
	v_sub_nc_u32_e64 v5, v5, 4 clamp
	v_lshlrev_b32_e32 v6, v5, v4
	v_lshlrev_b32_e32 v5, 23, v5
	v_lshrrev_b32_e32 v6, 4, v6
	v_sub_nc_u32_e32 v5, v6, v5
	v_ashrrev_i32_e32 v6, 8, v7
	v_add_nc_u32_e32 v5, 0x3c000000, v5
	v_and_or_b32 v5, 0x7f800000, v6, v5
	v_cndmask_b32_e32 v4, 0, v5, vcc_lo
	v_and_or_b32 v3, 0x80000000, v3, v4
	v_cvt_f64_f32_e32 v[6:7], v3
.LBB8_480:
	s_mov_b32 s26, 0
.LBB8_481:
	s_andn2_b32 vcc_lo, exec_lo, s26
	s_cbranch_vccnz .LBB8_483
; %bb.482:
	global_load_ubyte v3, v[1:2], off
	s_waitcnt vmcnt(0)
	v_lshlrev_b32_e32 v4, 25, v3
	v_lshlrev_b16 v3, 8, v3
	v_lshrrev_b32_e32 v5, 4, v4
	v_and_or_b32 v6, 0x7f00, v3, 0.5
	v_cmp_gt_u32_e32 vcc_lo, 0x8000000, v4
	v_bfe_i32 v3, v3, 0, 16
	v_or_b32_e32 v5, 0x70000000, v5
	v_add_f32_e32 v6, -0.5, v6
	v_mul_f32_e32 v5, 0x7800000, v5
	v_cndmask_b32_e32 v4, v5, v6, vcc_lo
	v_and_or_b32 v3, 0x80000000, v3, v4
	v_cvt_f64_f32_e32 v[6:7], v3
.LBB8_483:
	s_mov_b32 s27, 0
	s_mov_b32 s26, -1
.LBB8_484:
	s_andn2_b32 vcc_lo, exec_lo, s27
	s_cbranch_vccnz .LBB8_495
; %bb.485:
	s_cmp_gt_i32 s0, 14
	s_cbranch_scc0 .LBB8_488
; %bb.486:
	s_cmp_eq_u32 s0, 15
	s_cbranch_scc0 .LBB8_489
; %bb.487:
	global_load_ushort v3, v[1:2], off
	s_mov_b32 s26, -1
	s_mov_b32 s1, 0
	s_waitcnt vmcnt(0)
	v_lshlrev_b32_e32 v3, 16, v3
	v_cvt_f64_f32_e32 v[6:7], v3
	s_branch .LBB8_490
.LBB8_488:
	s_mov_b32 s27, -1
                                        ; implicit-def: $vgpr6_vgpr7
	s_branch .LBB8_491
.LBB8_489:
	s_mov_b32 s1, -1
                                        ; implicit-def: $vgpr6_vgpr7
.LBB8_490:
	s_mov_b32 s27, 0
.LBB8_491:
	s_and_b32 vcc_lo, exec_lo, s27
	s_cbranch_vccz .LBB8_495
; %bb.492:
	s_cmp_eq_u32 s0, 11
	s_cbranch_scc0 .LBB8_494
; %bb.493:
	global_load_ubyte v3, v[1:2], off
	s_waitcnt vmcnt(1)
	v_mov_b32_e32 v6, 0
	s_mov_b32 s1, 0
	s_mov_b32 s26, -1
	s_waitcnt vmcnt(0)
	v_cmp_ne_u16_e32 vcc_lo, 0, v3
	v_cndmask_b32_e64 v7, 0, 0x3ff00000, vcc_lo
	s_branch .LBB8_495
.LBB8_494:
	s_mov_b32 s1, -1
                                        ; implicit-def: $vgpr6_vgpr7
.LBB8_495:
	s_branch .LBB8_295
.LBB8_496:
	s_cmp_lt_i32 s0, 5
	s_cbranch_scc1 .LBB8_501
; %bb.497:
	s_cmp_lt_i32 s0, 8
	s_cbranch_scc1 .LBB8_502
; %bb.498:
	;; [unrolled: 3-line block ×3, first 2 shown]
	s_cmp_gt_i32 s0, 9
	s_cbranch_scc0 .LBB8_504
; %bb.500:
	global_load_dwordx2 v[6:7], v[1:2], off
	s_mov_b32 s26, 0
	s_branch .LBB8_505
.LBB8_501:
	s_mov_b32 s26, -1
                                        ; implicit-def: $vgpr6_vgpr7
	s_branch .LBB8_523
.LBB8_502:
	s_mov_b32 s26, -1
                                        ; implicit-def: $vgpr6_vgpr7
	s_branch .LBB8_511
.LBB8_503:
	s_mov_b32 s26, -1
                                        ; implicit-def: $vgpr6_vgpr7
	s_branch .LBB8_508
.LBB8_504:
	s_mov_b32 s26, -1
                                        ; implicit-def: $vgpr6_vgpr7
.LBB8_505:
	s_andn2_b32 vcc_lo, exec_lo, s26
	s_cbranch_vccnz .LBB8_507
; %bb.506:
	global_load_dword v3, v[1:2], off
	s_waitcnt vmcnt(0)
	v_cvt_f64_f32_e32 v[6:7], v3
.LBB8_507:
	s_mov_b32 s26, 0
.LBB8_508:
	s_andn2_b32 vcc_lo, exec_lo, s26
	s_cbranch_vccnz .LBB8_510
; %bb.509:
	global_load_dword v3, v[1:2], off
	s_waitcnt vmcnt(0)
	v_cvt_f32_f16_e32 v3, v3
	v_cvt_f64_f32_e32 v[6:7], v3
.LBB8_510:
	s_mov_b32 s26, 0
.LBB8_511:
	s_andn2_b32 vcc_lo, exec_lo, s26
	s_cbranch_vccnz .LBB8_522
; %bb.512:
	s_cmp_lt_i32 s0, 6
	s_cbranch_scc1 .LBB8_515
; %bb.513:
	s_cmp_gt_i32 s0, 6
	s_cbranch_scc0 .LBB8_516
; %bb.514:
	global_load_dwordx2 v[6:7], v[1:2], off
	s_mov_b32 s26, 0
	s_branch .LBB8_517
.LBB8_515:
	s_mov_b32 s26, -1
                                        ; implicit-def: $vgpr6_vgpr7
	s_branch .LBB8_520
.LBB8_516:
	s_mov_b32 s26, -1
                                        ; implicit-def: $vgpr6_vgpr7
.LBB8_517:
	s_andn2_b32 vcc_lo, exec_lo, s26
	s_cbranch_vccnz .LBB8_519
; %bb.518:
	global_load_dword v3, v[1:2], off
	s_waitcnt vmcnt(0)
	v_cvt_f64_f32_e32 v[6:7], v3
.LBB8_519:
	s_mov_b32 s26, 0
.LBB8_520:
	s_andn2_b32 vcc_lo, exec_lo, s26
	s_cbranch_vccnz .LBB8_522
; %bb.521:
	global_load_ushort v3, v[1:2], off
	s_waitcnt vmcnt(0)
	v_cvt_f32_f16_e32 v3, v3
	v_cvt_f64_f32_e32 v[6:7], v3
.LBB8_522:
	s_mov_b32 s26, 0
.LBB8_523:
	s_andn2_b32 vcc_lo, exec_lo, s26
	s_cbranch_vccnz .LBB8_543
; %bb.524:
	s_cmp_lt_i32 s0, 2
	s_cbranch_scc1 .LBB8_528
; %bb.525:
	s_cmp_lt_i32 s0, 3
	s_cbranch_scc1 .LBB8_529
; %bb.526:
	s_cmp_gt_i32 s0, 3
	s_cbranch_scc0 .LBB8_530
; %bb.527:
	global_load_dwordx2 v[3:4], v[1:2], off
	s_mov_b32 s26, 0
	s_waitcnt vmcnt(0)
	v_cvt_f64_i32_e32 v[4:5], v4
	v_cvt_f64_u32_e32 v[6:7], v3
	v_ldexp_f64 v[4:5], v[4:5], 32
	v_add_f64 v[6:7], v[4:5], v[6:7]
	s_branch .LBB8_531
.LBB8_528:
	s_mov_b32 s26, -1
                                        ; implicit-def: $vgpr6_vgpr7
	s_branch .LBB8_537
.LBB8_529:
	s_mov_b32 s26, -1
                                        ; implicit-def: $vgpr6_vgpr7
	s_branch .LBB8_534
.LBB8_530:
	s_mov_b32 s26, -1
                                        ; implicit-def: $vgpr6_vgpr7
.LBB8_531:
	s_andn2_b32 vcc_lo, exec_lo, s26
	s_cbranch_vccnz .LBB8_533
; %bb.532:
	global_load_dword v3, v[1:2], off
	s_waitcnt vmcnt(0)
	v_cvt_f64_i32_e32 v[6:7], v3
.LBB8_533:
	s_mov_b32 s26, 0
.LBB8_534:
	s_andn2_b32 vcc_lo, exec_lo, s26
	s_cbranch_vccnz .LBB8_536
; %bb.535:
	global_load_sshort v3, v[1:2], off
	s_waitcnt vmcnt(0)
	v_cvt_f64_i32_e32 v[6:7], v3
.LBB8_536:
	s_mov_b32 s26, 0
.LBB8_537:
	s_andn2_b32 vcc_lo, exec_lo, s26
	s_cbranch_vccnz .LBB8_543
; %bb.538:
	s_cmp_gt_i32 s0, 0
	s_mov_b32 s0, 0
	s_cbranch_scc0 .LBB8_540
; %bb.539:
	global_load_sbyte v3, v[1:2], off
	s_waitcnt vmcnt(0)
	v_cvt_f64_i32_e32 v[6:7], v3
	s_branch .LBB8_541
.LBB8_540:
	s_mov_b32 s0, -1
                                        ; implicit-def: $vgpr6_vgpr7
.LBB8_541:
	s_andn2_b32 vcc_lo, exec_lo, s0
	s_cbranch_vccnz .LBB8_543
; %bb.542:
	global_load_ubyte v1, v[1:2], off
	s_waitcnt vmcnt(0)
	v_cvt_f64_u32_e32 v[6:7], v1
.LBB8_543:
	s_branch .LBB8_296
.LBB8_544:
	s_mov_b32 s26, 0
	s_mov_b32 s0, s40
.LBB8_545:
                                        ; implicit-def: $vgpr10
.LBB8_546:
	s_andn2_b32 s27, s40, exec_lo
	s_and_b32 s0, s0, exec_lo
	s_andn2_b32 s43, s41, exec_lo
	s_and_b32 s1, s1, exec_lo
	s_or_b32 s44, s27, s0
	s_or_b32 s43, s43, s1
	s_orn2_b32 s0, s26, exec_lo
.LBB8_547:
	s_or_b32 exec_lo, exec_lo, s45
	s_mov_b32 s1, 0
	s_mov_b32 s27, 0
	;; [unrolled: 1-line block ×3, first 2 shown]
                                        ; implicit-def: $vgpr0_vgpr1
                                        ; implicit-def: $vgpr2
                                        ; implicit-def: $vgpr6_vgpr7
	s_and_saveexec_b32 s45, s0
	s_cbranch_execz .LBB8_926
; %bb.548:
	s_mov_b32 s48, -1
	s_mov_b32 s26, s43
	s_mov_b32 s27, s44
	s_mov_b32 s46, exec_lo
	v_cmpx_gt_i32_e64 s37, v10
	s_cbranch_execz .LBB8_825
; %bb.549:
	s_andn2_b32 vcc_lo, exec_lo, s31
	s_cbranch_vccnz .LBB8_554
; %bb.550:
	s_andn2_b32 vcc_lo, exec_lo, s39
	s_cbranch_vccnz .LBB8_555
; %bb.551:
	s_add_i32 s48, s38, 1
	s_cmp_eq_u32 s29, 2
	s_cbranch_scc1 .LBB8_556
; %bb.552:
	v_mov_b32_e32 v2, 0
	v_mov_b32_e32 v0, 0
	;; [unrolled: 1-line block ×3, first 2 shown]
	s_and_b32 s47, s48, 28
	s_mov_b32 s49, 0
	s_mov_b64 s[0:1], s[2:3]
	s_mov_b64 s[26:27], s[24:25]
.LBB8_553:                              ; =>This Inner Loop Header: Depth=1
	s_clause 0x1
	s_load_dwordx8 s[52:59], s[0:1], 0x4
	s_load_dwordx4 s[68:71], s[0:1], 0x24
	s_load_dwordx8 s[60:67], s[26:27], 0x0
	s_add_u32 s0, s0, 48
	s_addc_u32 s1, s1, 0
	s_add_i32 s49, s49, 4
	s_add_u32 s26, s26, 32
	s_addc_u32 s27, s27, 0
	s_cmp_eq_u32 s47, s49
	s_waitcnt lgkmcnt(0)
	v_mul_hi_u32 v3, s53, v1
	v_add_nc_u32_e32 v3, v1, v3
	v_lshrrev_b32_e32 v3, s54, v3
	v_mul_hi_u32 v4, s56, v3
	s_waitcnt vmcnt(0)
	v_mul_lo_u32 v6, v3, s52
	v_add_nc_u32_e32 v4, v3, v4
	v_sub_nc_u32_e32 v1, v1, v6
	v_lshrrev_b32_e32 v4, s57, v4
	v_mul_lo_u32 v6, v1, s60
	v_mul_lo_u32 v8, v1, s61
	v_mul_hi_u32 v5, s59, v4
	v_add_nc_u32_e32 v5, v4, v5
	v_lshrrev_b32_e32 v5, s68, v5
	v_mul_hi_u32 v7, s70, v5
	v_mul_lo_u32 v9, v5, s58
	v_add_nc_u32_e32 v1, v5, v7
	v_mul_lo_u32 v7, v4, s55
	v_sub_nc_u32_e32 v4, v4, v9
	v_lshrrev_b32_e32 v1, s71, v1
	v_mul_lo_u32 v9, v4, s64
	v_mul_lo_u32 v4, v4, s65
	v_sub_nc_u32_e32 v3, v3, v7
	v_mul_lo_u32 v11, v1, s69
	v_mul_lo_u32 v7, v3, s62
	;; [unrolled: 1-line block ×3, first 2 shown]
	v_sub_nc_u32_e32 v5, v5, v11
	v_add3_u32 v0, v6, v0, v7
	v_mul_lo_u32 v11, v5, s66
	v_mul_lo_u32 v5, v5, s67
	v_add3_u32 v2, v8, v2, v3
	v_add3_u32 v0, v9, v0, v11
	;; [unrolled: 1-line block ×3, first 2 shown]
	s_cbranch_scc0 .LBB8_553
	s_branch .LBB8_557
.LBB8_554:
	s_mov_b32 s0, -1
                                        ; implicit-def: $vgpr0
                                        ; implicit-def: $vgpr2
	s_branch .LBB8_561
.LBB8_555:
	v_mov_b32_e32 v0, 0
	v_mov_b32_e32 v2, 0
	s_branch .LBB8_560
.LBB8_556:
	v_mov_b32_e32 v0, 0
	v_mov_b32_e32 v2, 0
	;; [unrolled: 1-line block ×3, first 2 shown]
	s_mov_b32 s47, 0
.LBB8_557:
	s_and_b32 s48, s48, 3
	s_cmp_eq_u32 s48, 0
	s_cbranch_scc1 .LBB8_560
; %bb.558:
	s_lshl_b32 s0, s47, 3
	s_mul_i32 s26, s47, 12
	s_add_u32 s0, s2, s0
	s_addc_u32 s1, s3, 0
	s_add_u32 s0, s0, 0xc4
	s_addc_u32 s1, s1, 0
	;; [unrolled: 2-line block ×3, first 2 shown]
	.p2align	6
.LBB8_559:                              ; =>This Inner Loop Header: Depth=1
	s_clause 0x1
	s_load_dwordx2 s[50:51], s[26:27], 0x4
	s_load_dword s47, s[26:27], 0xc
	s_load_dwordx2 s[52:53], s[0:1], 0x0
	s_add_u32 s26, s26, 12
	s_addc_u32 s27, s27, 0
	s_add_u32 s0, s0, 8
	s_addc_u32 s1, s1, 0
	s_add_i32 s48, s48, -1
	s_cmp_lg_u32 s48, 0
	s_waitcnt lgkmcnt(0)
	v_mul_hi_u32 v3, s51, v1
	v_add_nc_u32_e32 v3, v1, v3
	v_lshrrev_b32_e32 v4, s47, v3
	v_mul_lo_u32 v3, v4, s50
	v_sub_nc_u32_e32 v3, v1, v3
	v_mad_u64_u32 v[0:1], null, v3, s52, v[0:1]
	v_mad_u64_u32 v[2:3], null, v3, s53, v[2:3]
	v_mov_b32_e32 v1, v4
	s_cbranch_scc1 .LBB8_559
.LBB8_560:
	s_mov_b32 s0, 0
.LBB8_561:
	s_andn2_b32 vcc_lo, exec_lo, s0
	s_cbranch_vccnz .LBB8_564
; %bb.562:
	v_mul_hi_u32 v0, s21, v10
	s_andn2_b32 vcc_lo, exec_lo, s36
	v_add_nc_u32_e32 v0, v10, v0
	v_lshrrev_b32_e32 v1, s22, v0
	v_mul_lo_u32 v0, v1, s20
	v_sub_nc_u32_e32 v2, v10, v0
	v_mul_lo_u32 v0, v2, s16
	v_mul_lo_u32 v2, v2, s17
	s_cbranch_vccnz .LBB8_564
; %bb.563:
	v_mul_hi_u32 v3, s6, v1
	v_add_nc_u32_e32 v3, v1, v3
	v_lshrrev_b32_e32 v3, s7, v3
	v_mul_lo_u32 v3, v3, s23
	v_sub_nc_u32_e32 v3, v1, v3
	v_mad_u64_u32 v[0:1], null, v3, s18, v[0:1]
	v_mad_u64_u32 v[2:3], null, v3, s19, v[2:3]
.LBB8_564:
	v_add_co_u32 v1, s0, s10, v2
	v_add_co_ci_u32_e64 v2, null, s11, 0, s0
	s_and_b32 s0, 0xffff, s35
	s_cmp_lt_i32 s0, 11
	s_cbranch_scc1 .LBB8_571
; %bb.565:
	s_cmp_gt_i32 s0, 25
	s_cbranch_scc0 .LBB8_572
; %bb.566:
	s_cmp_gt_i32 s0, 28
	s_cbranch_scc0 .LBB8_573
	;; [unrolled: 3-line block ×4, first 2 shown]
; %bb.569:
	s_cmp_eq_u32 s0, 46
	s_mov_b32 s27, 0
	s_cbranch_scc0 .LBB8_580
; %bb.570:
	global_load_dword v3, v[1:2], off
	s_mov_b32 s26, -1
	s_mov_b32 s1, 0
	s_waitcnt vmcnt(0)
	v_lshlrev_b32_e32 v3, 16, v3
	v_cvt_f64_f32_e32 v[6:7], v3
	s_branch .LBB8_582
.LBB8_571:
	s_mov_b32 s27, -1
	s_mov_b32 s26, 0
	s_mov_b32 s1, s43
                                        ; implicit-def: $vgpr6_vgpr7
	s_branch .LBB8_647
.LBB8_572:
	s_mov_b32 s27, -1
	s_mov_b32 s26, 0
	s_mov_b32 s1, s43
                                        ; implicit-def: $vgpr6_vgpr7
	s_branch .LBB8_613
.LBB8_573:
	s_mov_b32 s27, -1
	s_mov_b32 s26, 0
	s_mov_b32 s1, s43
                                        ; implicit-def: $vgpr6_vgpr7
	s_branch .LBB8_592
.LBB8_574:
	s_mov_b32 s27, -1
	s_mov_b32 s26, 0
	s_mov_b32 s1, s43
                                        ; implicit-def: $vgpr6_vgpr7
	s_branch .LBB8_587
.LBB8_575:
	s_andn2_saveexec_b32 s46, s46
	s_cbranch_execz .LBB8_344
.LBB8_576:
	v_add_f32_e64 v3, 0x46000000, |v2|
	s_andn2_b32 s44, s44, exec_lo
	v_and_b32_e32 v3, 0xff, v3
	v_cmp_ne_u32_e32 vcc_lo, 0, v3
	s_and_b32 s47, vcc_lo, exec_lo
	s_or_b32 s44, s44, s47
	s_or_b32 exec_lo, exec_lo, s46
	v_mov_b32_e32 v6, 0
	s_and_saveexec_b32 s46, s44
	s_cbranch_execnz .LBB8_345
	s_branch .LBB8_346
.LBB8_577:
	s_mov_b32 s27, -1
	s_mov_b32 s26, 0
	s_mov_b32 s1, s43
	s_branch .LBB8_581
.LBB8_578:
	s_andn2_saveexec_b32 s46, s46
	s_cbranch_execz .LBB8_357
.LBB8_579:
	v_add_f32_e64 v3, 0x42800000, |v2|
	s_andn2_b32 s44, s44, exec_lo
	v_and_b32_e32 v3, 0xff, v3
	v_cmp_ne_u32_e32 vcc_lo, 0, v3
	s_and_b32 s47, vcc_lo, exec_lo
	s_or_b32 s44, s44, s47
	s_or_b32 exec_lo, exec_lo, s46
	v_mov_b32_e32 v6, 0
	s_and_saveexec_b32 s46, s44
	s_cbranch_execnz .LBB8_358
	s_branch .LBB8_359
.LBB8_580:
	s_mov_b32 s1, -1
	s_mov_b32 s26, 0
.LBB8_581:
                                        ; implicit-def: $vgpr6_vgpr7
.LBB8_582:
	s_and_b32 vcc_lo, exec_lo, s27
	s_cbranch_vccz .LBB8_586
; %bb.583:
	s_cmp_eq_u32 s0, 44
	s_cbranch_scc0 .LBB8_585
; %bb.584:
	global_load_ubyte v5, v[1:2], off
	s_mov_b32 s1, 0
	s_mov_b32 s26, -1
	s_waitcnt vmcnt(0)
	v_lshlrev_b32_e32 v3, 23, v5
	v_cmp_ne_u32_e32 vcc_lo, 0xff, v5
	v_cvt_f64_f32_e32 v[3:4], v3
	v_cndmask_b32_e32 v3, 0x20000000, v3, vcc_lo
	v_cndmask_b32_e32 v4, 0x7ff80000, v4, vcc_lo
	v_cmp_ne_u32_e32 vcc_lo, 0, v5
	v_cndmask_b32_e32 v7, 0x38000000, v4, vcc_lo
	v_cndmask_b32_e32 v6, 0, v3, vcc_lo
	s_branch .LBB8_586
.LBB8_585:
	s_mov_b32 s1, -1
                                        ; implicit-def: $vgpr6_vgpr7
.LBB8_586:
	s_mov_b32 s27, 0
.LBB8_587:
	s_and_b32 vcc_lo, exec_lo, s27
	s_cbranch_vccz .LBB8_591
; %bb.588:
	s_cmp_eq_u32 s0, 29
	s_cbranch_scc0 .LBB8_590
; %bb.589:
	global_load_dwordx2 v[3:4], v[1:2], off
	s_mov_b32 s26, -1
	s_mov_b32 s1, 0
	s_mov_b32 s27, 0
	s_waitcnt vmcnt(0)
	v_cvt_f64_u32_e32 v[4:5], v4
	v_cvt_f64_u32_e32 v[6:7], v3
	v_ldexp_f64 v[4:5], v[4:5], 32
	v_add_f64 v[6:7], v[4:5], v[6:7]
	s_branch .LBB8_592
.LBB8_590:
	s_mov_b32 s1, -1
                                        ; implicit-def: $vgpr6_vgpr7
.LBB8_591:
	s_mov_b32 s27, 0
.LBB8_592:
	s_and_b32 vcc_lo, exec_lo, s27
	s_cbranch_vccz .LBB8_612
; %bb.593:
	s_cmp_lt_i32 s0, 27
	s_cbranch_scc1 .LBB8_596
; %bb.594:
	s_cmp_gt_i32 s0, 27
	s_cbranch_scc0 .LBB8_597
; %bb.595:
	global_load_dword v3, v[1:2], off
	s_mov_b32 s26, 0
	s_waitcnt vmcnt(0)
	v_cvt_f64_u32_e32 v[6:7], v3
	s_branch .LBB8_598
.LBB8_596:
	s_mov_b32 s26, -1
                                        ; implicit-def: $vgpr6_vgpr7
	s_branch .LBB8_601
.LBB8_597:
	s_mov_b32 s26, -1
                                        ; implicit-def: $vgpr6_vgpr7
.LBB8_598:
	s_andn2_b32 vcc_lo, exec_lo, s26
	s_cbranch_vccnz .LBB8_600
; %bb.599:
	global_load_ushort v3, v[1:2], off
	s_waitcnt vmcnt(0)
	v_cvt_f64_u32_e32 v[6:7], v3
.LBB8_600:
	s_mov_b32 s26, 0
.LBB8_601:
	s_andn2_b32 vcc_lo, exec_lo, s26
	s_cbranch_vccnz .LBB8_611
; %bb.602:
	global_load_ubyte v3, v[1:2], off
	s_mov_b32 s26, 0
	s_mov_b32 s27, exec_lo
	s_waitcnt vmcnt(0)
	v_cmpx_lt_i16_e32 0x7f, v3
	s_xor_b32 s27, exec_lo, s27
	s_cbranch_execz .LBB8_606
; %bb.603:
	s_mov_b32 s26, -1
	s_mov_b32 s47, exec_lo
	v_cmpx_eq_u16_e32 0x80, v3
; %bb.604:
	s_xor_b32 s26, exec_lo, -1
; %bb.605:
	s_or_b32 exec_lo, exec_lo, s47
	s_and_b32 s26, s26, exec_lo
.LBB8_606:
	s_or_saveexec_b32 s27, s27
	v_bfrev_b32_e32 v6, 4
	v_mov_b32_e32 v7, 0x7ff80000
	s_xor_b32 exec_lo, exec_lo, s27
; %bb.607:
	v_cmp_ne_u16_e32 vcc_lo, 0, v3
	v_mov_b32_e32 v6, 0
	v_mov_b32_e32 v7, 0
	s_andn2_b32 s26, s26, exec_lo
	s_and_b32 s47, vcc_lo, exec_lo
	s_or_b32 s26, s26, s47
; %bb.608:
	s_or_b32 exec_lo, exec_lo, s27
	s_and_saveexec_b32 s27, s26
	s_cbranch_execz .LBB8_610
; %bb.609:
	v_and_b32_e32 v4, 0xffff, v3
	v_lshlrev_b32_e32 v3, 24, v3
	v_and_b32_e32 v5, 7, v4
	v_bfe_u32 v8, v4, 3, 4
	v_and_b32_e32 v3, 0x80000000, v3
	v_ffbh_u32_e32 v6, v5
	v_cmp_eq_u32_e32 vcc_lo, 0, v8
	v_min_u32_e32 v6, 32, v6
	v_subrev_nc_u32_e32 v7, 28, v6
	v_sub_nc_u32_e32 v6, 29, v6
	v_lshlrev_b32_e32 v4, v7, v4
	v_cndmask_b32_e32 v6, v8, v6, vcc_lo
	v_and_b32_e32 v4, 7, v4
	v_cndmask_b32_e32 v4, v5, v4, vcc_lo
	v_lshl_add_u32 v5, v6, 23, 0x3b800000
	v_lshlrev_b32_e32 v4, 20, v4
	v_or3_b32 v3, v3, v5, v4
	v_cvt_f64_f32_e32 v[6:7], v3
.LBB8_610:
	s_or_b32 exec_lo, exec_lo, s27
.LBB8_611:
	s_mov_b32 s26, -1
.LBB8_612:
	s_mov_b32 s27, 0
.LBB8_613:
	s_and_b32 vcc_lo, exec_lo, s27
	s_cbranch_vccz .LBB8_646
; %bb.614:
	s_cmp_gt_i32 s0, 22
	s_cbranch_scc0 .LBB8_626
; %bb.615:
	s_cmp_lt_i32 s0, 24
	s_cbranch_scc1 .LBB8_627
; %bb.616:
	s_cmp_gt_i32 s0, 24
	s_cbranch_scc0 .LBB8_628
; %bb.617:
	global_load_ubyte v3, v[1:2], off
	s_mov_b32 s26, 0
	s_mov_b32 s27, exec_lo
	s_waitcnt vmcnt(0)
	v_cmpx_lt_i16_e32 0x7f, v3
	s_xor_b32 s27, exec_lo, s27
	s_cbranch_execz .LBB8_621
; %bb.618:
	s_mov_b32 s26, -1
	s_mov_b32 s47, exec_lo
	v_cmpx_eq_u16_e32 0x80, v3
; %bb.619:
	s_xor_b32 s26, exec_lo, -1
; %bb.620:
	s_or_b32 exec_lo, exec_lo, s47
	s_and_b32 s26, s26, exec_lo
.LBB8_621:
	s_or_saveexec_b32 s27, s27
	v_bfrev_b32_e32 v6, 4
	v_mov_b32_e32 v7, 0x7ff80000
	s_xor_b32 exec_lo, exec_lo, s27
; %bb.622:
	v_cmp_ne_u16_e32 vcc_lo, 0, v3
	v_mov_b32_e32 v6, 0
	v_mov_b32_e32 v7, 0
	s_andn2_b32 s26, s26, exec_lo
	s_and_b32 s47, vcc_lo, exec_lo
	s_or_b32 s26, s26, s47
; %bb.623:
	s_or_b32 exec_lo, exec_lo, s27
	s_and_saveexec_b32 s27, s26
	s_cbranch_execz .LBB8_625
; %bb.624:
	v_and_b32_e32 v4, 0xffff, v3
	v_lshlrev_b32_e32 v3, 24, v3
	v_and_b32_e32 v5, 3, v4
	v_bfe_u32 v8, v4, 2, 5
	v_and_b32_e32 v3, 0x80000000, v3
	v_ffbh_u32_e32 v6, v5
	v_cmp_eq_u32_e32 vcc_lo, 0, v8
	v_min_u32_e32 v6, 32, v6
	v_subrev_nc_u32_e32 v7, 29, v6
	v_sub_nc_u32_e32 v6, 30, v6
	v_lshlrev_b32_e32 v4, v7, v4
	v_cndmask_b32_e32 v6, v8, v6, vcc_lo
	v_and_b32_e32 v4, 3, v4
	v_cndmask_b32_e32 v4, v5, v4, vcc_lo
	v_lshl_add_u32 v5, v6, 23, 0x37800000
	v_lshlrev_b32_e32 v4, 21, v4
	v_or3_b32 v3, v3, v5, v4
	v_cvt_f64_f32_e32 v[6:7], v3
.LBB8_625:
	s_or_b32 exec_lo, exec_lo, s27
	s_mov_b32 s26, 0
	s_branch .LBB8_629
.LBB8_626:
	s_mov_b32 s27, -1
                                        ; implicit-def: $vgpr6_vgpr7
	s_branch .LBB8_635
.LBB8_627:
	s_mov_b32 s26, -1
                                        ; implicit-def: $vgpr6_vgpr7
	s_branch .LBB8_632
.LBB8_628:
	s_mov_b32 s26, -1
                                        ; implicit-def: $vgpr6_vgpr7
.LBB8_629:
	s_and_b32 vcc_lo, exec_lo, s26
	s_cbranch_vccz .LBB8_631
; %bb.630:
	global_load_ubyte v3, v[1:2], off
	s_waitcnt vmcnt(0)
	v_lshlrev_b32_e32 v3, 24, v3
	v_and_b32_e32 v4, 0x7f000000, v3
	v_ffbh_u32_e32 v5, v4
	v_add_nc_u32_e32 v7, 0x1000000, v4
	v_cmp_ne_u32_e32 vcc_lo, 0, v4
	v_min_u32_e32 v5, 32, v5
	v_sub_nc_u32_e64 v5, v5, 4 clamp
	v_lshlrev_b32_e32 v6, v5, v4
	v_lshlrev_b32_e32 v5, 23, v5
	v_lshrrev_b32_e32 v6, 4, v6
	v_sub_nc_u32_e32 v5, v6, v5
	v_ashrrev_i32_e32 v6, 8, v7
	v_add_nc_u32_e32 v5, 0x3c000000, v5
	v_and_or_b32 v5, 0x7f800000, v6, v5
	v_cndmask_b32_e32 v4, 0, v5, vcc_lo
	v_and_or_b32 v3, 0x80000000, v3, v4
	v_cvt_f64_f32_e32 v[6:7], v3
.LBB8_631:
	s_mov_b32 s26, 0
.LBB8_632:
	s_andn2_b32 vcc_lo, exec_lo, s26
	s_cbranch_vccnz .LBB8_634
; %bb.633:
	global_load_ubyte v3, v[1:2], off
	s_waitcnt vmcnt(0)
	v_lshlrev_b32_e32 v4, 25, v3
	v_lshlrev_b16 v3, 8, v3
	v_lshrrev_b32_e32 v5, 4, v4
	v_and_or_b32 v6, 0x7f00, v3, 0.5
	v_cmp_gt_u32_e32 vcc_lo, 0x8000000, v4
	v_bfe_i32 v3, v3, 0, 16
	v_or_b32_e32 v5, 0x70000000, v5
	v_add_f32_e32 v6, -0.5, v6
	v_mul_f32_e32 v5, 0x7800000, v5
	v_cndmask_b32_e32 v4, v5, v6, vcc_lo
	v_and_or_b32 v3, 0x80000000, v3, v4
	v_cvt_f64_f32_e32 v[6:7], v3
.LBB8_634:
	s_mov_b32 s27, 0
	s_mov_b32 s26, -1
.LBB8_635:
	s_andn2_b32 vcc_lo, exec_lo, s27
	s_cbranch_vccnz .LBB8_646
; %bb.636:
	s_cmp_gt_i32 s0, 14
	s_cbranch_scc0 .LBB8_639
; %bb.637:
	s_cmp_eq_u32 s0, 15
	s_cbranch_scc0 .LBB8_640
; %bb.638:
	global_load_ushort v3, v[1:2], off
	s_mov_b32 s26, -1
	s_mov_b32 s1, 0
	s_waitcnt vmcnt(0)
	v_lshlrev_b32_e32 v3, 16, v3
	v_cvt_f64_f32_e32 v[6:7], v3
	s_branch .LBB8_641
.LBB8_639:
	s_mov_b32 s27, -1
                                        ; implicit-def: $vgpr6_vgpr7
	s_branch .LBB8_642
.LBB8_640:
	s_mov_b32 s1, -1
                                        ; implicit-def: $vgpr6_vgpr7
.LBB8_641:
	s_mov_b32 s27, 0
.LBB8_642:
	s_and_b32 vcc_lo, exec_lo, s27
	s_cbranch_vccz .LBB8_646
; %bb.643:
	s_cmp_eq_u32 s0, 11
	s_cbranch_scc0 .LBB8_645
; %bb.644:
	global_load_ubyte v3, v[1:2], off
	s_waitcnt vmcnt(1)
	v_mov_b32_e32 v6, 0
	s_mov_b32 s1, 0
	s_mov_b32 s26, -1
	s_waitcnt vmcnt(0)
	v_cmp_ne_u16_e32 vcc_lo, 0, v3
	v_cndmask_b32_e64 v7, 0, 0x3ff00000, vcc_lo
	s_branch .LBB8_646
.LBB8_645:
	s_mov_b32 s1, -1
                                        ; implicit-def: $vgpr6_vgpr7
.LBB8_646:
	s_mov_b32 s27, 0
.LBB8_647:
	s_and_b32 vcc_lo, exec_lo, s27
	s_cbranch_vccz .LBB8_696
; %bb.648:
	s_cmp_lt_i32 s0, 5
	s_cbranch_scc1 .LBB8_653
; %bb.649:
	s_cmp_lt_i32 s0, 8
	s_cbranch_scc1 .LBB8_654
	;; [unrolled: 3-line block ×3, first 2 shown]
; %bb.651:
	s_cmp_gt_i32 s0, 9
	s_cbranch_scc0 .LBB8_656
; %bb.652:
	global_load_dwordx2 v[6:7], v[1:2], off
	s_mov_b32 s26, 0
	s_branch .LBB8_657
.LBB8_653:
	s_mov_b32 s26, -1
                                        ; implicit-def: $vgpr6_vgpr7
	s_branch .LBB8_675
.LBB8_654:
	s_mov_b32 s26, -1
                                        ; implicit-def: $vgpr6_vgpr7
	s_branch .LBB8_663
.LBB8_655:
	s_mov_b32 s26, -1
                                        ; implicit-def: $vgpr6_vgpr7
	s_branch .LBB8_660
.LBB8_656:
	s_mov_b32 s26, -1
                                        ; implicit-def: $vgpr6_vgpr7
.LBB8_657:
	s_andn2_b32 vcc_lo, exec_lo, s26
	s_cbranch_vccnz .LBB8_659
; %bb.658:
	global_load_dword v3, v[1:2], off
	s_waitcnt vmcnt(0)
	v_cvt_f64_f32_e32 v[6:7], v3
.LBB8_659:
	s_mov_b32 s26, 0
.LBB8_660:
	s_andn2_b32 vcc_lo, exec_lo, s26
	s_cbranch_vccnz .LBB8_662
; %bb.661:
	global_load_dword v3, v[1:2], off
	s_waitcnt vmcnt(0)
	v_cvt_f32_f16_e32 v3, v3
	v_cvt_f64_f32_e32 v[6:7], v3
.LBB8_662:
	s_mov_b32 s26, 0
.LBB8_663:
	s_andn2_b32 vcc_lo, exec_lo, s26
	s_cbranch_vccnz .LBB8_674
; %bb.664:
	s_cmp_lt_i32 s0, 6
	s_cbranch_scc1 .LBB8_667
; %bb.665:
	s_cmp_gt_i32 s0, 6
	s_cbranch_scc0 .LBB8_668
; %bb.666:
	global_load_dwordx2 v[6:7], v[1:2], off
	s_mov_b32 s26, 0
	s_branch .LBB8_669
.LBB8_667:
	s_mov_b32 s26, -1
                                        ; implicit-def: $vgpr6_vgpr7
	s_branch .LBB8_672
.LBB8_668:
	s_mov_b32 s26, -1
                                        ; implicit-def: $vgpr6_vgpr7
.LBB8_669:
	s_andn2_b32 vcc_lo, exec_lo, s26
	s_cbranch_vccnz .LBB8_671
; %bb.670:
	global_load_dword v3, v[1:2], off
	s_waitcnt vmcnt(0)
	v_cvt_f64_f32_e32 v[6:7], v3
.LBB8_671:
	s_mov_b32 s26, 0
.LBB8_672:
	s_andn2_b32 vcc_lo, exec_lo, s26
	s_cbranch_vccnz .LBB8_674
; %bb.673:
	global_load_ushort v3, v[1:2], off
	s_waitcnt vmcnt(0)
	v_cvt_f32_f16_e32 v3, v3
	v_cvt_f64_f32_e32 v[6:7], v3
.LBB8_674:
	s_mov_b32 s26, 0
.LBB8_675:
	s_andn2_b32 vcc_lo, exec_lo, s26
	s_cbranch_vccnz .LBB8_695
; %bb.676:
	s_cmp_lt_i32 s0, 2
	s_cbranch_scc1 .LBB8_680
; %bb.677:
	s_cmp_lt_i32 s0, 3
	s_cbranch_scc1 .LBB8_681
; %bb.678:
	s_cmp_gt_i32 s0, 3
	s_cbranch_scc0 .LBB8_682
; %bb.679:
	global_load_dwordx2 v[3:4], v[1:2], off
	s_mov_b32 s26, 0
	s_waitcnt vmcnt(0)
	v_cvt_f64_i32_e32 v[4:5], v4
	v_cvt_f64_u32_e32 v[6:7], v3
	v_ldexp_f64 v[4:5], v[4:5], 32
	v_add_f64 v[6:7], v[4:5], v[6:7]
	s_branch .LBB8_683
.LBB8_680:
	s_mov_b32 s26, -1
                                        ; implicit-def: $vgpr6_vgpr7
	s_branch .LBB8_689
.LBB8_681:
	s_mov_b32 s26, -1
                                        ; implicit-def: $vgpr6_vgpr7
	s_branch .LBB8_686
.LBB8_682:
	s_mov_b32 s26, -1
                                        ; implicit-def: $vgpr6_vgpr7
.LBB8_683:
	s_andn2_b32 vcc_lo, exec_lo, s26
	s_cbranch_vccnz .LBB8_685
; %bb.684:
	global_load_dword v3, v[1:2], off
	s_waitcnt vmcnt(0)
	v_cvt_f64_i32_e32 v[6:7], v3
.LBB8_685:
	s_mov_b32 s26, 0
.LBB8_686:
	s_andn2_b32 vcc_lo, exec_lo, s26
	s_cbranch_vccnz .LBB8_688
; %bb.687:
	global_load_sshort v3, v[1:2], off
	s_waitcnt vmcnt(0)
	v_cvt_f64_i32_e32 v[6:7], v3
.LBB8_688:
	s_mov_b32 s26, 0
.LBB8_689:
	s_andn2_b32 vcc_lo, exec_lo, s26
	s_cbranch_vccnz .LBB8_695
; %bb.690:
	s_cmp_gt_i32 s0, 0
	s_mov_b32 s0, 0
	s_cbranch_scc0 .LBB8_692
; %bb.691:
	global_load_sbyte v3, v[1:2], off
	s_waitcnt vmcnt(0)
	v_cvt_f64_i32_e32 v[6:7], v3
	s_branch .LBB8_693
.LBB8_692:
	s_mov_b32 s0, -1
                                        ; implicit-def: $vgpr6_vgpr7
.LBB8_693:
	s_andn2_b32 vcc_lo, exec_lo, s0
	s_cbranch_vccnz .LBB8_695
; %bb.694:
	global_load_ubyte v1, v[1:2], off
	s_waitcnt vmcnt(0)
	v_cvt_f64_u32_e32 v[6:7], v1
.LBB8_695:
	s_mov_b32 s26, -1
.LBB8_696:
	s_andn2_b32 vcc_lo, exec_lo, s26
	s_cbranch_vccnz .LBB8_706
; %bb.697:
	s_waitcnt vmcnt(0)
	v_cvt_f32_f64_e32 v1, v[6:7]
	s_mov_b32 s0, exec_lo
	v_cmpx_nlg_f32_e64 0x7f800000, |v1|
	s_cbranch_execz .LBB8_699
; %bb.698:
	v_mov_b32_e32 v1, 0
	v_mov_b32_e32 v2, 1.0
	global_store_dword v1, v2, s[12:13]
.LBB8_699:
	s_or_b32 exec_lo, exec_lo, s0
	v_mov_b32_e32 v1, 0
	s_and_b32 s26, s34, 0xff
	s_cmp_lt_i32 s26, 11
	global_load_dword v4, v1, s[14:15]
	s_waitcnt vmcnt(0)
	v_cvt_f64_f32_e32 v[1:2], v4
	v_cmp_eq_f32_e32 vcc_lo, 1.0, v4
	v_add_co_u32 v4, s0, s8, v0
	v_add_co_ci_u32_e64 v5, null, s9, 0, s0
	v_mul_f64 v[2:3], v[6:7], v[1:2]
	v_cndmask_b32_e32 v1, v3, v7, vcc_lo
	v_cndmask_b32_e32 v0, v2, v6, vcc_lo
	s_cbranch_scc1 .LBB8_707
; %bb.700:
	s_and_b32 s27, 0xffff, s26
	s_cmp_gt_i32 s27, 25
	s_cbranch_scc0 .LBB8_708
; %bb.701:
	s_cmp_gt_i32 s27, 28
	s_cbranch_scc0 .LBB8_709
; %bb.702:
	;; [unrolled: 3-line block ×4, first 2 shown]
	s_mov_b32 s48, 0
	s_mov_b32 s0, -1
	s_cmp_eq_u32 s27, 46
	s_mov_b32 s47, 0
	s_cbranch_scc0 .LBB8_712
; %bb.705:
	v_cvt_f32_f64_e32 v2, v[0:1]
	s_mov_b32 s47, -1
	s_mov_b32 s0, 0
	v_bfe_u32 v3, v2, 16, 1
	v_cmp_o_f32_e32 vcc_lo, v2, v2
	v_add3_u32 v2, v2, v3, 0x7fff
	v_mov_b32_e32 v3, 0x7fc0
	v_cndmask_b32_sdwa v2, v3, v2, vcc_lo dst_sel:DWORD dst_unused:UNUSED_PAD src0_sel:DWORD src1_sel:WORD_1
	global_store_dword v[4:5], v2, off
	s_branch .LBB8_712
.LBB8_706:
	s_mov_b32 s47, 0
	s_mov_b32 s0, s44
	s_branch .LBB8_823
.LBB8_707:
	s_mov_b32 s27, -1
	s_mov_b32 s47, 0
	s_mov_b32 s0, s44
	s_branch .LBB8_781
.LBB8_708:
	s_mov_b32 s48, -1
	s_mov_b32 s47, 0
	s_mov_b32 s0, s44
	s_branch .LBB8_739
.LBB8_709:
	s_mov_b32 s48, -1
	s_mov_b32 s47, 0
	s_mov_b32 s0, s44
	s_branch .LBB8_722
.LBB8_710:
	s_mov_b32 s48, -1
	s_mov_b32 s47, 0
	s_mov_b32 s0, s44
	s_branch .LBB8_718
.LBB8_711:
	s_mov_b32 s48, -1
	s_mov_b32 s47, 0
	s_mov_b32 s0, s44
.LBB8_712:
	s_and_b32 vcc_lo, exec_lo, s48
	s_cbranch_vccz .LBB8_717
; %bb.713:
	s_cmp_eq_u32 s27, 44
	s_mov_b32 s0, -1
	s_cbranch_scc0 .LBB8_717
; %bb.714:
	v_cvt_f32_f64_e32 v2, v[0:1]
	v_mov_b32_e32 v3, 0xff
	s_mov_b32 s47, exec_lo
	v_bfe_u32 v6, v2, 23, 8
	v_cmpx_ne_u32_e32 0xff, v6
	s_cbranch_execz .LBB8_716
; %bb.715:
	v_and_b32_e32 v3, 0x400000, v2
	v_and_or_b32 v6, 0x3fffff, v2, v6
	v_lshrrev_b32_e32 v2, 23, v2
	v_cmp_ne_u32_e32 vcc_lo, 0, v3
	v_cmp_ne_u32_e64 s0, 0, v6
	s_and_b32 s0, vcc_lo, s0
	v_cndmask_b32_e64 v3, 0, 1, s0
	v_add_nc_u32_e32 v3, v2, v3
.LBB8_716:
	s_or_b32 exec_lo, exec_lo, s47
	s_mov_b32 s47, -1
	s_mov_b32 s0, 0
	global_store_byte v[4:5], v3, off
.LBB8_717:
	s_mov_b32 s48, 0
.LBB8_718:
	s_and_b32 vcc_lo, exec_lo, s48
	s_cbranch_vccz .LBB8_721
; %bb.719:
	s_cmp_eq_u32 s27, 29
	s_mov_b32 s0, -1
	s_cbranch_scc0 .LBB8_721
; %bb.720:
	v_trunc_f64_e32 v[2:3], v[0:1]
	s_mov_b32 s47, -1
	s_mov_b32 s0, 0
	s_mov_b32 s48, 0
	v_ldexp_f64 v[6:7], v[2:3], 0xffffffe0
	v_floor_f64_e32 v[6:7], v[6:7]
	v_fma_f64 v[2:3], 0xc1f00000, v[6:7], v[2:3]
	v_cvt_u32_f64_e32 v7, v[6:7]
	v_cvt_u32_f64_e32 v6, v[2:3]
	global_store_dwordx2 v[4:5], v[6:7], off
	s_branch .LBB8_722
.LBB8_721:
	s_mov_b32 s48, 0
.LBB8_722:
	s_and_b32 vcc_lo, exec_lo, s48
	s_cbranch_vccz .LBB8_738
; %bb.723:
	s_cmp_lt_i32 s27, 27
	s_mov_b32 s47, -1
	s_cbranch_scc1 .LBB8_729
; %bb.724:
	v_cvt_u32_f64_e32 v2, v[0:1]
	s_cmp_gt_i32 s27, 27
	s_cbranch_scc0 .LBB8_726
; %bb.725:
	s_mov_b32 s47, 0
	global_store_dword v[4:5], v2, off
.LBB8_726:
	s_andn2_b32 vcc_lo, exec_lo, s47
	s_cbranch_vccnz .LBB8_728
; %bb.727:
	global_store_short v[4:5], v2, off
.LBB8_728:
	s_mov_b32 s47, 0
.LBB8_729:
	s_andn2_b32 vcc_lo, exec_lo, s47
	s_cbranch_vccnz .LBB8_737
; %bb.730:
	v_cvt_f32_f64_e32 v2, v[0:1]
	v_mov_b32_e32 v6, 0x80
	s_mov_b32 s47, exec_lo
	v_and_b32_e32 v3, 0x7fffffff, v2
	v_cmpx_gt_u32_e32 0x43800000, v3
	s_cbranch_execz .LBB8_736
; %bb.731:
	v_cmp_lt_u32_e32 vcc_lo, 0x3bffffff, v3
	s_mov_b32 s48, 0
                                        ; implicit-def: $vgpr3
	s_and_saveexec_b32 s49, vcc_lo
	s_xor_b32 s49, exec_lo, s49
	s_cbranch_execz .LBB8_853
; %bb.732:
	v_bfe_u32 v3, v2, 20, 1
	s_mov_b32 s48, exec_lo
	v_add3_u32 v3, v2, v3, 0x487ffff
	v_lshrrev_b32_e32 v3, 20, v3
	s_andn2_saveexec_b32 s49, s49
	s_cbranch_execnz .LBB8_854
.LBB8_733:
	s_or_b32 exec_lo, exec_lo, s49
	v_mov_b32_e32 v6, 0
	s_and_saveexec_b32 s49, s48
.LBB8_734:
	v_lshrrev_b32_e32 v2, 24, v2
	v_and_or_b32 v6, 0x80, v2, v3
.LBB8_735:
	s_or_b32 exec_lo, exec_lo, s49
.LBB8_736:
	s_or_b32 exec_lo, exec_lo, s47
	global_store_byte v[4:5], v6, off
.LBB8_737:
	s_mov_b32 s47, -1
.LBB8_738:
	s_mov_b32 s48, 0
.LBB8_739:
	s_and_b32 vcc_lo, exec_lo, s48
	s_cbranch_vccz .LBB8_780
; %bb.740:
	s_cmp_gt_i32 s27, 22
	s_mov_b32 s48, -1
	s_cbranch_scc0 .LBB8_772
; %bb.741:
	s_cmp_lt_i32 s27, 24
	s_mov_b32 s47, -1
	s_cbranch_scc1 .LBB8_761
; %bb.742:
	s_cmp_gt_i32 s27, 24
	s_cbranch_scc0 .LBB8_750
; %bb.743:
	v_cvt_f32_f64_e32 v2, v[0:1]
	v_mov_b32_e32 v6, 0x80
	s_mov_b32 s47, exec_lo
	v_and_b32_e32 v3, 0x7fffffff, v2
	v_cmpx_gt_u32_e32 0x47800000, v3
	s_cbranch_execz .LBB8_749
; %bb.744:
	v_cmp_lt_u32_e32 vcc_lo, 0x37ffffff, v3
	s_mov_b32 s48, 0
                                        ; implicit-def: $vgpr3
	s_and_saveexec_b32 s49, vcc_lo
	s_xor_b32 s49, exec_lo, s49
	s_cbranch_execz .LBB8_856
; %bb.745:
	v_bfe_u32 v3, v2, 21, 1
	s_mov_b32 s48, exec_lo
	v_add3_u32 v3, v2, v3, 0x88fffff
	v_lshrrev_b32_e32 v3, 21, v3
	s_andn2_saveexec_b32 s49, s49
	s_cbranch_execnz .LBB8_857
.LBB8_746:
	s_or_b32 exec_lo, exec_lo, s49
	v_mov_b32_e32 v6, 0
	s_and_saveexec_b32 s49, s48
.LBB8_747:
	v_lshrrev_b32_e32 v2, 24, v2
	v_and_or_b32 v6, 0x80, v2, v3
.LBB8_748:
	s_or_b32 exec_lo, exec_lo, s49
.LBB8_749:
	s_or_b32 exec_lo, exec_lo, s47
	s_mov_b32 s47, 0
	global_store_byte v[4:5], v6, off
.LBB8_750:
	s_and_b32 vcc_lo, exec_lo, s47
	s_cbranch_vccz .LBB8_760
; %bb.751:
	v_cvt_f32_f64_e32 v2, v[0:1]
	s_mov_b32 s47, exec_lo
                                        ; implicit-def: $vgpr3
	v_and_b32_e32 v6, 0x7fffffff, v2
	v_cmpx_gt_u32_e32 0x43f00000, v6
	s_xor_b32 s47, exec_lo, s47
	s_cbranch_execz .LBB8_757
; %bb.752:
	s_mov_b32 s48, exec_lo
                                        ; implicit-def: $vgpr3
	v_cmpx_lt_u32_e32 0x3c7fffff, v6
	s_xor_b32 s48, exec_lo, s48
; %bb.753:
	v_bfe_u32 v3, v2, 20, 1
	v_add3_u32 v3, v2, v3, 0x407ffff
	v_and_b32_e32 v6, 0xff00000, v3
	v_lshrrev_b32_e32 v3, 20, v3
	v_cmp_ne_u32_e32 vcc_lo, 0x7f00000, v6
	v_cndmask_b32_e32 v3, 0x7e, v3, vcc_lo
; %bb.754:
	s_andn2_saveexec_b32 s48, s48
; %bb.755:
	v_add_f32_e64 v3, 0x46800000, |v2|
; %bb.756:
	s_or_b32 exec_lo, exec_lo, s48
                                        ; implicit-def: $vgpr6
.LBB8_757:
	s_andn2_saveexec_b32 s47, s47
; %bb.758:
	v_mov_b32_e32 v3, 0x7f
	v_cmp_lt_u32_e32 vcc_lo, 0x7f800000, v6
	v_cndmask_b32_e32 v3, 0x7e, v3, vcc_lo
; %bb.759:
	s_or_b32 exec_lo, exec_lo, s47
	v_lshrrev_b32_e32 v2, 24, v2
	v_and_or_b32 v2, 0x80, v2, v3
	global_store_byte v[4:5], v2, off
.LBB8_760:
	s_mov_b32 s47, 0
.LBB8_761:
	s_andn2_b32 vcc_lo, exec_lo, s47
	s_cbranch_vccnz .LBB8_771
; %bb.762:
	v_cvt_f32_f64_e32 v2, v[0:1]
	s_mov_b32 s47, exec_lo
                                        ; implicit-def: $vgpr3
	v_and_b32_e32 v6, 0x7fffffff, v2
	v_cmpx_gt_u32_e32 0x47800000, v6
	s_xor_b32 s47, exec_lo, s47
	s_cbranch_execz .LBB8_768
; %bb.763:
	s_mov_b32 s48, exec_lo
                                        ; implicit-def: $vgpr3
	v_cmpx_lt_u32_e32 0x387fffff, v6
	s_xor_b32 s48, exec_lo, s48
; %bb.764:
	v_bfe_u32 v3, v2, 21, 1
	v_add3_u32 v3, v2, v3, 0x80fffff
	v_lshrrev_b32_e32 v3, 21, v3
; %bb.765:
	s_andn2_saveexec_b32 s48, s48
; %bb.766:
	v_add_f32_e64 v3, 0x43000000, |v2|
; %bb.767:
	s_or_b32 exec_lo, exec_lo, s48
                                        ; implicit-def: $vgpr6
.LBB8_768:
	s_andn2_saveexec_b32 s47, s47
; %bb.769:
	v_mov_b32_e32 v3, 0x7f
	v_cmp_lt_u32_e32 vcc_lo, 0x7f800000, v6
	v_cndmask_b32_e32 v3, 0x7c, v3, vcc_lo
; %bb.770:
	s_or_b32 exec_lo, exec_lo, s47
	v_lshrrev_b32_e32 v2, 24, v2
	v_and_or_b32 v2, 0x80, v2, v3
	global_store_byte v[4:5], v2, off
.LBB8_771:
	s_mov_b32 s48, 0
	s_mov_b32 s47, -1
.LBB8_772:
	s_andn2_b32 vcc_lo, exec_lo, s48
	s_cbranch_vccnz .LBB8_780
; %bb.773:
	s_cmp_gt_i32 s27, 14
	s_mov_b32 s48, -1
	s_cbranch_scc0 .LBB8_777
; %bb.774:
	s_cmp_eq_u32 s27, 15
	s_mov_b32 s0, -1
	s_cbranch_scc0 .LBB8_776
; %bb.775:
	v_cvt_f32_f64_e32 v2, v[0:1]
	s_mov_b32 s47, -1
	s_mov_b32 s0, 0
	v_bfe_u32 v3, v2, 16, 1
	v_cmp_o_f32_e32 vcc_lo, v2, v2
	v_add3_u32 v2, v2, v3, 0x7fff
	v_mov_b32_e32 v3, 0x7fc0
	v_cndmask_b32_sdwa v2, v3, v2, vcc_lo dst_sel:DWORD dst_unused:UNUSED_PAD src0_sel:DWORD src1_sel:WORD_1
	global_store_short v[4:5], v2, off
.LBB8_776:
	s_mov_b32 s48, 0
.LBB8_777:
	s_and_b32 vcc_lo, exec_lo, s48
	s_cbranch_vccz .LBB8_780
; %bb.778:
	s_cmp_eq_u32 s27, 11
	s_mov_b32 s0, -1
	s_cbranch_scc0 .LBB8_780
; %bb.779:
	v_cmp_neq_f64_e32 vcc_lo, 0, v[0:1]
	s_mov_b32 s47, -1
	s_mov_b32 s0, 0
	v_cndmask_b32_e64 v2, 0, 1, vcc_lo
	global_store_byte v[4:5], v2, off
.LBB8_780:
	s_mov_b32 s27, 0
.LBB8_781:
	s_and_b32 vcc_lo, exec_lo, s27
	s_cbranch_vccz .LBB8_820
; %bb.782:
	s_and_b32 s26, 0xffff, s26
	s_mov_b32 s27, -1
	s_cmp_lt_i32 s26, 5
	s_cbranch_scc1 .LBB8_803
; %bb.783:
	s_cmp_lt_i32 s26, 8
	s_cbranch_scc1 .LBB8_793
; %bb.784:
	;; [unrolled: 3-line block ×3, first 2 shown]
	s_cmp_gt_i32 s26, 9
	s_cbranch_scc0 .LBB8_787
; %bb.786:
	v_mov_b32_e32 v2, 0
	s_mov_b32 s27, 0
	v_mov_b32_e32 v3, v2
	global_store_dwordx4 v[4:5], v[0:3], off
.LBB8_787:
	s_andn2_b32 vcc_lo, exec_lo, s27
	s_cbranch_vccnz .LBB8_789
; %bb.788:
	v_cvt_f32_f64_e32 v2, v[0:1]
	v_mov_b32_e32 v3, 0
	global_store_dwordx2 v[4:5], v[2:3], off
.LBB8_789:
	s_mov_b32 s27, 0
.LBB8_790:
	s_andn2_b32 vcc_lo, exec_lo, s27
	s_cbranch_vccnz .LBB8_792
; %bb.791:
	v_and_or_b32 v2, 0x1ff, v1, v0
	v_lshrrev_b32_e32 v3, 8, v1
	v_bfe_u32 v6, v1, 20, 11
	v_cmp_ne_u32_e32 vcc_lo, 0, v2
	v_sub_nc_u32_e32 v7, 0x3f1, v6
	v_add_nc_u32_e32 v6, 0xfffffc10, v6
	v_cndmask_b32_e64 v2, 0, 1, vcc_lo
	v_and_or_b32 v2, 0xffe, v3, v2
	v_med3_i32 v3, v7, 0, 13
	v_or_b32_e32 v7, 0x1000, v2
	v_lshrrev_b32_e32 v8, v3, v7
	v_lshlrev_b32_e32 v3, v3, v8
	v_cmp_ne_u32_e32 vcc_lo, v3, v7
	v_lshl_or_b32 v7, v6, 12, v2
	v_cndmask_b32_e64 v3, 0, 1, vcc_lo
	v_cmp_gt_i32_e32 vcc_lo, 1, v6
	v_or_b32_e32 v3, v8, v3
	v_cndmask_b32_e32 v3, v7, v3, vcc_lo
	v_and_b32_e32 v7, 7, v3
	v_lshrrev_b32_e32 v3, 2, v3
	v_cmp_lt_i32_e32 vcc_lo, 5, v7
	v_cndmask_b32_e64 v8, 0, 1, vcc_lo
	v_cmp_eq_u32_e32 vcc_lo, 3, v7
	v_cndmask_b32_e64 v7, 0, 1, vcc_lo
	v_cmp_ne_u32_e32 vcc_lo, 0, v2
	v_or_b32_e32 v7, v7, v8
	v_mov_b32_e32 v8, 0x7e00
	v_add_nc_u32_e32 v3, v3, v7
	v_cndmask_b32_e32 v2, 0x7c00, v8, vcc_lo
	v_cmp_gt_i32_e32 vcc_lo, 31, v6
	v_cndmask_b32_e32 v3, 0x7c00, v3, vcc_lo
	v_cmp_eq_u32_e32 vcc_lo, 0x40f, v6
	v_cndmask_b32_e32 v2, v3, v2, vcc_lo
	v_lshrrev_b32_e32 v3, 16, v1
	v_and_or_b32 v2, 0x8000, v3, v2
	v_and_b32_e32 v2, 0xffff, v2
	global_store_dword v[4:5], v2, off
.LBB8_792:
	s_mov_b32 s27, 0
.LBB8_793:
	s_andn2_b32 vcc_lo, exec_lo, s27
	s_cbranch_vccnz .LBB8_802
; %bb.794:
	s_cmp_lt_i32 s26, 6
	s_mov_b32 s27, -1
	s_cbranch_scc1 .LBB8_800
; %bb.795:
	s_cmp_gt_i32 s26, 6
	s_cbranch_scc0 .LBB8_797
; %bb.796:
	s_mov_b32 s27, 0
	global_store_dwordx2 v[4:5], v[0:1], off
.LBB8_797:
	s_andn2_b32 vcc_lo, exec_lo, s27
	s_cbranch_vccnz .LBB8_799
; %bb.798:
	v_cvt_f32_f64_e32 v2, v[0:1]
	global_store_dword v[4:5], v2, off
.LBB8_799:
	s_mov_b32 s27, 0
.LBB8_800:
	s_andn2_b32 vcc_lo, exec_lo, s27
	s_cbranch_vccnz .LBB8_802
; %bb.801:
	v_and_or_b32 v2, 0x1ff, v1, v0
	v_lshrrev_b32_e32 v3, 8, v1
	v_bfe_u32 v6, v1, 20, 11
	v_cmp_ne_u32_e32 vcc_lo, 0, v2
	v_sub_nc_u32_e32 v7, 0x3f1, v6
	v_add_nc_u32_e32 v6, 0xfffffc10, v6
	v_cndmask_b32_e64 v2, 0, 1, vcc_lo
	v_and_or_b32 v2, 0xffe, v3, v2
	v_med3_i32 v3, v7, 0, 13
	v_or_b32_e32 v7, 0x1000, v2
	v_lshrrev_b32_e32 v8, v3, v7
	v_lshlrev_b32_e32 v3, v3, v8
	v_cmp_ne_u32_e32 vcc_lo, v3, v7
	v_lshl_or_b32 v7, v6, 12, v2
	v_cndmask_b32_e64 v3, 0, 1, vcc_lo
	v_cmp_gt_i32_e32 vcc_lo, 1, v6
	v_or_b32_e32 v3, v8, v3
	v_cndmask_b32_e32 v3, v7, v3, vcc_lo
	v_and_b32_e32 v7, 7, v3
	v_lshrrev_b32_e32 v3, 2, v3
	v_cmp_lt_i32_e32 vcc_lo, 5, v7
	v_cndmask_b32_e64 v8, 0, 1, vcc_lo
	v_cmp_eq_u32_e32 vcc_lo, 3, v7
	v_cndmask_b32_e64 v7, 0, 1, vcc_lo
	v_cmp_ne_u32_e32 vcc_lo, 0, v2
	v_or_b32_e32 v7, v7, v8
	v_mov_b32_e32 v8, 0x7e00
	v_add_nc_u32_e32 v3, v3, v7
	v_cndmask_b32_e32 v2, 0x7c00, v8, vcc_lo
	v_cmp_gt_i32_e32 vcc_lo, 31, v6
	v_cndmask_b32_e32 v3, 0x7c00, v3, vcc_lo
	v_cmp_eq_u32_e32 vcc_lo, 0x40f, v6
	v_cndmask_b32_e32 v2, v3, v2, vcc_lo
	v_lshrrev_b32_e32 v3, 16, v1
	v_and_or_b32 v2, 0x8000, v3, v2
	global_store_short v[4:5], v2, off
.LBB8_802:
	s_mov_b32 s27, 0
.LBB8_803:
	s_andn2_b32 vcc_lo, exec_lo, s27
	s_cbranch_vccnz .LBB8_819
; %bb.804:
	s_cmp_lt_i32 s26, 2
	s_mov_b32 s27, -1
	s_cbranch_scc1 .LBB8_814
; %bb.805:
	s_cmp_lt_i32 s26, 3
	s_cbranch_scc1 .LBB8_811
; %bb.806:
	s_cmp_gt_i32 s26, 3
	s_cbranch_scc0 .LBB8_808
; %bb.807:
	v_trunc_f64_e32 v[2:3], v[0:1]
	s_mov_b32 s27, 0
	v_ldexp_f64 v[6:7], v[2:3], 0xffffffe0
	v_floor_f64_e32 v[6:7], v[6:7]
	v_fma_f64 v[2:3], 0xc1f00000, v[6:7], v[2:3]
	v_cvt_i32_f64_e32 v7, v[6:7]
	v_cvt_u32_f64_e32 v6, v[2:3]
	global_store_dwordx2 v[4:5], v[6:7], off
.LBB8_808:
	s_andn2_b32 vcc_lo, exec_lo, s27
	s_cbranch_vccnz .LBB8_810
; %bb.809:
	v_cvt_i32_f64_e32 v2, v[0:1]
	global_store_dword v[4:5], v2, off
.LBB8_810:
	s_mov_b32 s27, 0
.LBB8_811:
	s_andn2_b32 vcc_lo, exec_lo, s27
	s_cbranch_vccnz .LBB8_813
; %bb.812:
	v_cvt_i32_f64_e32 v2, v[0:1]
	global_store_short v[4:5], v2, off
.LBB8_813:
	s_mov_b32 s27, 0
.LBB8_814:
	s_andn2_b32 vcc_lo, exec_lo, s27
	s_cbranch_vccnz .LBB8_819
; %bb.815:
	s_cmp_gt_i32 s26, 0
	s_mov_b32 s26, -1
	s_cbranch_scc0 .LBB8_817
; %bb.816:
	v_cvt_i32_f64_e32 v2, v[0:1]
	s_mov_b32 s26, 0
	global_store_byte v[4:5], v2, off
.LBB8_817:
	s_andn2_b32 vcc_lo, exec_lo, s26
	s_cbranch_vccnz .LBB8_819
; %bb.818:
	v_trunc_f64_e32 v[0:1], v[0:1]
	v_ldexp_f64 v[2:3], v[0:1], 0xffffffe0
	v_floor_f64_e32 v[2:3], v[2:3]
	v_fma_f64 v[0:1], 0xc1f00000, v[2:3], v[0:1]
	v_cvt_u32_f64_e32 v0, v[0:1]
	global_store_byte v[4:5], v0, off
.LBB8_819:
	s_mov_b32 s47, -1
.LBB8_820:
	s_andn2_b32 vcc_lo, exec_lo, s47
	s_cbranch_vccnz .LBB8_822
; %bb.821:
	v_add_nc_u32_e32 v10, 0x80, v10
	s_mov_b32 s47, -1
	s_branch .LBB8_824
.LBB8_822:
	s_mov_b32 s47, 0
.LBB8_823:
                                        ; implicit-def: $vgpr10
.LBB8_824:
	s_andn2_b32 s26, s44, exec_lo
	s_and_b32 s0, s0, exec_lo
	s_andn2_b32 s48, s43, exec_lo
	s_and_b32 s1, s1, exec_lo
	s_or_b32 s27, s26, s0
	s_or_b32 s26, s48, s1
	s_orn2_b32 s48, s47, exec_lo
.LBB8_825:
	s_or_b32 exec_lo, exec_lo, s46
	s_mov_b32 s0, 0
	s_mov_b32 s1, 0
	;; [unrolled: 1-line block ×3, first 2 shown]
                                        ; implicit-def: $vgpr0_vgpr1
                                        ; implicit-def: $vgpr2
                                        ; implicit-def: $vgpr6_vgpr7
	s_and_saveexec_b32 s46, s48
	s_cbranch_execz .LBB8_925
; %bb.826:
	v_cmp_gt_i32_e32 vcc_lo, s37, v10
	s_mov_b32 s49, s26
	s_mov_b32 s48, 0
                                        ; implicit-def: $vgpr0_vgpr1
                                        ; implicit-def: $vgpr2
                                        ; implicit-def: $vgpr6_vgpr7
	s_and_saveexec_b32 s37, vcc_lo
	s_cbranch_execz .LBB8_924
; %bb.827:
	s_andn2_b32 vcc_lo, exec_lo, s31
	s_cbranch_vccnz .LBB8_832
; %bb.828:
	s_andn2_b32 vcc_lo, exec_lo, s39
	s_cbranch_vccnz .LBB8_833
; %bb.829:
	s_add_i32 s38, s38, 1
	s_cmp_eq_u32 s29, 2
	s_cbranch_scc1 .LBB8_834
; %bb.830:
	v_mov_b32_e32 v0, 0
	v_mov_b32_e32 v2, 0
	;; [unrolled: 1-line block ×3, first 2 shown]
	s_and_b32 s39, s38, 28
	s_mov_b64 s[0:1], s[2:3]
.LBB8_831:                              ; =>This Inner Loop Header: Depth=1
	s_clause 0x1
	s_load_dwordx8 s[48:55], s[0:1], 0x4
	s_load_dwordx4 s[64:67], s[0:1], 0x24
	s_load_dwordx8 s[56:63], s[24:25], 0x0
	s_add_u32 s0, s0, 48
	s_addc_u32 s1, s1, 0
	s_add_i32 s47, s47, 4
	s_add_u32 s24, s24, 32
	s_addc_u32 s25, s25, 0
	s_cmp_eq_u32 s39, s47
	s_waitcnt lgkmcnt(0)
	v_mul_hi_u32 v3, s49, v1
	v_add_nc_u32_e32 v3, v1, v3
	v_lshrrev_b32_e32 v3, s50, v3
	v_mul_hi_u32 v4, s52, v3
	s_waitcnt vmcnt(0)
	v_mul_lo_u32 v6, v3, s48
	v_add_nc_u32_e32 v4, v3, v4
	v_sub_nc_u32_e32 v1, v1, v6
	v_lshrrev_b32_e32 v4, s53, v4
	v_mul_lo_u32 v6, v1, s56
	v_mul_lo_u32 v8, v1, s57
	v_mul_hi_u32 v5, s55, v4
	v_add_nc_u32_e32 v5, v4, v5
	v_lshrrev_b32_e32 v5, s64, v5
	v_mul_hi_u32 v7, s66, v5
	v_mul_lo_u32 v9, v5, s54
	v_add_nc_u32_e32 v1, v5, v7
	v_mul_lo_u32 v7, v4, s51
	v_sub_nc_u32_e32 v4, v4, v9
	v_lshrrev_b32_e32 v1, s67, v1
	v_mul_lo_u32 v9, v4, s60
	v_mul_lo_u32 v4, v4, s61
	v_sub_nc_u32_e32 v3, v3, v7
	v_mul_lo_u32 v11, v1, s65
	v_mul_lo_u32 v7, v3, s58
	;; [unrolled: 1-line block ×3, first 2 shown]
	v_sub_nc_u32_e32 v5, v5, v11
	v_add3_u32 v2, v6, v2, v7
	v_mul_lo_u32 v11, v5, s62
	v_mul_lo_u32 v5, v5, s63
	v_add3_u32 v0, v8, v0, v3
	v_add3_u32 v2, v9, v2, v11
	;; [unrolled: 1-line block ×3, first 2 shown]
	s_cbranch_scc0 .LBB8_831
	s_branch .LBB8_835
.LBB8_832:
	s_mov_b32 s0, -1
                                        ; implicit-def: $vgpr2
                                        ; implicit-def: $vgpr0
	s_branch .LBB8_839
.LBB8_833:
	v_mov_b32_e32 v2, 0
	v_mov_b32_e32 v0, 0
	s_branch .LBB8_838
.LBB8_834:
	v_mov_b32_e32 v2, 0
	v_mov_b32_e32 v0, 0
	;; [unrolled: 1-line block ×3, first 2 shown]
	s_mov_b32 s39, 0
.LBB8_835:
	s_and_b32 s38, s38, 3
	s_cmp_eq_u32 s38, 0
	s_cbranch_scc1 .LBB8_838
; %bb.836:
	s_lshl_b32 s0, s39, 3
	s_mul_i32 s24, s39, 12
	s_add_u32 s0, s2, s0
	s_addc_u32 s1, s3, 0
	s_add_u32 s0, s0, 0xc4
	s_addc_u32 s1, s1, 0
	;; [unrolled: 2-line block ×3, first 2 shown]
.LBB8_837:                              ; =>This Inner Loop Header: Depth=1
	s_clause 0x1
	s_load_dwordx2 s[48:49], s[24:25], 0x4
	s_load_dword s39, s[24:25], 0xc
	s_load_dwordx2 s[50:51], s[0:1], 0x0
	s_add_u32 s24, s24, 12
	s_addc_u32 s25, s25, 0
	s_add_u32 s0, s0, 8
	s_addc_u32 s1, s1, 0
	s_add_i32 s38, s38, -1
	s_cmp_lg_u32 s38, 0
	s_waitcnt lgkmcnt(0)
	v_mul_hi_u32 v3, s49, v1
	v_add_nc_u32_e32 v3, v1, v3
	v_lshrrev_b32_e32 v4, s39, v3
	v_mul_lo_u32 v3, v4, s48
	v_sub_nc_u32_e32 v1, v1, v3
	v_mad_u64_u32 v[2:3], null, v1, s50, v[2:3]
	v_mad_u64_u32 v[0:1], null, v1, s51, v[0:1]
	v_mov_b32_e32 v1, v4
	s_cbranch_scc1 .LBB8_837
.LBB8_838:
	s_mov_b32 s0, 0
.LBB8_839:
	s_andn2_b32 vcc_lo, exec_lo, s0
	s_cbranch_vccnz .LBB8_842
; %bb.840:
	v_mul_hi_u32 v0, s21, v10
	s_andn2_b32 vcc_lo, exec_lo, s36
	v_add_nc_u32_e32 v0, v10, v0
	v_lshrrev_b32_e32 v1, s22, v0
	v_mul_lo_u32 v0, v1, s20
	v_sub_nc_u32_e32 v0, v10, v0
	v_mul_lo_u32 v2, v0, s16
	v_mul_lo_u32 v0, v0, s17
	s_cbranch_vccnz .LBB8_842
; %bb.841:
	v_mul_hi_u32 v3, s6, v1
	v_add_nc_u32_e32 v3, v1, v3
	v_lshrrev_b32_e32 v3, s7, v3
	v_mul_lo_u32 v3, v3, s23
	v_sub_nc_u32_e32 v1, v1, v3
	v_mad_u64_u32 v[2:3], null, v1, s18, v[2:3]
	v_mad_u64_u32 v[0:1], null, v1, s19, v[0:1]
.LBB8_842:
	v_add_co_u32 v0, s0, s10, v0
	v_add_co_ci_u32_e64 v1, null, s11, 0, s0
	s_and_b32 s0, 0xffff, s35
	s_cmp_lt_i32 s0, 11
	s_cbranch_scc1 .LBB8_849
; %bb.843:
	s_cmp_gt_i32 s0, 25
	s_mov_b32 s6, 0
	s_cbranch_scc0 .LBB8_850
; %bb.844:
	s_cmp_gt_i32 s0, 28
	s_cbranch_scc0 .LBB8_851
; %bb.845:
	s_cmp_gt_i32 s0, 43
	;; [unrolled: 3-line block ×3, first 2 shown]
	s_cbranch_scc0 .LBB8_855
; %bb.847:
	s_cmp_eq_u32 s0, 46
	s_mov_b32 s10, 0
	s_cbranch_scc0 .LBB8_858
; %bb.848:
	global_load_dword v3, v[0:1], off
	s_mov_b32 s1, 0
	s_mov_b32 s7, -1
	s_waitcnt vmcnt(0)
	v_lshlrev_b32_e32 v3, 16, v3
	v_cvt_f64_f32_e32 v[6:7], v3
	s_branch .LBB8_860
.LBB8_849:
	s_mov_b32 s0, -1
	s_mov_b32 s7, 0
	s_mov_b32 s6, 0
	;; [unrolled: 1-line block ×3, first 2 shown]
                                        ; implicit-def: $vgpr6_vgpr7
	s_branch .LBB8_923
.LBB8_850:
	s_mov_b32 s10, -1
	s_mov_b32 s7, 0
	s_mov_b32 s1, s26
                                        ; implicit-def: $vgpr6_vgpr7
	s_branch .LBB8_891
.LBB8_851:
	s_mov_b32 s10, -1
	s_mov_b32 s7, 0
	s_mov_b32 s1, s26
                                        ; implicit-def: $vgpr6_vgpr7
	s_branch .LBB8_870
.LBB8_852:
	s_mov_b32 s10, -1
	s_mov_b32 s7, 0
	s_mov_b32 s1, s26
                                        ; implicit-def: $vgpr6_vgpr7
	s_branch .LBB8_865
.LBB8_853:
	s_andn2_saveexec_b32 s49, s49
	s_cbranch_execz .LBB8_733
.LBB8_854:
	v_add_f32_e64 v3, 0x46000000, |v2|
	s_andn2_b32 s48, s48, exec_lo
	v_and_b32_e32 v3, 0xff, v3
	v_cmp_ne_u32_e32 vcc_lo, 0, v3
	s_and_b32 s50, vcc_lo, exec_lo
	s_or_b32 s48, s48, s50
	s_or_b32 exec_lo, exec_lo, s49
	v_mov_b32_e32 v6, 0
	s_and_saveexec_b32 s49, s48
	s_cbranch_execnz .LBB8_734
	s_branch .LBB8_735
.LBB8_855:
	s_mov_b32 s10, -1
	s_mov_b32 s7, 0
	s_mov_b32 s1, s26
	s_branch .LBB8_859
.LBB8_856:
	s_andn2_saveexec_b32 s49, s49
	s_cbranch_execz .LBB8_746
.LBB8_857:
	v_add_f32_e64 v3, 0x42800000, |v2|
	s_andn2_b32 s48, s48, exec_lo
	v_and_b32_e32 v3, 0xff, v3
	v_cmp_ne_u32_e32 vcc_lo, 0, v3
	s_and_b32 s50, vcc_lo, exec_lo
	s_or_b32 s48, s48, s50
	s_or_b32 exec_lo, exec_lo, s49
	v_mov_b32_e32 v6, 0
	s_and_saveexec_b32 s49, s48
	s_cbranch_execnz .LBB8_747
	s_branch .LBB8_748
.LBB8_858:
	s_mov_b32 s1, -1
	s_mov_b32 s7, 0
.LBB8_859:
                                        ; implicit-def: $vgpr6_vgpr7
.LBB8_860:
	s_and_b32 vcc_lo, exec_lo, s10
	s_cbranch_vccz .LBB8_864
; %bb.861:
	s_cmp_eq_u32 s0, 44
	s_cbranch_scc0 .LBB8_863
; %bb.862:
	global_load_ubyte v5, v[0:1], off
	s_mov_b32 s1, 0
	s_mov_b32 s7, -1
	s_waitcnt vmcnt(0)
	v_lshlrev_b32_e32 v3, 23, v5
	v_cmp_ne_u32_e32 vcc_lo, 0xff, v5
	v_cvt_f64_f32_e32 v[3:4], v3
	v_cndmask_b32_e32 v3, 0x20000000, v3, vcc_lo
	v_cndmask_b32_e32 v4, 0x7ff80000, v4, vcc_lo
	v_cmp_ne_u32_e32 vcc_lo, 0, v5
	v_cndmask_b32_e32 v7, 0x38000000, v4, vcc_lo
	v_cndmask_b32_e32 v6, 0, v3, vcc_lo
	s_branch .LBB8_864
.LBB8_863:
	s_mov_b32 s1, -1
                                        ; implicit-def: $vgpr6_vgpr7
.LBB8_864:
	s_mov_b32 s10, 0
.LBB8_865:
	s_and_b32 vcc_lo, exec_lo, s10
	s_cbranch_vccz .LBB8_869
; %bb.866:
	s_cmp_eq_u32 s0, 29
	s_cbranch_scc0 .LBB8_868
; %bb.867:
	global_load_dwordx2 v[3:4], v[0:1], off
	s_mov_b32 s1, 0
	s_mov_b32 s7, -1
	s_mov_b32 s10, 0
	s_waitcnt vmcnt(0)
	v_cvt_f64_u32_e32 v[4:5], v4
	v_cvt_f64_u32_e32 v[6:7], v3
	v_ldexp_f64 v[4:5], v[4:5], 32
	v_add_f64 v[6:7], v[4:5], v[6:7]
	s_branch .LBB8_870
.LBB8_868:
	s_mov_b32 s1, -1
                                        ; implicit-def: $vgpr6_vgpr7
.LBB8_869:
	s_mov_b32 s10, 0
.LBB8_870:
	s_and_b32 vcc_lo, exec_lo, s10
	s_cbranch_vccz .LBB8_890
; %bb.871:
	s_cmp_lt_i32 s0, 27
	s_cbranch_scc1 .LBB8_874
; %bb.872:
	s_cmp_gt_i32 s0, 27
	s_cbranch_scc0 .LBB8_875
; %bb.873:
	global_load_dword v3, v[0:1], off
	s_mov_b32 s7, 0
	s_waitcnt vmcnt(0)
	v_cvt_f64_u32_e32 v[6:7], v3
	s_branch .LBB8_876
.LBB8_874:
	s_mov_b32 s7, -1
                                        ; implicit-def: $vgpr6_vgpr7
	s_branch .LBB8_879
.LBB8_875:
	s_mov_b32 s7, -1
                                        ; implicit-def: $vgpr6_vgpr7
.LBB8_876:
	s_andn2_b32 vcc_lo, exec_lo, s7
	s_cbranch_vccnz .LBB8_878
; %bb.877:
	global_load_ushort v3, v[0:1], off
	s_waitcnt vmcnt(0)
	v_cvt_f64_u32_e32 v[6:7], v3
.LBB8_878:
	s_mov_b32 s7, 0
.LBB8_879:
	s_andn2_b32 vcc_lo, exec_lo, s7
	s_cbranch_vccnz .LBB8_889
; %bb.880:
	global_load_ubyte v3, v[0:1], off
	s_mov_b32 s7, 0
	s_mov_b32 s10, exec_lo
	s_waitcnt vmcnt(0)
	v_cmpx_lt_i16_e32 0x7f, v3
	s_xor_b32 s10, exec_lo, s10
	s_cbranch_execz .LBB8_884
; %bb.881:
	s_mov_b32 s7, -1
	s_mov_b32 s11, exec_lo
	v_cmpx_eq_u16_e32 0x80, v3
; %bb.882:
	s_xor_b32 s7, exec_lo, -1
; %bb.883:
	s_or_b32 exec_lo, exec_lo, s11
	s_and_b32 s7, s7, exec_lo
.LBB8_884:
	s_or_saveexec_b32 s10, s10
	v_bfrev_b32_e32 v6, 4
	v_mov_b32_e32 v7, 0x7ff80000
	s_xor_b32 exec_lo, exec_lo, s10
; %bb.885:
	v_cmp_ne_u16_e32 vcc_lo, 0, v3
	v_mov_b32_e32 v6, 0
	v_mov_b32_e32 v7, 0
	s_andn2_b32 s7, s7, exec_lo
	s_and_b32 s11, vcc_lo, exec_lo
	s_or_b32 s7, s7, s11
; %bb.886:
	s_or_b32 exec_lo, exec_lo, s10
	s_and_saveexec_b32 s10, s7
	s_cbranch_execz .LBB8_888
; %bb.887:
	v_and_b32_e32 v4, 0xffff, v3
	v_lshlrev_b32_e32 v3, 24, v3
	v_and_b32_e32 v5, 7, v4
	v_bfe_u32 v8, v4, 3, 4
	v_and_b32_e32 v3, 0x80000000, v3
	v_ffbh_u32_e32 v6, v5
	v_cmp_eq_u32_e32 vcc_lo, 0, v8
	v_min_u32_e32 v6, 32, v6
	v_subrev_nc_u32_e32 v7, 28, v6
	v_sub_nc_u32_e32 v6, 29, v6
	v_lshlrev_b32_e32 v4, v7, v4
	v_cndmask_b32_e32 v6, v8, v6, vcc_lo
	v_and_b32_e32 v4, 7, v4
	v_cndmask_b32_e32 v4, v5, v4, vcc_lo
	v_lshl_add_u32 v5, v6, 23, 0x3b800000
	v_lshlrev_b32_e32 v4, 20, v4
	v_or3_b32 v3, v3, v5, v4
	v_cvt_f64_f32_e32 v[6:7], v3
.LBB8_888:
	s_or_b32 exec_lo, exec_lo, s10
.LBB8_889:
	s_mov_b32 s7, -1
.LBB8_890:
	s_mov_b32 s10, 0
.LBB8_891:
	s_and_b32 vcc_lo, exec_lo, s10
	s_cbranch_vccz .LBB8_922
; %bb.892:
	s_cmp_gt_i32 s0, 22
	s_cbranch_scc0 .LBB8_904
; %bb.893:
	s_cmp_lt_i32 s0, 24
	s_cbranch_scc1 .LBB8_905
; %bb.894:
	s_cmp_gt_i32 s0, 24
	s_cbranch_scc0 .LBB8_906
; %bb.895:
	global_load_ubyte v3, v[0:1], off
	s_mov_b32 s7, exec_lo
	s_waitcnt vmcnt(0)
	v_cmpx_lt_i16_e32 0x7f, v3
	s_xor_b32 s7, exec_lo, s7
	s_cbranch_execz .LBB8_899
; %bb.896:
	s_mov_b32 s6, -1
	s_mov_b32 s10, exec_lo
	v_cmpx_eq_u16_e32 0x80, v3
; %bb.897:
	s_xor_b32 s6, exec_lo, -1
; %bb.898:
	s_or_b32 exec_lo, exec_lo, s10
	s_and_b32 s6, s6, exec_lo
.LBB8_899:
	s_or_saveexec_b32 s7, s7
	v_bfrev_b32_e32 v6, 4
	v_mov_b32_e32 v7, 0x7ff80000
	s_xor_b32 exec_lo, exec_lo, s7
; %bb.900:
	v_cmp_ne_u16_e32 vcc_lo, 0, v3
	v_mov_b32_e32 v6, 0
	v_mov_b32_e32 v7, 0
	s_andn2_b32 s6, s6, exec_lo
	s_and_b32 s10, vcc_lo, exec_lo
	s_or_b32 s6, s6, s10
; %bb.901:
	s_or_b32 exec_lo, exec_lo, s7
	s_and_saveexec_b32 s7, s6
	s_cbranch_execz .LBB8_903
; %bb.902:
	v_and_b32_e32 v4, 0xffff, v3
	v_lshlrev_b32_e32 v3, 24, v3
	v_and_b32_e32 v5, 3, v4
	v_bfe_u32 v8, v4, 2, 5
	v_and_b32_e32 v3, 0x80000000, v3
	v_ffbh_u32_e32 v6, v5
	v_cmp_eq_u32_e32 vcc_lo, 0, v8
	v_min_u32_e32 v6, 32, v6
	v_subrev_nc_u32_e32 v7, 29, v6
	v_sub_nc_u32_e32 v6, 30, v6
	v_lshlrev_b32_e32 v4, v7, v4
	v_cndmask_b32_e32 v6, v8, v6, vcc_lo
	v_and_b32_e32 v4, 3, v4
	v_cndmask_b32_e32 v4, v5, v4, vcc_lo
	v_lshl_add_u32 v5, v6, 23, 0x37800000
	v_lshlrev_b32_e32 v4, 21, v4
	v_or3_b32 v3, v3, v5, v4
	v_cvt_f64_f32_e32 v[6:7], v3
.LBB8_903:
	s_or_b32 exec_lo, exec_lo, s7
	s_mov_b32 s6, 0
	s_branch .LBB8_907
.LBB8_904:
	s_mov_b32 s6, -1
                                        ; implicit-def: $vgpr6_vgpr7
	s_branch .LBB8_913
.LBB8_905:
	s_mov_b32 s6, -1
                                        ; implicit-def: $vgpr6_vgpr7
	s_branch .LBB8_910
.LBB8_906:
	s_mov_b32 s6, -1
                                        ; implicit-def: $vgpr6_vgpr7
.LBB8_907:
	s_and_b32 vcc_lo, exec_lo, s6
	s_cbranch_vccz .LBB8_909
; %bb.908:
	global_load_ubyte v3, v[0:1], off
	s_waitcnt vmcnt(0)
	v_lshlrev_b32_e32 v3, 24, v3
	v_and_b32_e32 v4, 0x7f000000, v3
	v_ffbh_u32_e32 v5, v4
	v_add_nc_u32_e32 v7, 0x1000000, v4
	v_cmp_ne_u32_e32 vcc_lo, 0, v4
	v_min_u32_e32 v5, 32, v5
	v_sub_nc_u32_e64 v5, v5, 4 clamp
	v_lshlrev_b32_e32 v6, v5, v4
	v_lshlrev_b32_e32 v5, 23, v5
	v_lshrrev_b32_e32 v6, 4, v6
	v_sub_nc_u32_e32 v5, v6, v5
	v_ashrrev_i32_e32 v6, 8, v7
	v_add_nc_u32_e32 v5, 0x3c000000, v5
	v_and_or_b32 v5, 0x7f800000, v6, v5
	v_cndmask_b32_e32 v4, 0, v5, vcc_lo
	v_and_or_b32 v3, 0x80000000, v3, v4
	v_cvt_f64_f32_e32 v[6:7], v3
.LBB8_909:
	s_mov_b32 s6, 0
.LBB8_910:
	s_andn2_b32 vcc_lo, exec_lo, s6
	s_cbranch_vccnz .LBB8_912
; %bb.911:
	global_load_ubyte v3, v[0:1], off
	s_waitcnt vmcnt(0)
	v_lshlrev_b32_e32 v4, 25, v3
	v_lshlrev_b16 v3, 8, v3
	v_lshrrev_b32_e32 v5, 4, v4
	v_and_or_b32 v6, 0x7f00, v3, 0.5
	v_cmp_gt_u32_e32 vcc_lo, 0x8000000, v4
	v_bfe_i32 v3, v3, 0, 16
	v_or_b32_e32 v5, 0x70000000, v5
	v_add_f32_e32 v6, -0.5, v6
	v_mul_f32_e32 v5, 0x7800000, v5
	v_cndmask_b32_e32 v4, v5, v6, vcc_lo
	v_and_or_b32 v3, 0x80000000, v3, v4
	v_cvt_f64_f32_e32 v[6:7], v3
.LBB8_912:
	s_mov_b32 s6, 0
	s_mov_b32 s7, -1
.LBB8_913:
	s_andn2_b32 vcc_lo, exec_lo, s6
	s_mov_b32 s6, 0
	s_cbranch_vccnz .LBB8_922
; %bb.914:
	s_cmp_gt_i32 s0, 14
	s_cbranch_scc0 .LBB8_917
; %bb.915:
	s_cmp_eq_u32 s0, 15
	s_cbranch_scc0 .LBB8_918
; %bb.916:
	global_load_ushort v3, v[0:1], off
	s_mov_b32 s1, 0
	s_mov_b32 s7, -1
	s_waitcnt vmcnt(0)
	v_lshlrev_b32_e32 v3, 16, v3
	v_cvt_f64_f32_e32 v[6:7], v3
	s_branch .LBB8_920
.LBB8_917:
	s_mov_b32 s6, -1
	s_branch .LBB8_919
.LBB8_918:
	s_mov_b32 s1, -1
.LBB8_919:
                                        ; implicit-def: $vgpr6_vgpr7
.LBB8_920:
	s_and_b32 vcc_lo, exec_lo, s6
	s_mov_b32 s6, 0
	s_cbranch_vccz .LBB8_922
; %bb.921:
	s_cmp_lg_u32 s0, 11
	s_mov_b32 s6, -1
	s_cselect_b32 s0, -1, 0
	s_andn2_b32 s1, s1, exec_lo
	s_and_b32 s0, s0, exec_lo
	s_or_b32 s1, s1, s0
.LBB8_922:
	s_mov_b32 s0, 0
.LBB8_923:
	s_and_b32 s47, s7, exec_lo
	s_andn2_b32 s7, s26, exec_lo
	s_and_b32 s1, s1, exec_lo
	s_and_b32 s48, s0, exec_lo
	s_and_b32 s0, s6, exec_lo
	s_or_b32 s49, s7, s1
.LBB8_924:
	s_or_b32 exec_lo, exec_lo, s37
	s_andn2_b32 s6, s26, exec_lo
	s_and_b32 s7, s49, exec_lo
	s_and_b32 s47, s47, exec_lo
	;; [unrolled: 1-line block ×4, first 2 shown]
	s_or_b32 s26, s6, s7
.LBB8_925:
	s_or_b32 exec_lo, exec_lo, s46
	s_andn2_b32 s6, s44, exec_lo
	s_and_b32 s7, s27, exec_lo
	s_and_b32 s46, s47, exec_lo
	s_or_b32 s44, s6, s7
	s_andn2_b32 s6, s43, exec_lo
	s_and_b32 s7, s26, exec_lo
	s_and_b32 s27, s1, exec_lo
	;; [unrolled: 1-line block ×3, first 2 shown]
	s_or_b32 s43, s6, s7
.LBB8_926:
	s_or_b32 exec_lo, exec_lo, s45
	s_andn2_b32 s0, s40, exec_lo
	s_and_b32 s6, s44, exec_lo
	s_and_b32 s7, s43, exec_lo
	s_or_b32 s40, s0, s6
	s_andn2_b32 s6, s41, exec_lo
	s_and_b32 s0, s46, exec_lo
	s_and_b32 s26, s27, exec_lo
	;; [unrolled: 1-line block ×3, first 2 shown]
	s_or_b32 s41, s6, s7
	s_or_b32 exec_lo, exec_lo, s42
	s_mov_b32 s1, 0
	s_and_saveexec_b32 s6, s41
	s_cbranch_execz .LBB8_276
.LBB8_927:
	s_mov_b32 s1, exec_lo
	s_andn2_b32 s43, s43, exec_lo
	s_trap 2
	s_or_b32 exec_lo, exec_lo, s6
	s_and_saveexec_b32 s6, s43
	s_xor_b32 s6, exec_lo, s6
	s_cbranch_execnz .LBB8_277
.LBB8_928:
	s_or_b32 exec_lo, exec_lo, s6
	s_and_saveexec_b32 s6, s26
	s_cbranch_execz .LBB8_974
.LBB8_929:
	s_sext_i32_i16 s7, s35
	s_cmp_lt_i32 s7, 5
	s_cbranch_scc1 .LBB8_934
; %bb.930:
	s_cmp_lt_i32 s7, 8
	s_cbranch_scc1 .LBB8_935
; %bb.931:
	;; [unrolled: 3-line block ×3, first 2 shown]
	s_cmp_gt_i32 s7, 9
	s_cbranch_scc0 .LBB8_937
; %bb.933:
	global_load_dwordx2 v[6:7], v[0:1], off
	s_mov_b32 s7, 0
	s_branch .LBB8_938
.LBB8_934:
                                        ; implicit-def: $vgpr6_vgpr7
	s_branch .LBB8_955
.LBB8_935:
                                        ; implicit-def: $vgpr6_vgpr7
	s_branch .LBB8_944
.LBB8_936:
	s_mov_b32 s7, -1
                                        ; implicit-def: $vgpr6_vgpr7
	s_branch .LBB8_941
.LBB8_937:
	s_mov_b32 s7, -1
                                        ; implicit-def: $vgpr6_vgpr7
.LBB8_938:
	s_andn2_b32 vcc_lo, exec_lo, s7
	s_cbranch_vccnz .LBB8_940
; %bb.939:
	global_load_dword v3, v[0:1], off
	s_waitcnt vmcnt(0)
	v_cvt_f64_f32_e32 v[6:7], v3
.LBB8_940:
	s_mov_b32 s7, 0
.LBB8_941:
	s_andn2_b32 vcc_lo, exec_lo, s7
	s_cbranch_vccnz .LBB8_943
; %bb.942:
	global_load_dword v3, v[0:1], off
	s_waitcnt vmcnt(0)
	v_cvt_f32_f16_e32 v3, v3
	v_cvt_f64_f32_e32 v[6:7], v3
.LBB8_943:
	s_cbranch_execnz .LBB8_954
.LBB8_944:
	s_sext_i32_i16 s7, s35
	s_cmp_lt_i32 s7, 6
	s_cbranch_scc1 .LBB8_947
; %bb.945:
	s_cmp_gt_i32 s7, 6
	s_cbranch_scc0 .LBB8_948
; %bb.946:
	global_load_dwordx2 v[6:7], v[0:1], off
	s_mov_b32 s7, 0
	s_branch .LBB8_949
.LBB8_947:
	s_mov_b32 s7, -1
                                        ; implicit-def: $vgpr6_vgpr7
	s_branch .LBB8_952
.LBB8_948:
	s_mov_b32 s7, -1
                                        ; implicit-def: $vgpr6_vgpr7
.LBB8_949:
	s_andn2_b32 vcc_lo, exec_lo, s7
	s_cbranch_vccnz .LBB8_951
; %bb.950:
	global_load_dword v3, v[0:1], off
	s_waitcnt vmcnt(0)
	v_cvt_f64_f32_e32 v[6:7], v3
.LBB8_951:
	s_mov_b32 s7, 0
.LBB8_952:
	s_andn2_b32 vcc_lo, exec_lo, s7
	s_cbranch_vccnz .LBB8_954
; %bb.953:
	global_load_ushort v3, v[0:1], off
	s_waitcnt vmcnt(0)
	v_cvt_f32_f16_e32 v3, v3
	v_cvt_f64_f32_e32 v[6:7], v3
.LBB8_954:
	s_cbranch_execnz .LBB8_973
.LBB8_955:
	s_sext_i32_i16 s7, s35
	s_cmp_lt_i32 s7, 2
	s_cbranch_scc1 .LBB8_959
; %bb.956:
	s_cmp_lt_i32 s7, 3
	s_cbranch_scc1 .LBB8_960
; %bb.957:
	s_cmp_gt_i32 s7, 3
	s_cbranch_scc0 .LBB8_961
; %bb.958:
	global_load_dwordx2 v[3:4], v[0:1], off
	s_mov_b32 s7, 0
	s_waitcnt vmcnt(0)
	v_cvt_f64_i32_e32 v[4:5], v4
	v_cvt_f64_u32_e32 v[6:7], v3
	v_ldexp_f64 v[4:5], v[4:5], 32
	v_add_f64 v[6:7], v[4:5], v[6:7]
	s_branch .LBB8_962
.LBB8_959:
                                        ; implicit-def: $vgpr6_vgpr7
	s_branch .LBB8_968
.LBB8_960:
	s_mov_b32 s7, -1
                                        ; implicit-def: $vgpr6_vgpr7
	s_branch .LBB8_965
.LBB8_961:
	s_mov_b32 s7, -1
                                        ; implicit-def: $vgpr6_vgpr7
.LBB8_962:
	s_andn2_b32 vcc_lo, exec_lo, s7
	s_cbranch_vccnz .LBB8_964
; %bb.963:
	global_load_dword v3, v[0:1], off
	s_waitcnt vmcnt(0)
	v_cvt_f64_i32_e32 v[6:7], v3
.LBB8_964:
	s_mov_b32 s7, 0
.LBB8_965:
	s_andn2_b32 vcc_lo, exec_lo, s7
	s_cbranch_vccnz .LBB8_967
; %bb.966:
	global_load_sshort v3, v[0:1], off
	s_waitcnt vmcnt(0)
	v_cvt_f64_i32_e32 v[6:7], v3
.LBB8_967:
	s_cbranch_execnz .LBB8_973
.LBB8_968:
	s_sext_i32_i16 s7, s35
	s_cmp_gt_i32 s7, 0
	s_mov_b32 s7, 0
	s_cbranch_scc0 .LBB8_970
; %bb.969:
	global_load_sbyte v3, v[0:1], off
	s_waitcnt vmcnt(0)
	v_cvt_f64_i32_e32 v[6:7], v3
	s_branch .LBB8_971
.LBB8_970:
	s_mov_b32 s7, -1
                                        ; implicit-def: $vgpr6_vgpr7
.LBB8_971:
	s_andn2_b32 vcc_lo, exec_lo, s7
	s_cbranch_vccnz .LBB8_973
; %bb.972:
	global_load_ubyte v0, v[0:1], off
	s_waitcnt vmcnt(0)
	v_cvt_f64_u32_e32 v[6:7], v0
.LBB8_973:
	s_or_b32 s0, s0, exec_lo
.LBB8_974:
	s_or_b32 exec_lo, exec_lo, s6
	s_mov_b32 s11, 0
	s_mov_b32 s10, 0
                                        ; implicit-def: $sgpr6
                                        ; implicit-def: $vgpr4_vgpr5
                                        ; implicit-def: $vgpr0_vgpr1
	s_and_saveexec_b32 s7, s0
	s_cbranch_execz .LBB8_984
; %bb.975:
	s_waitcnt vmcnt(0)
	v_cvt_f32_f64_e32 v0, v[6:7]
	s_mov_b32 s0, exec_lo
	v_cmpx_nlg_f32_e64 0x7f800000, |v0|
	s_cbranch_execz .LBB8_977
; %bb.976:
	v_mov_b32_e32 v0, 0
	v_mov_b32_e32 v1, 1.0
	global_store_dword v0, v1, s[12:13]
.LBB8_977:
	s_or_b32 exec_lo, exec_lo, s0
	v_mov_b32_e32 v0, 0
	v_add_co_u32 v4, s0, s8, v2
	v_add_co_ci_u32_e64 v5, null, s9, 0, s0
	global_load_dword v3, v0, s[14:15]
	s_and_b32 s6, s34, 0xff
	s_cmp_lt_i32 s6, 11
	s_waitcnt vmcnt(0)
	v_cvt_f64_f32_e32 v[0:1], v3
	v_cmp_eq_f32_e32 vcc_lo, 1.0, v3
	v_mul_f64 v[0:1], v[6:7], v[0:1]
	v_cndmask_b32_e32 v1, v1, v7, vcc_lo
	v_cndmask_b32_e32 v0, v0, v6, vcc_lo
	s_cbranch_scc1 .LBB8_987
; %bb.978:
	s_and_b32 s8, 0xffff, s6
	s_mov_b32 s9, -1
	s_cmp_gt_i32 s8, 25
	s_mov_b32 s0, s40
	s_cbranch_scc0 .LBB8_1015
; %bb.979:
	s_cmp_gt_i32 s8, 28
	s_mov_b32 s0, s40
	s_cbranch_scc0 .LBB8_999
; %bb.980:
	s_cmp_gt_i32 s8, 43
	s_mov_b32 s0, s40
	s_cbranch_scc0 .LBB8_995
; %bb.981:
	s_cmp_gt_i32 s8, 45
	s_mov_b32 s0, s40
	s_cbranch_scc0 .LBB8_989
; %bb.982:
	s_cmp_eq_u32 s8, 46
	s_mov_b32 s0, -1
	s_cbranch_scc0 .LBB8_988
; %bb.983:
	v_cvt_f32_f64_e32 v2, v[0:1]
	s_mov_b32 s0, 0
	s_mov_b32 s9, 0
	v_bfe_u32 v3, v2, 16, 1
	v_cmp_o_f32_e32 vcc_lo, v2, v2
	v_add3_u32 v2, v2, v3, 0x7fff
	v_mov_b32_e32 v3, 0x7fc0
	v_cndmask_b32_sdwa v2, v3, v2, vcc_lo dst_sel:DWORD dst_unused:UNUSED_PAD src0_sel:DWORD src1_sel:WORD_1
	global_store_dword v[4:5], v2, off
	s_branch .LBB8_989
.LBB8_984:
	s_or_b32 exec_lo, exec_lo, s7
	s_and_saveexec_b32 s0, s40
	s_cbranch_execnz .LBB8_1057
.LBB8_985:
	s_or_b32 exec_lo, exec_lo, s0
	s_and_saveexec_b32 s0, s11
	s_xor_b32 s0, exec_lo, s0
	s_cbranch_execz .LBB8_1058
.LBB8_986:
	v_cmp_neq_f64_e32 vcc_lo, 0, v[0:1]
	v_cndmask_b32_e64 v2, 0, 1, vcc_lo
	global_store_byte v[4:5], v2, off
	s_or_b32 exec_lo, exec_lo, s0
	s_and_saveexec_b32 s0, s10
	s_xor_b32 s0, exec_lo, s0
	s_cbranch_execz .LBB8_1096
	s_branch .LBB8_1059
.LBB8_987:
	s_mov_b32 s9, -1
	s_mov_b32 s0, s40
	s_branch .LBB8_1056
.LBB8_988:
	s_mov_b32 s9, 0
.LBB8_989:
	s_and_b32 vcc_lo, exec_lo, s9
	s_cbranch_vccz .LBB8_994
; %bb.990:
	s_cmp_eq_u32 s8, 44
	s_mov_b32 s0, -1
	s_cbranch_scc0 .LBB8_994
; %bb.991:
	v_cvt_f32_f64_e32 v2, v[0:1]
	v_mov_b32_e32 v3, 0xff
	s_mov_b32 s9, exec_lo
	v_bfe_u32 v6, v2, 23, 8
	v_cmpx_ne_u32_e32 0xff, v6
	s_cbranch_execz .LBB8_993
; %bb.992:
	v_and_b32_e32 v3, 0x400000, v2
	v_and_or_b32 v6, 0x3fffff, v2, v6
	v_lshrrev_b32_e32 v2, 23, v2
	v_cmp_ne_u32_e32 vcc_lo, 0, v3
	v_cmp_ne_u32_e64 s0, 0, v6
	s_and_b32 s0, vcc_lo, s0
	v_cndmask_b32_e64 v3, 0, 1, s0
	v_add_nc_u32_e32 v3, v2, v3
.LBB8_993:
	s_or_b32 exec_lo, exec_lo, s9
	s_mov_b32 s0, 0
	global_store_byte v[4:5], v3, off
.LBB8_994:
	s_mov_b32 s9, 0
.LBB8_995:
	s_and_b32 vcc_lo, exec_lo, s9
	s_cbranch_vccz .LBB8_998
; %bb.996:
	s_cmp_eq_u32 s8, 29
	s_mov_b32 s0, -1
	s_cbranch_scc0 .LBB8_998
; %bb.997:
	v_trunc_f64_e32 v[2:3], v[0:1]
	s_mov_b32 s0, 0
	s_mov_b32 s9, 0
	v_ldexp_f64 v[6:7], v[2:3], 0xffffffe0
	v_floor_f64_e32 v[6:7], v[6:7]
	v_fma_f64 v[2:3], 0xc1f00000, v[6:7], v[2:3]
	v_cvt_u32_f64_e32 v7, v[6:7]
	v_cvt_u32_f64_e32 v6, v[2:3]
	global_store_dwordx2 v[4:5], v[6:7], off
	s_branch .LBB8_999
.LBB8_998:
	s_mov_b32 s9, 0
.LBB8_999:
	s_and_b32 vcc_lo, exec_lo, s9
	s_cbranch_vccz .LBB8_1014
; %bb.1000:
	s_cmp_lt_i32 s8, 27
	s_mov_b32 s9, -1
	s_cbranch_scc1 .LBB8_1006
; %bb.1001:
	s_cmp_gt_i32 s8, 27
	s_cbranch_scc0 .LBB8_1003
; %bb.1002:
	v_cvt_u32_f64_e32 v2, v[0:1]
	s_mov_b32 s9, 0
	global_store_dword v[4:5], v2, off
.LBB8_1003:
	s_andn2_b32 vcc_lo, exec_lo, s9
	s_cbranch_vccnz .LBB8_1005
; %bb.1004:
	v_cvt_u32_f64_e32 v2, v[0:1]
	global_store_short v[4:5], v2, off
.LBB8_1005:
	s_mov_b32 s9, 0
.LBB8_1006:
	s_andn2_b32 vcc_lo, exec_lo, s9
	s_cbranch_vccnz .LBB8_1014
; %bb.1007:
	v_cvt_f32_f64_e32 v2, v[0:1]
	v_mov_b32_e32 v6, 0x80
	s_mov_b32 s9, exec_lo
	v_and_b32_e32 v3, 0x7fffffff, v2
	v_cmpx_gt_u32_e32 0x43800000, v3
	s_cbranch_execz .LBB8_1013
; %bb.1008:
	v_cmp_lt_u32_e32 vcc_lo, 0x3bffffff, v3
                                        ; implicit-def: $vgpr3
	s_and_saveexec_b32 s11, vcc_lo
	s_xor_b32 s11, exec_lo, s11
	s_cbranch_execz .LBB8_1167
; %bb.1009:
	v_bfe_u32 v3, v2, 20, 1
	s_mov_b32 s10, exec_lo
	v_add3_u32 v3, v2, v3, 0x487ffff
	v_lshrrev_b32_e32 v3, 20, v3
	s_andn2_saveexec_b32 s11, s11
	s_cbranch_execnz .LBB8_1168
.LBB8_1010:
	s_or_b32 exec_lo, exec_lo, s11
	v_mov_b32_e32 v6, 0
	s_and_saveexec_b32 s11, s10
.LBB8_1011:
	v_lshrrev_b32_e32 v2, 24, v2
	v_and_or_b32 v6, 0x80, v2, v3
.LBB8_1012:
	s_or_b32 exec_lo, exec_lo, s11
.LBB8_1013:
	s_or_b32 exec_lo, exec_lo, s9
	global_store_byte v[4:5], v6, off
.LBB8_1014:
	s_mov_b32 s9, 0
.LBB8_1015:
	s_and_b32 vcc_lo, exec_lo, s9
	s_mov_b32 s9, 0
	s_cbranch_vccz .LBB8_1055
; %bb.1016:
	s_cmp_gt_i32 s8, 22
	s_mov_b32 s10, -1
	s_cbranch_scc0 .LBB8_1048
; %bb.1017:
	s_cmp_lt_i32 s8, 24
	s_cbranch_scc1 .LBB8_1037
; %bb.1018:
	s_cmp_gt_i32 s8, 24
	s_cbranch_scc0 .LBB8_1026
; %bb.1019:
	v_cvt_f32_f64_e32 v2, v[0:1]
	v_mov_b32_e32 v6, 0x80
	s_mov_b32 s10, exec_lo
	v_and_b32_e32 v3, 0x7fffffff, v2
	v_cmpx_gt_u32_e32 0x47800000, v3
	s_cbranch_execz .LBB8_1025
; %bb.1020:
	v_cmp_lt_u32_e32 vcc_lo, 0x37ffffff, v3
	s_mov_b32 s11, 0
                                        ; implicit-def: $vgpr3
	s_and_saveexec_b32 s12, vcc_lo
	s_xor_b32 s12, exec_lo, s12
	s_cbranch_execz .LBB8_1295
; %bb.1021:
	v_bfe_u32 v3, v2, 21, 1
	s_mov_b32 s11, exec_lo
	v_add3_u32 v3, v2, v3, 0x88fffff
	v_lshrrev_b32_e32 v3, 21, v3
	s_andn2_saveexec_b32 s12, s12
	s_cbranch_execnz .LBB8_1296
.LBB8_1022:
	s_or_b32 exec_lo, exec_lo, s12
	v_mov_b32_e32 v6, 0
	s_and_saveexec_b32 s12, s11
.LBB8_1023:
	v_lshrrev_b32_e32 v2, 24, v2
	v_and_or_b32 v6, 0x80, v2, v3
.LBB8_1024:
	s_or_b32 exec_lo, exec_lo, s12
.LBB8_1025:
	s_or_b32 exec_lo, exec_lo, s10
	s_mov_b32 s10, 0
	global_store_byte v[4:5], v6, off
.LBB8_1026:
	s_and_b32 vcc_lo, exec_lo, s10
	s_cbranch_vccz .LBB8_1036
; %bb.1027:
	v_cvt_f32_f64_e32 v2, v[0:1]
	s_mov_b32 s10, exec_lo
                                        ; implicit-def: $vgpr3
	v_and_b32_e32 v6, 0x7fffffff, v2
	v_cmpx_gt_u32_e32 0x43f00000, v6
	s_xor_b32 s10, exec_lo, s10
	s_cbranch_execz .LBB8_1033
; %bb.1028:
	s_mov_b32 s11, exec_lo
                                        ; implicit-def: $vgpr3
	v_cmpx_lt_u32_e32 0x3c7fffff, v6
	s_xor_b32 s11, exec_lo, s11
; %bb.1029:
	v_bfe_u32 v3, v2, 20, 1
	v_add3_u32 v3, v2, v3, 0x407ffff
	v_and_b32_e32 v6, 0xff00000, v3
	v_lshrrev_b32_e32 v3, 20, v3
	v_cmp_ne_u32_e32 vcc_lo, 0x7f00000, v6
	v_cndmask_b32_e32 v3, 0x7e, v3, vcc_lo
; %bb.1030:
	s_andn2_saveexec_b32 s11, s11
; %bb.1031:
	v_add_f32_e64 v3, 0x46800000, |v2|
; %bb.1032:
	s_or_b32 exec_lo, exec_lo, s11
                                        ; implicit-def: $vgpr6
.LBB8_1033:
	s_andn2_saveexec_b32 s10, s10
; %bb.1034:
	v_mov_b32_e32 v3, 0x7f
	v_cmp_lt_u32_e32 vcc_lo, 0x7f800000, v6
	v_cndmask_b32_e32 v3, 0x7e, v3, vcc_lo
; %bb.1035:
	s_or_b32 exec_lo, exec_lo, s10
	v_lshrrev_b32_e32 v2, 24, v2
	v_and_or_b32 v2, 0x80, v2, v3
	global_store_byte v[4:5], v2, off
.LBB8_1036:
	s_mov_b32 s10, 0
.LBB8_1037:
	s_andn2_b32 vcc_lo, exec_lo, s10
	s_cbranch_vccnz .LBB8_1047
; %bb.1038:
	v_cvt_f32_f64_e32 v2, v[0:1]
	s_mov_b32 s10, exec_lo
                                        ; implicit-def: $vgpr3
	v_and_b32_e32 v6, 0x7fffffff, v2
	v_cmpx_gt_u32_e32 0x47800000, v6
	s_xor_b32 s10, exec_lo, s10
	s_cbranch_execz .LBB8_1044
; %bb.1039:
	s_mov_b32 s11, exec_lo
                                        ; implicit-def: $vgpr3
	v_cmpx_lt_u32_e32 0x387fffff, v6
	s_xor_b32 s11, exec_lo, s11
; %bb.1040:
	v_bfe_u32 v3, v2, 21, 1
	v_add3_u32 v3, v2, v3, 0x80fffff
	v_lshrrev_b32_e32 v3, 21, v3
; %bb.1041:
	s_andn2_saveexec_b32 s11, s11
; %bb.1042:
	v_add_f32_e64 v3, 0x43000000, |v2|
; %bb.1043:
	s_or_b32 exec_lo, exec_lo, s11
                                        ; implicit-def: $vgpr6
.LBB8_1044:
	s_andn2_saveexec_b32 s10, s10
; %bb.1045:
	v_mov_b32_e32 v3, 0x7f
	v_cmp_lt_u32_e32 vcc_lo, 0x7f800000, v6
	v_cndmask_b32_e32 v3, 0x7c, v3, vcc_lo
; %bb.1046:
	s_or_b32 exec_lo, exec_lo, s10
	v_lshrrev_b32_e32 v2, 24, v2
	v_and_or_b32 v2, 0x80, v2, v3
	global_store_byte v[4:5], v2, off
.LBB8_1047:
	s_mov_b32 s10, 0
.LBB8_1048:
	s_andn2_b32 vcc_lo, exec_lo, s10
	s_mov_b32 s11, 0
	s_cbranch_vccnz .LBB8_1056
; %bb.1049:
	s_cmp_gt_i32 s8, 14
	s_mov_b32 s10, -1
	s_cbranch_scc0 .LBB8_1053
; %bb.1050:
	s_cmp_eq_u32 s8, 15
	s_mov_b32 s0, -1
	s_cbranch_scc0 .LBB8_1052
; %bb.1051:
	v_cvt_f32_f64_e32 v2, v[0:1]
	s_mov_b32 s0, 0
	v_bfe_u32 v3, v2, 16, 1
	v_cmp_o_f32_e32 vcc_lo, v2, v2
	v_add3_u32 v2, v2, v3, 0x7fff
	v_mov_b32_e32 v3, 0x7fc0
	v_cndmask_b32_sdwa v2, v3, v2, vcc_lo dst_sel:DWORD dst_unused:UNUSED_PAD src0_sel:DWORD src1_sel:WORD_1
	global_store_short v[4:5], v2, off
.LBB8_1052:
	s_mov_b32 s10, 0
.LBB8_1053:
	s_and_b32 vcc_lo, exec_lo, s10
	s_cbranch_vccz .LBB8_1056
; %bb.1054:
	s_cmp_lg_u32 s8, 11
	s_mov_b32 s11, -1
	s_cselect_b32 s8, -1, 0
	s_andn2_b32 s0, s0, exec_lo
	s_and_b32 s8, s8, exec_lo
	s_or_b32 s0, s0, s8
	s_branch .LBB8_1056
.LBB8_1055:
	s_mov_b32 s11, 0
.LBB8_1056:
	s_andn2_b32 s8, s40, exec_lo
	s_and_b32 s0, s0, exec_lo
	s_and_b32 s10, s9, exec_lo
	;; [unrolled: 1-line block ×3, first 2 shown]
	s_or_b32 s40, s8, s0
	s_or_b32 exec_lo, exec_lo, s7
	s_and_saveexec_b32 s0, s40
	s_cbranch_execz .LBB8_985
.LBB8_1057:
	s_or_b32 s1, s1, exec_lo
	s_andn2_b32 s11, s11, exec_lo
	s_trap 2
	s_or_b32 exec_lo, exec_lo, s0
	s_and_saveexec_b32 s0, s11
	s_xor_b32 s0, exec_lo, s0
	s_cbranch_execnz .LBB8_986
.LBB8_1058:
	s_or_b32 exec_lo, exec_lo, s0
	s_and_saveexec_b32 s0, s10
	s_xor_b32 s0, exec_lo, s0
	s_cbranch_execz .LBB8_1096
.LBB8_1059:
	s_sext_i32_i16 s8, s6
	s_mov_b32 s7, -1
	s_cmp_lt_i32 s8, 5
	s_cbranch_scc1 .LBB8_1080
; %bb.1060:
	s_cmp_lt_i32 s8, 8
	s_cbranch_scc1 .LBB8_1070
; %bb.1061:
	;; [unrolled: 3-line block ×3, first 2 shown]
	s_cmp_gt_i32 s8, 9
	s_cbranch_scc0 .LBB8_1064
; %bb.1063:
	v_mov_b32_e32 v2, 0
	s_mov_b32 s7, 0
	v_mov_b32_e32 v3, v2
	global_store_dwordx4 v[4:5], v[0:3], off
.LBB8_1064:
	s_andn2_b32 vcc_lo, exec_lo, s7
	s_cbranch_vccnz .LBB8_1066
; %bb.1065:
	v_cvt_f32_f64_e32 v2, v[0:1]
	v_mov_b32_e32 v3, 0
	global_store_dwordx2 v[4:5], v[2:3], off
.LBB8_1066:
	s_mov_b32 s7, 0
.LBB8_1067:
	s_andn2_b32 vcc_lo, exec_lo, s7
	s_cbranch_vccnz .LBB8_1069
; %bb.1068:
	v_and_or_b32 v2, 0x1ff, v1, v0
	v_lshrrev_b32_e32 v3, 8, v1
	s_waitcnt vmcnt(0)
	v_bfe_u32 v6, v1, 20, 11
	v_cmp_ne_u32_e32 vcc_lo, 0, v2
	v_sub_nc_u32_e32 v7, 0x3f1, v6
	v_add_nc_u32_e32 v6, 0xfffffc10, v6
	v_cndmask_b32_e64 v2, 0, 1, vcc_lo
	v_and_or_b32 v2, 0xffe, v3, v2
	v_med3_i32 v3, v7, 0, 13
	v_or_b32_e32 v7, 0x1000, v2
	v_lshrrev_b32_e32 v8, v3, v7
	v_lshlrev_b32_e32 v3, v3, v8
	v_cmp_ne_u32_e32 vcc_lo, v3, v7
	v_lshl_or_b32 v7, v6, 12, v2
	v_cndmask_b32_e64 v3, 0, 1, vcc_lo
	v_cmp_gt_i32_e32 vcc_lo, 1, v6
	v_or_b32_e32 v3, v8, v3
	v_cndmask_b32_e32 v3, v7, v3, vcc_lo
	v_and_b32_e32 v7, 7, v3
	v_lshrrev_b32_e32 v3, 2, v3
	v_cmp_lt_i32_e32 vcc_lo, 5, v7
	v_cndmask_b32_e64 v8, 0, 1, vcc_lo
	v_cmp_eq_u32_e32 vcc_lo, 3, v7
	v_cndmask_b32_e64 v7, 0, 1, vcc_lo
	v_cmp_ne_u32_e32 vcc_lo, 0, v2
	v_or_b32_e32 v7, v7, v8
	v_mov_b32_e32 v8, 0x7e00
	v_add_nc_u32_e32 v3, v3, v7
	v_cndmask_b32_e32 v2, 0x7c00, v8, vcc_lo
	v_cmp_gt_i32_e32 vcc_lo, 31, v6
	v_cndmask_b32_e32 v3, 0x7c00, v3, vcc_lo
	v_cmp_eq_u32_e32 vcc_lo, 0x40f, v6
	v_cndmask_b32_e32 v2, v3, v2, vcc_lo
	v_lshrrev_b32_e32 v3, 16, v1
	v_and_or_b32 v2, 0x8000, v3, v2
	v_and_b32_e32 v2, 0xffff, v2
	global_store_dword v[4:5], v2, off
.LBB8_1069:
	s_mov_b32 s7, 0
.LBB8_1070:
	s_andn2_b32 vcc_lo, exec_lo, s7
	s_cbranch_vccnz .LBB8_1079
; %bb.1071:
	s_sext_i32_i16 s8, s6
	s_mov_b32 s7, -1
	s_cmp_lt_i32 s8, 6
	s_cbranch_scc1 .LBB8_1077
; %bb.1072:
	s_cmp_gt_i32 s8, 6
	s_cbranch_scc0 .LBB8_1074
; %bb.1073:
	s_mov_b32 s7, 0
	global_store_dwordx2 v[4:5], v[0:1], off
.LBB8_1074:
	s_andn2_b32 vcc_lo, exec_lo, s7
	s_cbranch_vccnz .LBB8_1076
; %bb.1075:
	v_cvt_f32_f64_e32 v2, v[0:1]
	global_store_dword v[4:5], v2, off
.LBB8_1076:
	s_mov_b32 s7, 0
.LBB8_1077:
	s_andn2_b32 vcc_lo, exec_lo, s7
	s_cbranch_vccnz .LBB8_1079
; %bb.1078:
	v_and_or_b32 v2, 0x1ff, v1, v0
	v_lshrrev_b32_e32 v3, 8, v1
	s_waitcnt vmcnt(0)
	v_bfe_u32 v6, v1, 20, 11
	v_cmp_ne_u32_e32 vcc_lo, 0, v2
	v_sub_nc_u32_e32 v7, 0x3f1, v6
	v_add_nc_u32_e32 v6, 0xfffffc10, v6
	v_cndmask_b32_e64 v2, 0, 1, vcc_lo
	v_and_or_b32 v2, 0xffe, v3, v2
	v_med3_i32 v3, v7, 0, 13
	v_or_b32_e32 v7, 0x1000, v2
	v_lshrrev_b32_e32 v8, v3, v7
	v_lshlrev_b32_e32 v3, v3, v8
	v_cmp_ne_u32_e32 vcc_lo, v3, v7
	v_lshl_or_b32 v7, v6, 12, v2
	v_cndmask_b32_e64 v3, 0, 1, vcc_lo
	v_cmp_gt_i32_e32 vcc_lo, 1, v6
	v_or_b32_e32 v3, v8, v3
	v_cndmask_b32_e32 v3, v7, v3, vcc_lo
	v_and_b32_e32 v7, 7, v3
	v_lshrrev_b32_e32 v3, 2, v3
	v_cmp_lt_i32_e32 vcc_lo, 5, v7
	v_cndmask_b32_e64 v8, 0, 1, vcc_lo
	v_cmp_eq_u32_e32 vcc_lo, 3, v7
	v_cndmask_b32_e64 v7, 0, 1, vcc_lo
	v_cmp_ne_u32_e32 vcc_lo, 0, v2
	v_or_b32_e32 v7, v7, v8
	v_mov_b32_e32 v8, 0x7e00
	v_add_nc_u32_e32 v3, v3, v7
	v_cndmask_b32_e32 v2, 0x7c00, v8, vcc_lo
	v_cmp_gt_i32_e32 vcc_lo, 31, v6
	v_cndmask_b32_e32 v3, 0x7c00, v3, vcc_lo
	v_cmp_eq_u32_e32 vcc_lo, 0x40f, v6
	v_cndmask_b32_e32 v2, v3, v2, vcc_lo
	v_lshrrev_b32_e32 v3, 16, v1
	v_and_or_b32 v2, 0x8000, v3, v2
	global_store_short v[4:5], v2, off
.LBB8_1079:
	s_mov_b32 s7, 0
.LBB8_1080:
	s_andn2_b32 vcc_lo, exec_lo, s7
	s_cbranch_vccnz .LBB8_1096
; %bb.1081:
	s_sext_i32_i16 s8, s6
	s_mov_b32 s7, -1
	s_cmp_lt_i32 s8, 2
	s_cbranch_scc1 .LBB8_1091
; %bb.1082:
	s_cmp_lt_i32 s8, 3
	s_cbranch_scc1 .LBB8_1088
; %bb.1083:
	s_cmp_gt_i32 s8, 3
	s_cbranch_scc0 .LBB8_1085
; %bb.1084:
	v_trunc_f64_e32 v[2:3], v[0:1]
	s_mov_b32 s7, 0
	s_waitcnt vmcnt(0)
	v_ldexp_f64 v[6:7], v[2:3], 0xffffffe0
	v_floor_f64_e32 v[6:7], v[6:7]
	v_fma_f64 v[2:3], 0xc1f00000, v[6:7], v[2:3]
	v_cvt_i32_f64_e32 v7, v[6:7]
	v_cvt_u32_f64_e32 v6, v[2:3]
	global_store_dwordx2 v[4:5], v[6:7], off
.LBB8_1085:
	s_andn2_b32 vcc_lo, exec_lo, s7
	s_cbranch_vccnz .LBB8_1087
; %bb.1086:
	v_cvt_i32_f64_e32 v2, v[0:1]
	global_store_dword v[4:5], v2, off
.LBB8_1087:
	s_mov_b32 s7, 0
.LBB8_1088:
	s_andn2_b32 vcc_lo, exec_lo, s7
	s_cbranch_vccnz .LBB8_1090
; %bb.1089:
	v_cvt_i32_f64_e32 v2, v[0:1]
	global_store_short v[4:5], v2, off
.LBB8_1090:
	s_mov_b32 s7, 0
.LBB8_1091:
	s_andn2_b32 vcc_lo, exec_lo, s7
	s_cbranch_vccnz .LBB8_1096
; %bb.1092:
	s_sext_i32_i16 s6, s6
	s_cmp_gt_i32 s6, 0
	s_mov_b32 s6, -1
	s_cbranch_scc0 .LBB8_1094
; %bb.1093:
	v_cvt_i32_f64_e32 v2, v[0:1]
	s_mov_b32 s6, 0
	global_store_byte v[4:5], v2, off
.LBB8_1094:
	s_andn2_b32 vcc_lo, exec_lo, s6
	s_cbranch_vccnz .LBB8_1096
; %bb.1095:
	v_trunc_f64_e32 v[0:1], v[0:1]
	v_ldexp_f64 v[2:3], v[0:1], 0xffffffe0
	v_floor_f64_e32 v[2:3], v[2:3]
	v_fma_f64 v[0:1], 0xc1f00000, v[2:3], v[0:1]
	v_cvt_u32_f64_e32 v0, v[0:1]
	global_store_byte v[4:5], v0, off
.LBB8_1096:
	s_or_b32 exec_lo, exec_lo, s0
	s_and_b32 s16, s1, exec_lo
                                        ; implicit-def: $vgpr13
                                        ; implicit-def: $vgpr10
.LBB8_1097:
	s_or_saveexec_b32 s17, s33
	s_mov_b32 s0, 0
                                        ; implicit-def: $vgpr4_vgpr5
                                        ; implicit-def: $sgpr6
                                        ; implicit-def: $vgpr0_vgpr1
	s_xor_b32 exec_lo, exec_lo, s17
	s_cbranch_execz .LBB8_2113
; %bb.1098:
	v_cndmask_b32_e64 v5, 0, 1, s31
	s_andn2_b32 vcc_lo, exec_lo, s31
	s_cbranch_vccnz .LBB8_1104
; %bb.1099:
	s_cmp_lg_u32 s28, 0
	s_mov_b32 s8, 0
	s_cbranch_scc0 .LBB8_1105
; %bb.1100:
	s_min_u32 s10, s29, 15
	s_add_i32 s10, s10, 1
	s_cmp_eq_u32 s29, 2
	s_cbranch_scc1 .LBB8_1106
; %bb.1101:
	v_mov_b32_e32 v0, 0
	v_mov_b32_e32 v2, 0
	;; [unrolled: 1-line block ×3, first 2 shown]
	s_and_b32 s9, s10, 28
	s_add_u32 s0, s2, 0xc4
	s_addc_u32 s1, s3, 0
	s_mov_b32 s11, 0
	s_mov_b64 s[6:7], s[2:3]
.LBB8_1102:                             ; =>This Inner Loop Header: Depth=1
	s_clause 0x1
	s_load_dwordx8 s[20:27], s[6:7], 0x4
	s_load_dwordx4 s[12:15], s[6:7], 0x24
	s_load_dwordx8 s[36:43], s[0:1], 0x0
	s_add_u32 s6, s6, 48
	s_addc_u32 s7, s7, 0
	s_add_i32 s11, s11, 4
	s_add_u32 s0, s0, 32
	s_addc_u32 s1, s1, 0
	s_cmp_lg_u32 s9, s11
	s_waitcnt lgkmcnt(0)
	v_mul_hi_u32 v3, s21, v1
	v_add_nc_u32_e32 v3, v1, v3
	v_lshrrev_b32_e32 v3, s22, v3
	v_mul_hi_u32 v4, s24, v3
	s_waitcnt vmcnt(0)
	v_mul_lo_u32 v7, v3, s20
	v_add_nc_u32_e32 v4, v3, v4
	v_sub_nc_u32_e32 v1, v1, v7
	v_lshrrev_b32_e32 v4, s25, v4
	v_mul_lo_u32 v7, v1, s36
	v_mul_lo_u32 v9, v1, s37
	v_mul_hi_u32 v6, s27, v4
	v_add_nc_u32_e32 v6, v4, v6
	v_lshrrev_b32_e32 v6, s12, v6
	v_mul_hi_u32 v8, s14, v6
	v_mul_lo_u32 v11, v6, s26
	v_add_nc_u32_e32 v1, v6, v8
	v_mul_lo_u32 v8, v4, s23
	v_sub_nc_u32_e32 v4, v4, v11
	v_lshrrev_b32_e32 v1, s15, v1
	v_mul_lo_u32 v11, v4, s40
	v_mul_lo_u32 v4, v4, s41
	v_sub_nc_u32_e32 v3, v3, v8
	v_mul_lo_u32 v12, v1, s13
	v_mul_lo_u32 v8, v3, s38
	v_mul_lo_u32 v3, v3, s39
	v_sub_nc_u32_e32 v6, v6, v12
	v_add3_u32 v2, v7, v2, v8
	v_mul_lo_u32 v12, v6, s42
	v_mul_lo_u32 v6, v6, s43
	v_add3_u32 v0, v9, v0, v3
	v_add3_u32 v2, v11, v2, v12
	v_add3_u32 v0, v4, v0, v6
	s_cbranch_scc1 .LBB8_1102
; %bb.1103:
	s_and_b32 s10, s10, 3
	s_cmp_eq_u32 s10, 0
	s_cbranch_scc0 .LBB8_1107
	s_branch .LBB8_1109
.LBB8_1104:
	s_mov_b32 s8, -1
                                        ; implicit-def: $vgpr2
                                        ; implicit-def: $vgpr0
	s_branch .LBB8_1109
.LBB8_1105:
	v_mov_b32_e32 v2, 0
	v_mov_b32_e32 v0, 0
	s_branch .LBB8_1109
.LBB8_1106:
	v_mov_b32_e32 v2, 0
	v_mov_b32_e32 v0, 0
	;; [unrolled: 1-line block ×3, first 2 shown]
	s_mov_b32 s9, 0
	s_and_b32 s10, s10, 3
	s_cmp_eq_u32 s10, 0
	s_cbranch_scc1 .LBB8_1109
.LBB8_1107:
	s_lshl_b32 s0, s9, 3
	s_mul_i32 s6, s9, 12
	s_add_u32 s0, s2, s0
	s_addc_u32 s1, s3, 0
	s_add_u32 s0, s0, 0xc4
	s_addc_u32 s1, s1, 0
	;; [unrolled: 2-line block ×3, first 2 shown]
	.p2align	6
.LBB8_1108:                             ; =>This Inner Loop Header: Depth=1
	s_clause 0x1
	s_load_dwordx2 s[12:13], s[6:7], 0x4
	s_load_dword s9, s[6:7], 0xc
	s_load_dwordx2 s[14:15], s[0:1], 0x0
	s_add_u32 s6, s6, 12
	s_addc_u32 s7, s7, 0
	s_add_u32 s0, s0, 8
	s_addc_u32 s1, s1, 0
	s_add_i32 s10, s10, -1
	s_cmp_lg_u32 s10, 0
	s_waitcnt lgkmcnt(0)
	v_mul_hi_u32 v3, s13, v1
	v_add_nc_u32_e32 v3, v1, v3
	v_lshrrev_b32_e32 v4, s9, v3
	v_mul_lo_u32 v3, v4, s12
	v_sub_nc_u32_e32 v1, v1, v3
	v_mad_u64_u32 v[2:3], null, v1, s14, v[2:3]
	v_mad_u64_u32 v[0:1], null, v1, s15, v[0:1]
	v_mov_b32_e32 v1, v4
	s_cbranch_scc1 .LBB8_1108
.LBB8_1109:
	s_andn2_b32 vcc_lo, exec_lo, s8
	s_cbranch_vccnz .LBB8_1112
; %bb.1110:
	s_clause 0x1
	s_load_dwordx4 s[8:11], s[2:3], 0x4
	s_load_dwordx2 s[0:1], s[2:3], 0xc4
	s_cmp_lt_u32 s28, 2
	s_waitcnt lgkmcnt(0)
	v_mul_hi_u32 v0, s9, v10
	v_add_nc_u32_e32 v0, v10, v0
	v_lshrrev_b32_e32 v1, s10, v0
	v_mul_lo_u32 v0, v1, s8
	v_sub_nc_u32_e32 v0, v10, v0
	v_mul_lo_u32 v2, v0, s0
	v_mul_lo_u32 v0, v0, s1
	s_cbranch_scc1 .LBB8_1112
; %bb.1111:
	s_clause 0x1
	s_load_dwordx4 s[8:11], s[2:3], 0x10
	s_load_dwordx2 s[0:1], s[2:3], 0xcc
	s_waitcnt lgkmcnt(0)
	v_mul_hi_u32 v3, s9, v1
	v_add_nc_u32_e32 v3, v1, v3
	v_lshrrev_b32_e32 v3, s10, v3
	v_mul_lo_u32 v3, v3, s8
	v_sub_nc_u32_e32 v1, v1, v3
	v_mad_u64_u32 v[2:3], null, v1, s0, v[2:3]
	v_mad_u64_u32 v[0:1], null, v1, s1, v[0:1]
.LBB8_1112:
	v_cmp_ne_u32_e32 vcc_lo, 1, v5
	v_add_nc_u32_e32 v1, 0x80, v10
	s_cbranch_vccnz .LBB8_1118
; %bb.1113:
	s_cmp_lg_u32 s28, 0
	s_mov_b32 s8, 0
	s_cbranch_scc0 .LBB8_1119
; %bb.1114:
	s_min_u32 s10, s29, 15
	s_add_i32 s10, s10, 1
	s_cmp_eq_u32 s29, 2
	s_cbranch_scc1 .LBB8_1120
; %bb.1115:
	v_mov_b32_e32 v11, 0
	v_mov_b32_e32 v8, 0
	;; [unrolled: 1-line block ×3, first 2 shown]
	s_and_b32 s9, s10, 28
	s_add_u32 s0, s2, 0xc4
	s_addc_u32 s1, s3, 0
	s_mov_b32 s11, 0
	s_mov_b64 s[6:7], s[2:3]
.LBB8_1116:                             ; =>This Inner Loop Header: Depth=1
	s_clause 0x1
	s_load_dwordx8 s[20:27], s[6:7], 0x4
	s_load_dwordx4 s[12:15], s[6:7], 0x24
	s_load_dwordx8 s[36:43], s[0:1], 0x0
	s_add_u32 s6, s6, 48
	s_addc_u32 s7, s7, 0
	s_add_i32 s11, s11, 4
	s_add_u32 s0, s0, 32
	s_addc_u32 s1, s1, 0
	s_cmp_lg_u32 s9, s11
	s_waitcnt lgkmcnt(0)
	v_mul_hi_u32 v4, s21, v3
	v_add_nc_u32_e32 v4, v3, v4
	v_lshrrev_b32_e32 v4, s22, v4
	s_waitcnt vmcnt(0)
	v_mul_hi_u32 v6, s24, v4
	v_mul_lo_u32 v9, v4, s20
	v_add_nc_u32_e32 v6, v4, v6
	v_sub_nc_u32_e32 v3, v3, v9
	v_lshrrev_b32_e32 v6, s25, v6
	v_mul_lo_u32 v9, v3, s36
	v_mul_lo_u32 v14, v3, s37
	v_mul_hi_u32 v7, s27, v6
	v_add_nc_u32_e32 v7, v6, v7
	v_lshrrev_b32_e32 v7, s12, v7
	v_mul_hi_u32 v12, s14, v7
	v_mul_lo_u32 v15, v7, s26
	v_add_nc_u32_e32 v3, v7, v12
	v_mul_lo_u32 v12, v6, s23
	v_sub_nc_u32_e32 v6, v6, v15
	v_lshrrev_b32_e32 v3, s15, v3
	v_mul_lo_u32 v15, v6, s40
	v_mul_lo_u32 v6, v6, s41
	v_sub_nc_u32_e32 v4, v4, v12
	v_mul_lo_u32 v16, v3, s13
	v_mul_lo_u32 v12, v4, s38
	;; [unrolled: 1-line block ×3, first 2 shown]
	v_sub_nc_u32_e32 v7, v7, v16
	v_add3_u32 v8, v9, v8, v12
	v_mul_lo_u32 v16, v7, s42
	v_mul_lo_u32 v7, v7, s43
	v_add3_u32 v4, v14, v11, v4
	v_add3_u32 v8, v15, v8, v16
	;; [unrolled: 1-line block ×3, first 2 shown]
	s_cbranch_scc1 .LBB8_1116
; %bb.1117:
	s_and_b32 s10, s10, 3
	s_cmp_eq_u32 s10, 0
	s_cbranch_scc0 .LBB8_1121
	s_branch .LBB8_1123
.LBB8_1118:
	s_mov_b32 s8, -1
                                        ; implicit-def: $vgpr8
                                        ; implicit-def: $vgpr11
	s_branch .LBB8_1123
.LBB8_1119:
	v_mov_b32_e32 v8, 0
	v_mov_b32_e32 v11, 0
	s_branch .LBB8_1123
.LBB8_1120:
	v_mov_b32_e32 v8, 0
	v_mov_b32_e32 v11, 0
	;; [unrolled: 1-line block ×3, first 2 shown]
	s_mov_b32 s9, 0
	s_and_b32 s10, s10, 3
	s_cmp_eq_u32 s10, 0
	s_cbranch_scc1 .LBB8_1123
.LBB8_1121:
	s_lshl_b32 s0, s9, 3
	s_mul_i32 s6, s9, 12
	s_add_u32 s0, s2, s0
	s_addc_u32 s1, s3, 0
	s_add_u32 s0, s0, 0xc4
	s_addc_u32 s1, s1, 0
	;; [unrolled: 2-line block ×3, first 2 shown]
	.p2align	6
.LBB8_1122:                             ; =>This Inner Loop Header: Depth=1
	s_clause 0x1
	s_load_dwordx2 s[12:13], s[6:7], 0x4
	s_load_dword s9, s[6:7], 0xc
	s_load_dwordx2 s[14:15], s[0:1], 0x0
	s_add_u32 s6, s6, 12
	s_addc_u32 s7, s7, 0
	s_add_u32 s0, s0, 8
	s_addc_u32 s1, s1, 0
	s_add_i32 s10, s10, -1
	s_cmp_lg_u32 s10, 0
	s_waitcnt lgkmcnt(0)
	v_mul_hi_u32 v4, s13, v3
	v_add_nc_u32_e32 v4, v3, v4
	v_lshrrev_b32_e32 v4, s9, v4
	s_waitcnt vmcnt(0)
	v_mul_lo_u32 v6, v4, s12
	v_sub_nc_u32_e32 v3, v3, v6
	v_mad_u64_u32 v[8:9], null, v3, s14, v[8:9]
	v_mad_u64_u32 v[11:12], null, v3, s15, v[11:12]
	v_mov_b32_e32 v3, v4
	s_cbranch_scc1 .LBB8_1122
.LBB8_1123:
	s_andn2_b32 vcc_lo, exec_lo, s8
	s_cbranch_vccnz .LBB8_1126
; %bb.1124:
	s_clause 0x1
	s_load_dwordx4 s[8:11], s[2:3], 0x4
	s_load_dwordx2 s[0:1], s[2:3], 0xc4
	s_cmp_lt_u32 s28, 2
	s_waitcnt lgkmcnt(0)
	v_mul_hi_u32 v3, s9, v1
	v_add_nc_u32_e32 v3, v1, v3
	v_lshrrev_b32_e32 v3, s10, v3
	v_mul_lo_u32 v4, v3, s8
	v_sub_nc_u32_e32 v1, v1, v4
	v_mul_lo_u32 v8, v1, s0
	v_mul_lo_u32 v11, v1, s1
	s_cbranch_scc1 .LBB8_1126
; %bb.1125:
	s_clause 0x1
	s_load_dwordx4 s[8:11], s[2:3], 0x10
	s_load_dwordx2 s[0:1], s[2:3], 0xcc
	s_waitcnt lgkmcnt(0)
	v_mul_hi_u32 v1, s9, v3
	v_add_nc_u32_e32 v1, v3, v1
	v_lshrrev_b32_e32 v1, s10, v1
	v_mul_lo_u32 v1, v1, s8
	v_sub_nc_u32_e32 v1, v3, v1
	v_mad_u64_u32 v[8:9], null, v1, s0, v[8:9]
	v_mad_u64_u32 v[11:12], null, v1, s1, v[11:12]
.LBB8_1126:
	v_cmp_ne_u32_e32 vcc_lo, 1, v5
	v_add_nc_u32_e32 v1, 0x100, v10
	s_cbranch_vccnz .LBB8_1132
; %bb.1127:
	s_cmp_lg_u32 s28, 0
	s_mov_b32 s8, 0
	s_cbranch_scc0 .LBB8_1133
; %bb.1128:
	s_min_u32 s10, s29, 15
	s_add_i32 s10, s10, 1
	s_cmp_eq_u32 s29, 2
	s_cbranch_scc1 .LBB8_1134
; %bb.1129:
	v_mov_b32_e32 v3, 0
	s_waitcnt vmcnt(0)
	v_mov_b32_e32 v6, 0
	v_mov_b32_e32 v4, v1
	s_and_b32 s9, s10, 28
	s_add_u32 s0, s2, 0xc4
	s_addc_u32 s1, s3, 0
	s_mov_b32 s11, 0
	s_mov_b64 s[6:7], s[2:3]
.LBB8_1130:                             ; =>This Inner Loop Header: Depth=1
	s_clause 0x1
	s_load_dwordx8 s[20:27], s[6:7], 0x4
	s_load_dwordx4 s[12:15], s[6:7], 0x24
	s_load_dwordx8 s[36:43], s[0:1], 0x0
	s_add_u32 s6, s6, 48
	s_addc_u32 s7, s7, 0
	s_add_i32 s11, s11, 4
	s_add_u32 s0, s0, 32
	s_addc_u32 s1, s1, 0
	s_cmp_lg_u32 s9, s11
	s_waitcnt lgkmcnt(0)
	v_mul_hi_u32 v7, s21, v4
	v_add_nc_u32_e32 v7, v4, v7
	v_lshrrev_b32_e32 v7, s22, v7
	v_mul_hi_u32 v9, s24, v7
	v_mul_lo_u32 v12, v7, s20
	v_add_nc_u32_e32 v9, v7, v9
	v_sub_nc_u32_e32 v4, v4, v12
	v_lshrrev_b32_e32 v9, s25, v9
	v_mul_lo_u32 v12, v4, s36
	v_mul_lo_u32 v15, v4, s37
	v_mul_hi_u32 v10, s27, v9
	v_add_nc_u32_e32 v10, v9, v10
	v_lshrrev_b32_e32 v10, s12, v10
	v_mul_hi_u32 v14, s14, v10
	v_mul_lo_u32 v16, v10, s26
	v_add_nc_u32_e32 v4, v10, v14
	v_mul_lo_u32 v14, v9, s23
	v_sub_nc_u32_e32 v9, v9, v16
	v_lshrrev_b32_e32 v4, s15, v4
	v_mul_lo_u32 v16, v9, s40
	v_mul_lo_u32 v9, v9, s41
	v_sub_nc_u32_e32 v7, v7, v14
	v_mul_lo_u32 v17, v4, s13
	v_mul_lo_u32 v14, v7, s38
	v_mul_lo_u32 v7, v7, s39
	v_sub_nc_u32_e32 v10, v10, v17
	v_add3_u32 v6, v12, v6, v14
	v_mul_lo_u32 v17, v10, s42
	v_mul_lo_u32 v10, v10, s43
	v_add3_u32 v3, v15, v3, v7
	v_add3_u32 v6, v16, v6, v17
	;; [unrolled: 1-line block ×3, first 2 shown]
	s_cbranch_scc1 .LBB8_1130
; %bb.1131:
	s_and_b32 s10, s10, 3
	s_cmp_eq_u32 s10, 0
	s_cbranch_scc0 .LBB8_1135
	s_branch .LBB8_1137
.LBB8_1132:
	s_mov_b32 s8, -1
                                        ; implicit-def: $vgpr6
                                        ; implicit-def: $vgpr3
	s_branch .LBB8_1137
.LBB8_1133:
	s_waitcnt vmcnt(0)
	v_mov_b32_e32 v6, 0
	v_mov_b32_e32 v3, 0
	s_branch .LBB8_1137
.LBB8_1134:
	s_waitcnt vmcnt(0)
	v_mov_b32_e32 v6, 0
	v_mov_b32_e32 v3, 0
	;; [unrolled: 1-line block ×3, first 2 shown]
	s_mov_b32 s9, 0
	s_and_b32 s10, s10, 3
	s_cmp_eq_u32 s10, 0
	s_cbranch_scc1 .LBB8_1137
.LBB8_1135:
	s_lshl_b32 s0, s9, 3
	s_mul_i32 s6, s9, 12
	s_add_u32 s0, s2, s0
	s_addc_u32 s1, s3, 0
	s_add_u32 s0, s0, 0xc4
	s_addc_u32 s1, s1, 0
	;; [unrolled: 2-line block ×3, first 2 shown]
	.p2align	6
.LBB8_1136:                             ; =>This Inner Loop Header: Depth=1
	s_clause 0x1
	s_load_dwordx2 s[12:13], s[6:7], 0x4
	s_load_dword s9, s[6:7], 0xc
	s_load_dwordx2 s[14:15], s[0:1], 0x0
	s_add_u32 s6, s6, 12
	s_addc_u32 s7, s7, 0
	s_add_u32 s0, s0, 8
	s_addc_u32 s1, s1, 0
	s_add_i32 s10, s10, -1
	s_cmp_lg_u32 s10, 0
	s_waitcnt lgkmcnt(0)
	v_mul_hi_u32 v7, s13, v4
	v_add_nc_u32_e32 v7, v4, v7
	v_lshrrev_b32_e32 v9, s9, v7
	v_mul_lo_u32 v7, v9, s12
	v_sub_nc_u32_e32 v4, v4, v7
	v_mad_u64_u32 v[6:7], null, v4, s14, v[6:7]
	v_mad_u64_u32 v[3:4], null, v4, s15, v[3:4]
	v_mov_b32_e32 v4, v9
	s_cbranch_scc1 .LBB8_1136
.LBB8_1137:
	s_andn2_b32 vcc_lo, exec_lo, s8
	s_cbranch_vccnz .LBB8_1140
; %bb.1138:
	s_clause 0x1
	s_load_dwordx4 s[8:11], s[2:3], 0x4
	s_load_dwordx2 s[0:1], s[2:3], 0xc4
	s_cmp_lt_u32 s28, 2
	s_waitcnt lgkmcnt(0)
	v_mul_hi_u32 v3, s9, v1
	v_add_nc_u32_e32 v3, v1, v3
	v_lshrrev_b32_e32 v4, s10, v3
	v_mul_lo_u32 v3, v4, s8
	v_sub_nc_u32_e32 v1, v1, v3
	s_waitcnt vmcnt(0)
	v_mul_lo_u32 v6, v1, s0
	v_mul_lo_u32 v3, v1, s1
	s_cbranch_scc1 .LBB8_1140
; %bb.1139:
	s_clause 0x1
	s_load_dwordx4 s[8:11], s[2:3], 0x10
	s_load_dwordx2 s[0:1], s[2:3], 0xcc
	s_waitcnt lgkmcnt(0)
	v_mul_hi_u32 v1, s9, v4
	v_add_nc_u32_e32 v1, v4, v1
	v_lshrrev_b32_e32 v1, s10, v1
	v_mul_lo_u32 v1, v1, s8
	v_sub_nc_u32_e32 v1, v4, v1
	v_mad_u64_u32 v[6:7], null, v1, s0, v[6:7]
	v_mad_u64_u32 v[3:4], null, v1, s1, v[3:4]
.LBB8_1140:
	v_cmp_ne_u32_e32 vcc_lo, 1, v5
	s_cbranch_vccnz .LBB8_1146
; %bb.1141:
	s_cmp_lg_u32 s28, 0
	s_mov_b32 s8, 0
	s_cbranch_scc0 .LBB8_1147
; %bb.1142:
	s_min_u32 s10, s29, 15
	s_add_i32 s10, s10, 1
	s_cmp_eq_u32 s29, 2
	s_cbranch_scc1 .LBB8_1148
; %bb.1143:
	v_mov_b32_e32 v9, 0
	v_mov_b32_e32 v4, 0
	;; [unrolled: 1-line block ×3, first 2 shown]
	s_and_b32 s9, s10, 28
	s_add_u32 s0, s2, 0xc4
	s_addc_u32 s1, s3, 0
	s_mov_b32 s11, 0
	s_mov_b64 s[6:7], s[2:3]
.LBB8_1144:                             ; =>This Inner Loop Header: Depth=1
	s_clause 0x1
	s_load_dwordx8 s[20:27], s[6:7], 0x4
	s_load_dwordx4 s[12:15], s[6:7], 0x24
	s_load_dwordx8 s[36:43], s[0:1], 0x0
	s_add_u32 s6, s6, 48
	s_addc_u32 s7, s7, 0
	s_add_i32 s11, s11, 4
	s_add_u32 s0, s0, 32
	s_addc_u32 s1, s1, 0
	s_cmp_lg_u32 s9, s11
	s_waitcnt lgkmcnt(0)
	v_mul_hi_u32 v5, s21, v1
	v_add_nc_u32_e32 v5, v1, v5
	v_lshrrev_b32_e32 v5, s22, v5
	s_waitcnt vmcnt(0)
	v_mul_hi_u32 v7, s24, v5
	v_mul_lo_u32 v12, v5, s20
	v_add_nc_u32_e32 v7, v5, v7
	v_sub_nc_u32_e32 v1, v1, v12
	v_lshrrev_b32_e32 v7, s25, v7
	v_mul_lo_u32 v12, v1, s36
	v_mul_lo_u32 v15, v1, s37
	v_mul_hi_u32 v10, s27, v7
	v_add_nc_u32_e32 v10, v7, v10
	v_lshrrev_b32_e32 v10, s12, v10
	v_mul_hi_u32 v14, s14, v10
	v_mul_lo_u32 v16, v10, s26
	v_add_nc_u32_e32 v1, v10, v14
	v_mul_lo_u32 v14, v7, s23
	v_sub_nc_u32_e32 v7, v7, v16
	v_lshrrev_b32_e32 v1, s15, v1
	v_mul_lo_u32 v16, v7, s40
	v_mul_lo_u32 v7, v7, s41
	v_sub_nc_u32_e32 v5, v5, v14
	v_mul_lo_u32 v17, v1, s13
	v_mul_lo_u32 v14, v5, s38
	;; [unrolled: 1-line block ×3, first 2 shown]
	v_sub_nc_u32_e32 v10, v10, v17
	v_add3_u32 v4, v12, v4, v14
	v_mul_lo_u32 v17, v10, s42
	v_mul_lo_u32 v10, v10, s43
	v_add3_u32 v5, v15, v9, v5
	v_add3_u32 v4, v16, v4, v17
	;; [unrolled: 1-line block ×3, first 2 shown]
	s_cbranch_scc1 .LBB8_1144
; %bb.1145:
	s_and_b32 s10, s10, 3
	s_cmp_eq_u32 s10, 0
	s_cbranch_scc0 .LBB8_1149
	s_branch .LBB8_1151
.LBB8_1146:
	s_mov_b32 s8, -1
                                        ; implicit-def: $vgpr4
                                        ; implicit-def: $vgpr9
	s_branch .LBB8_1151
.LBB8_1147:
	v_mov_b32_e32 v4, 0
	v_mov_b32_e32 v9, 0
	s_branch .LBB8_1151
.LBB8_1148:
	v_mov_b32_e32 v4, 0
	v_mov_b32_e32 v9, 0
	;; [unrolled: 1-line block ×3, first 2 shown]
	s_mov_b32 s9, 0
	s_and_b32 s10, s10, 3
	s_cmp_eq_u32 s10, 0
	s_cbranch_scc1 .LBB8_1151
.LBB8_1149:
	s_lshl_b32 s0, s9, 3
	s_mul_i32 s6, s9, 12
	s_add_u32 s0, s2, s0
	s_addc_u32 s1, s3, 0
	s_add_u32 s0, s0, 0xc4
	s_addc_u32 s1, s1, 0
	;; [unrolled: 2-line block ×3, first 2 shown]
	.p2align	6
.LBB8_1150:                             ; =>This Inner Loop Header: Depth=1
	s_clause 0x1
	s_load_dwordx2 s[12:13], s[6:7], 0x4
	s_load_dword s9, s[6:7], 0xc
	s_load_dwordx2 s[14:15], s[0:1], 0x0
	s_add_u32 s6, s6, 12
	s_addc_u32 s7, s7, 0
	s_add_u32 s0, s0, 8
	s_addc_u32 s1, s1, 0
	s_add_i32 s10, s10, -1
	s_cmp_lg_u32 s10, 0
	s_waitcnt lgkmcnt(0)
	v_mul_hi_u32 v5, s13, v1
	v_add_nc_u32_e32 v5, v1, v5
	s_waitcnt vmcnt(0)
	v_lshrrev_b32_e32 v7, s9, v5
	v_mul_lo_u32 v5, v7, s12
	v_sub_nc_u32_e32 v1, v1, v5
	v_mad_u64_u32 v[4:5], null, v1, s14, v[4:5]
	v_mad_u64_u32 v[9:10], null, v1, s15, v[9:10]
	v_mov_b32_e32 v1, v7
	s_cbranch_scc1 .LBB8_1150
.LBB8_1151:
	s_andn2_b32 vcc_lo, exec_lo, s8
	s_cbranch_vccnz .LBB8_1154
; %bb.1152:
	s_clause 0x1
	s_load_dwordx4 s[8:11], s[2:3], 0x4
	s_load_dwordx2 s[0:1], s[2:3], 0xc4
	s_cmp_lt_u32 s28, 2
	s_waitcnt lgkmcnt(0)
	v_mul_hi_u32 v1, s9, v13
	v_add_nc_u32_e32 v1, v13, v1
	v_lshrrev_b32_e32 v1, s10, v1
	v_mul_lo_u32 v4, v1, s8
	v_sub_nc_u32_e32 v5, v13, v4
	v_mul_lo_u32 v4, v5, s0
	v_mul_lo_u32 v9, v5, s1
	s_cbranch_scc1 .LBB8_1154
; %bb.1153:
	s_clause 0x1
	s_load_dwordx4 s[8:11], s[2:3], 0x10
	s_load_dwordx2 s[0:1], s[2:3], 0xcc
	s_waitcnt lgkmcnt(0)
	v_mul_hi_u32 v5, s9, v1
	v_add_nc_u32_e32 v5, v1, v5
	v_lshrrev_b32_e32 v5, s10, v5
	v_mul_lo_u32 v5, v5, s8
	v_sub_nc_u32_e32 v1, v1, v5
	v_mad_u64_u32 v[4:5], null, v1, s0, v[4:5]
	v_mad_u64_u32 v[9:10], null, v1, s1, v[9:10]
.LBB8_1154:
	s_clause 0x1
	s_load_dwordx8 s[8:15], s[2:3], 0x148
	s_load_dword s0, s[4:5], 0x170
	s_waitcnt lgkmcnt(0)
	v_add_co_u32 v12, s1, s10, v0
	v_add_co_ci_u32_e64 v13, null, s11, 0, s1
	s_bfe_u32 s4, s0, 0x80008
	s_cmp_lt_i32 s4, 11
	s_cbranch_scc1 .LBB8_1161
; %bb.1155:
	s_and_b32 s1, 0xffff, s4
	s_mov_b32 s6, 0
	s_cmp_gt_i32 s1, 25
	s_cbranch_scc0 .LBB8_1163
; %bb.1156:
	s_cmp_gt_i32 s1, 28
	s_cbranch_scc0 .LBB8_1164
; %bb.1157:
	;; [unrolled: 3-line block ×4, first 2 shown]
	s_cmp_eq_u32 s1, 46
	s_mov_b32 s18, 0
	s_cbranch_scc0 .LBB8_1169
; %bb.1160:
	global_load_dword v0, v[12:13], off
	s_mov_b32 s5, 0
	s_mov_b32 s7, -1
	s_waitcnt vmcnt(0)
	v_lshlrev_b32_e32 v0, 16, v0
	v_cvt_f64_f32_e32 v[0:1], v0
	s_branch .LBB8_1171
.LBB8_1161:
	s_mov_b32 s7, 0
	s_mov_b32 s1, s16
                                        ; implicit-def: $vgpr0_vgpr1
	s_cbranch_execnz .LBB8_1234
.LBB8_1162:
	s_andn2_b32 vcc_lo, exec_lo, s7
	s_cbranch_vccz .LBB8_1279
	s_branch .LBB8_2111
.LBB8_1163:
	s_mov_b32 s7, 0
	s_mov_b32 s5, 0
                                        ; implicit-def: $vgpr0_vgpr1
	s_cbranch_execnz .LBB8_1201
	s_branch .LBB8_1230
.LBB8_1164:
	s_mov_b32 s18, -1
	s_mov_b32 s7, 0
	s_mov_b32 s5, 0
                                        ; implicit-def: $vgpr0_vgpr1
	s_branch .LBB8_1180
.LBB8_1165:
	s_mov_b32 s7, 0
	s_mov_b32 s5, 0
                                        ; implicit-def: $vgpr0_vgpr1
	s_cbranch_execnz .LBB8_1176
	s_branch .LBB8_1179
.LBB8_1166:
	s_mov_b32 s18, -1
	s_mov_b32 s7, 0
	s_mov_b32 s5, 0
	s_branch .LBB8_1170
.LBB8_1167:
	s_andn2_saveexec_b32 s11, s11
	s_cbranch_execz .LBB8_1010
.LBB8_1168:
	v_add_f32_e64 v3, 0x46000000, |v2|
	s_andn2_b32 s10, s10, exec_lo
	v_and_b32_e32 v3, 0xff, v3
	v_cmp_ne_u32_e32 vcc_lo, 0, v3
	s_and_b32 s12, vcc_lo, exec_lo
	s_or_b32 s10, s10, s12
	s_or_b32 exec_lo, exec_lo, s11
	v_mov_b32_e32 v6, 0
	s_and_saveexec_b32 s11, s10
	s_cbranch_execnz .LBB8_1011
	s_branch .LBB8_1012
.LBB8_1169:
	s_mov_b32 s5, -1
	s_mov_b32 s7, 0
.LBB8_1170:
                                        ; implicit-def: $vgpr0_vgpr1
.LBB8_1171:
	s_and_b32 vcc_lo, exec_lo, s18
	s_cbranch_vccz .LBB8_1174
; %bb.1172:
	s_cmp_eq_u32 s1, 44
	s_cbranch_scc0 .LBB8_1175
; %bb.1173:
	global_load_ubyte v5, v[12:13], off
	s_mov_b32 s5, 0
	s_mov_b32 s7, -1
	s_waitcnt vmcnt(0)
	v_lshlrev_b32_e32 v0, 23, v5
	v_cmp_ne_u32_e32 vcc_lo, 0xff, v5
	v_cvt_f64_f32_e32 v[0:1], v0
	v_cndmask_b32_e32 v0, 0x20000000, v0, vcc_lo
	v_cndmask_b32_e32 v1, 0x7ff80000, v1, vcc_lo
	v_cmp_ne_u32_e32 vcc_lo, 0, v5
	v_cndmask_b32_e32 v1, 0x38000000, v1, vcc_lo
	v_cndmask_b32_e32 v0, 0, v0, vcc_lo
.LBB8_1174:
	s_branch .LBB8_1179
.LBB8_1175:
	s_mov_b32 s5, -1
                                        ; implicit-def: $vgpr0_vgpr1
	s_branch .LBB8_1179
.LBB8_1176:
	s_cmp_eq_u32 s1, 29
	s_cbranch_scc0 .LBB8_1178
; %bb.1177:
	global_load_dwordx2 v[0:1], v[12:13], off
	s_mov_b32 s5, 0
	s_mov_b32 s7, -1
	s_mov_b32 s18, 0
	s_waitcnt vmcnt(0)
	v_cvt_f64_u32_e32 v[14:15], v1
	v_cvt_f64_u32_e32 v[0:1], v0
	v_ldexp_f64 v[14:15], v[14:15], 32
	v_add_f64 v[0:1], v[14:15], v[0:1]
	s_branch .LBB8_1180
.LBB8_1178:
	s_mov_b32 s5, -1
                                        ; implicit-def: $vgpr0_vgpr1
.LBB8_1179:
	s_mov_b32 s18, 0
.LBB8_1180:
	s_and_b32 vcc_lo, exec_lo, s18
	s_cbranch_vccz .LBB8_1200
; %bb.1181:
	s_cmp_lt_i32 s1, 27
	s_cbranch_scc1 .LBB8_1184
; %bb.1182:
	s_cmp_gt_i32 s1, 27
	s_cbranch_scc0 .LBB8_1185
; %bb.1183:
	global_load_dword v0, v[12:13], off
	s_mov_b32 s7, 0
	s_waitcnt vmcnt(0)
	v_cvt_f64_u32_e32 v[0:1], v0
	s_branch .LBB8_1186
.LBB8_1184:
	s_mov_b32 s7, -1
                                        ; implicit-def: $vgpr0_vgpr1
	s_branch .LBB8_1189
.LBB8_1185:
	s_mov_b32 s7, -1
                                        ; implicit-def: $vgpr0_vgpr1
.LBB8_1186:
	s_andn2_b32 vcc_lo, exec_lo, s7
	s_cbranch_vccnz .LBB8_1188
; %bb.1187:
	global_load_ushort v0, v[12:13], off
	s_waitcnt vmcnt(0)
	v_cvt_f64_u32_e32 v[0:1], v0
.LBB8_1188:
	s_mov_b32 s7, 0
.LBB8_1189:
	s_andn2_b32 vcc_lo, exec_lo, s7
	s_cbranch_vccnz .LBB8_1199
; %bb.1190:
	global_load_ubyte v5, v[12:13], off
	s_mov_b32 s7, 0
	s_mov_b32 s18, exec_lo
	s_waitcnt vmcnt(0)
	v_cmpx_lt_i16_e32 0x7f, v5
	s_xor_b32 s18, exec_lo, s18
	s_cbranch_execz .LBB8_1194
; %bb.1191:
	s_mov_b32 s7, -1
	s_mov_b32 s19, exec_lo
	v_cmpx_eq_u16_e32 0x80, v5
; %bb.1192:
	s_xor_b32 s7, exec_lo, -1
; %bb.1193:
	s_or_b32 exec_lo, exec_lo, s19
	s_and_b32 s7, s7, exec_lo
.LBB8_1194:
	s_or_saveexec_b32 s18, s18
	v_bfrev_b32_e32 v0, 4
	v_mov_b32_e32 v1, 0x7ff80000
	s_xor_b32 exec_lo, exec_lo, s18
; %bb.1195:
	v_cmp_ne_u16_e32 vcc_lo, 0, v5
	v_mov_b32_e32 v0, 0
	v_mov_b32_e32 v1, 0
	s_andn2_b32 s7, s7, exec_lo
	s_and_b32 s19, vcc_lo, exec_lo
	s_or_b32 s7, s7, s19
; %bb.1196:
	s_or_b32 exec_lo, exec_lo, s18
	s_and_saveexec_b32 s18, s7
	s_cbranch_execz .LBB8_1198
; %bb.1197:
	v_and_b32_e32 v0, 0xffff, v5
	v_lshlrev_b32_e32 v5, 24, v5
	v_and_b32_e32 v1, 7, v0
	v_bfe_u32 v14, v0, 3, 4
	v_ffbh_u32_e32 v7, v1
	v_cmp_eq_u32_e32 vcc_lo, 0, v14
	v_min_u32_e32 v7, 32, v7
	v_subrev_nc_u32_e32 v10, 28, v7
	v_sub_nc_u32_e32 v7, 29, v7
	v_lshlrev_b32_e32 v0, v10, v0
	v_cndmask_b32_e32 v7, v14, v7, vcc_lo
	v_and_b32_e32 v0, 7, v0
	v_cndmask_b32_e32 v0, v1, v0, vcc_lo
	v_and_b32_e32 v1, 0x80000000, v5
	v_lshl_add_u32 v5, v7, 23, 0x3b800000
	v_lshlrev_b32_e32 v0, 20, v0
	v_or3_b32 v0, v1, v5, v0
	v_cvt_f64_f32_e32 v[0:1], v0
.LBB8_1198:
	s_or_b32 exec_lo, exec_lo, s18
.LBB8_1199:
	s_mov_b32 s7, -1
.LBB8_1200:
	s_branch .LBB8_1230
.LBB8_1201:
	s_cmp_gt_i32 s1, 22
	s_cbranch_scc0 .LBB8_1213
; %bb.1202:
	s_cmp_lt_i32 s1, 24
	s_cbranch_scc1 .LBB8_1214
; %bb.1203:
	s_cmp_gt_i32 s1, 24
	s_cbranch_scc0 .LBB8_1215
; %bb.1204:
	global_load_ubyte v5, v[12:13], off
	s_mov_b32 s7, exec_lo
	s_waitcnt vmcnt(0)
	v_cmpx_lt_i16_e32 0x7f, v5
	s_xor_b32 s7, exec_lo, s7
	s_cbranch_execz .LBB8_1208
; %bb.1205:
	s_mov_b32 s6, -1
	s_mov_b32 s18, exec_lo
	v_cmpx_eq_u16_e32 0x80, v5
; %bb.1206:
	s_xor_b32 s6, exec_lo, -1
; %bb.1207:
	s_or_b32 exec_lo, exec_lo, s18
	s_and_b32 s6, s6, exec_lo
.LBB8_1208:
	s_or_saveexec_b32 s7, s7
	v_bfrev_b32_e32 v0, 4
	v_mov_b32_e32 v1, 0x7ff80000
	s_xor_b32 exec_lo, exec_lo, s7
; %bb.1209:
	v_cmp_ne_u16_e32 vcc_lo, 0, v5
	v_mov_b32_e32 v0, 0
	v_mov_b32_e32 v1, 0
	s_andn2_b32 s6, s6, exec_lo
	s_and_b32 s18, vcc_lo, exec_lo
	s_or_b32 s6, s6, s18
; %bb.1210:
	s_or_b32 exec_lo, exec_lo, s7
	s_and_saveexec_b32 s7, s6
	s_cbranch_execz .LBB8_1212
; %bb.1211:
	v_and_b32_e32 v0, 0xffff, v5
	v_lshlrev_b32_e32 v5, 24, v5
	v_and_b32_e32 v1, 3, v0
	v_bfe_u32 v14, v0, 2, 5
	v_ffbh_u32_e32 v7, v1
	v_cmp_eq_u32_e32 vcc_lo, 0, v14
	v_min_u32_e32 v7, 32, v7
	v_subrev_nc_u32_e32 v10, 29, v7
	v_sub_nc_u32_e32 v7, 30, v7
	v_lshlrev_b32_e32 v0, v10, v0
	v_cndmask_b32_e32 v7, v14, v7, vcc_lo
	v_and_b32_e32 v0, 3, v0
	v_cndmask_b32_e32 v0, v1, v0, vcc_lo
	v_and_b32_e32 v1, 0x80000000, v5
	v_lshl_add_u32 v5, v7, 23, 0x37800000
	v_lshlrev_b32_e32 v0, 21, v0
	v_or3_b32 v0, v1, v5, v0
	v_cvt_f64_f32_e32 v[0:1], v0
.LBB8_1212:
	s_or_b32 exec_lo, exec_lo, s7
	s_mov_b32 s6, 0
	s_branch .LBB8_1216
.LBB8_1213:
                                        ; implicit-def: $vgpr0_vgpr1
	s_mov_b32 s6, 0
	s_branch .LBB8_1222
.LBB8_1214:
	s_mov_b32 s6, -1
                                        ; implicit-def: $vgpr0_vgpr1
	s_branch .LBB8_1219
.LBB8_1215:
	s_mov_b32 s6, -1
                                        ; implicit-def: $vgpr0_vgpr1
.LBB8_1216:
	s_and_b32 vcc_lo, exec_lo, s6
	s_cbranch_vccz .LBB8_1218
; %bb.1217:
	global_load_ubyte v0, v[12:13], off
	s_waitcnt vmcnt(0)
	v_lshlrev_b32_e32 v0, 24, v0
	v_and_b32_e32 v1, 0x7f000000, v0
	v_ffbh_u32_e32 v5, v1
	v_add_nc_u32_e32 v10, 0x1000000, v1
	v_cmp_ne_u32_e32 vcc_lo, 0, v1
	v_min_u32_e32 v5, 32, v5
	v_sub_nc_u32_e64 v5, v5, 4 clamp
	v_lshlrev_b32_e32 v7, v5, v1
	v_lshlrev_b32_e32 v5, 23, v5
	v_lshrrev_b32_e32 v7, 4, v7
	v_sub_nc_u32_e32 v5, v7, v5
	v_ashrrev_i32_e32 v7, 8, v10
	v_add_nc_u32_e32 v5, 0x3c000000, v5
	v_and_or_b32 v5, 0x7f800000, v7, v5
	v_cndmask_b32_e32 v1, 0, v5, vcc_lo
	v_and_or_b32 v0, 0x80000000, v0, v1
	v_cvt_f64_f32_e32 v[0:1], v0
.LBB8_1218:
	s_mov_b32 s6, 0
.LBB8_1219:
	s_andn2_b32 vcc_lo, exec_lo, s6
	s_cbranch_vccnz .LBB8_1221
; %bb.1220:
	global_load_ubyte v0, v[12:13], off
	s_waitcnt vmcnt(0)
	v_lshlrev_b32_e32 v1, 25, v0
	v_lshlrev_b16 v0, 8, v0
	v_lshrrev_b32_e32 v5, 4, v1
	v_and_or_b32 v7, 0x7f00, v0, 0.5
	v_cmp_gt_u32_e32 vcc_lo, 0x8000000, v1
	v_bfe_i32 v0, v0, 0, 16
	v_or_b32_e32 v5, 0x70000000, v5
	v_add_f32_e32 v7, -0.5, v7
	v_mul_f32_e32 v5, 0x7800000, v5
	v_cndmask_b32_e32 v1, v5, v7, vcc_lo
	v_and_or_b32 v0, 0x80000000, v0, v1
	v_cvt_f64_f32_e32 v[0:1], v0
.LBB8_1221:
	s_mov_b32 s7, -1
	s_mov_b32 s6, 0
	s_cbranch_execnz .LBB8_1230
.LBB8_1222:
	s_cmp_gt_i32 s1, 14
	s_cbranch_scc0 .LBB8_1225
; %bb.1223:
	s_cmp_eq_u32 s1, 15
	s_cbranch_scc0 .LBB8_1226
; %bb.1224:
	global_load_ushort v0, v[12:13], off
	s_mov_b32 s5, 0
	s_mov_b32 s7, -1
	s_waitcnt vmcnt(0)
	v_lshlrev_b32_e32 v0, 16, v0
	v_cvt_f64_f32_e32 v[0:1], v0
	s_branch .LBB8_1228
.LBB8_1225:
	s_mov_b32 s6, -1
	s_branch .LBB8_1227
.LBB8_1226:
	s_mov_b32 s5, -1
.LBB8_1227:
                                        ; implicit-def: $vgpr0_vgpr1
.LBB8_1228:
	s_and_b32 vcc_lo, exec_lo, s6
	s_mov_b32 s6, 0
	s_cbranch_vccz .LBB8_1230
; %bb.1229:
	s_cmp_lg_u32 s1, 11
	s_mov_b32 s6, -1
	s_cselect_b32 s5, -1, 0
.LBB8_1230:
	s_and_b32 vcc_lo, exec_lo, s5
	s_mov_b32 s1, s16
	s_cbranch_vccnz .LBB8_1293
; %bb.1231:
	s_andn2_b32 vcc_lo, exec_lo, s6
	s_cbranch_vccnz .LBB8_1233
.LBB8_1232:
	global_load_ubyte v0, v[12:13], off
	s_mov_b32 s7, -1
	s_waitcnt vmcnt(0)
	v_cmp_ne_u16_e32 vcc_lo, 0, v0
	v_mov_b32_e32 v0, 0
	v_cndmask_b32_e64 v1, 0, 0x3ff00000, vcc_lo
.LBB8_1233:
	s_branch .LBB8_1162
.LBB8_1234:
	s_and_b32 s4, 0xffff, s4
	s_cmp_lt_i32 s4, 5
	s_cbranch_scc1 .LBB8_1239
; %bb.1235:
	s_cmp_lt_i32 s4, 8
	s_cbranch_scc1 .LBB8_1240
; %bb.1236:
	;; [unrolled: 3-line block ×3, first 2 shown]
	s_cmp_gt_i32 s4, 9
	s_cbranch_scc0 .LBB8_1242
; %bb.1238:
	global_load_dwordx2 v[0:1], v[12:13], off
	s_mov_b32 s5, 0
	s_branch .LBB8_1243
.LBB8_1239:
                                        ; implicit-def: $vgpr0_vgpr1
	s_branch .LBB8_1260
.LBB8_1240:
                                        ; implicit-def: $vgpr0_vgpr1
	s_branch .LBB8_1249
.LBB8_1241:
	s_mov_b32 s5, -1
                                        ; implicit-def: $vgpr0_vgpr1
	s_branch .LBB8_1246
.LBB8_1242:
	s_mov_b32 s5, -1
                                        ; implicit-def: $vgpr0_vgpr1
.LBB8_1243:
	s_andn2_b32 vcc_lo, exec_lo, s5
	s_cbranch_vccnz .LBB8_1245
; %bb.1244:
	global_load_dword v0, v[12:13], off
	s_waitcnt vmcnt(0)
	v_cvt_f64_f32_e32 v[0:1], v0
.LBB8_1245:
	s_mov_b32 s5, 0
.LBB8_1246:
	s_andn2_b32 vcc_lo, exec_lo, s5
	s_cbranch_vccnz .LBB8_1248
; %bb.1247:
	global_load_dword v0, v[12:13], off
	s_waitcnt vmcnt(0)
	v_cvt_f32_f16_e32 v0, v0
	v_cvt_f64_f32_e32 v[0:1], v0
.LBB8_1248:
	s_cbranch_execnz .LBB8_1259
.LBB8_1249:
	s_cmp_lt_i32 s4, 6
	s_cbranch_scc1 .LBB8_1252
; %bb.1250:
	s_cmp_gt_i32 s4, 6
	s_cbranch_scc0 .LBB8_1253
; %bb.1251:
	global_load_dwordx2 v[0:1], v[12:13], off
	s_mov_b32 s5, 0
	s_branch .LBB8_1254
.LBB8_1252:
	s_mov_b32 s5, -1
                                        ; implicit-def: $vgpr0_vgpr1
	s_branch .LBB8_1257
.LBB8_1253:
	s_mov_b32 s5, -1
                                        ; implicit-def: $vgpr0_vgpr1
.LBB8_1254:
	s_andn2_b32 vcc_lo, exec_lo, s5
	s_cbranch_vccnz .LBB8_1256
; %bb.1255:
	global_load_dword v0, v[12:13], off
	s_waitcnt vmcnt(0)
	v_cvt_f64_f32_e32 v[0:1], v0
.LBB8_1256:
	s_mov_b32 s5, 0
.LBB8_1257:
	s_andn2_b32 vcc_lo, exec_lo, s5
	s_cbranch_vccnz .LBB8_1259
; %bb.1258:
	global_load_ushort v0, v[12:13], off
	s_waitcnt vmcnt(0)
	v_cvt_f32_f16_e32 v0, v0
	v_cvt_f64_f32_e32 v[0:1], v0
.LBB8_1259:
	s_cbranch_execnz .LBB8_1278
.LBB8_1260:
	s_cmp_lt_i32 s4, 2
	s_cbranch_scc1 .LBB8_1264
; %bb.1261:
	s_cmp_lt_i32 s4, 3
	s_cbranch_scc1 .LBB8_1265
; %bb.1262:
	s_cmp_gt_i32 s4, 3
	s_cbranch_scc0 .LBB8_1266
; %bb.1263:
	global_load_dwordx2 v[0:1], v[12:13], off
	s_mov_b32 s5, 0
	s_waitcnt vmcnt(0)
	v_cvt_f64_i32_e32 v[14:15], v1
	v_cvt_f64_u32_e32 v[0:1], v0
	v_ldexp_f64 v[14:15], v[14:15], 32
	v_add_f64 v[0:1], v[14:15], v[0:1]
	s_branch .LBB8_1267
.LBB8_1264:
                                        ; implicit-def: $vgpr0_vgpr1
	s_branch .LBB8_1273
.LBB8_1265:
	s_mov_b32 s5, -1
                                        ; implicit-def: $vgpr0_vgpr1
	s_branch .LBB8_1270
.LBB8_1266:
	s_mov_b32 s5, -1
                                        ; implicit-def: $vgpr0_vgpr1
.LBB8_1267:
	s_andn2_b32 vcc_lo, exec_lo, s5
	s_cbranch_vccnz .LBB8_1269
; %bb.1268:
	global_load_dword v0, v[12:13], off
	s_waitcnt vmcnt(0)
	v_cvt_f64_i32_e32 v[0:1], v0
.LBB8_1269:
	s_mov_b32 s5, 0
.LBB8_1270:
	s_andn2_b32 vcc_lo, exec_lo, s5
	s_cbranch_vccnz .LBB8_1272
; %bb.1271:
	global_load_sshort v0, v[12:13], off
	s_waitcnt vmcnt(0)
	v_cvt_f64_i32_e32 v[0:1], v0
.LBB8_1272:
	s_cbranch_execnz .LBB8_1278
.LBB8_1273:
	s_cmp_gt_i32 s4, 0
	s_mov_b32 s4, 0
	s_cbranch_scc0 .LBB8_1275
; %bb.1274:
	global_load_sbyte v0, v[12:13], off
	s_waitcnt vmcnt(0)
	v_cvt_f64_i32_e32 v[0:1], v0
	s_branch .LBB8_1276
.LBB8_1275:
	s_mov_b32 s4, -1
                                        ; implicit-def: $vgpr0_vgpr1
.LBB8_1276:
	s_andn2_b32 vcc_lo, exec_lo, s4
	s_cbranch_vccnz .LBB8_1278
; %bb.1277:
	global_load_ubyte v0, v[12:13], off
	s_waitcnt vmcnt(0)
	v_cvt_f64_u32_e32 v[0:1], v0
.LBB8_1278:
.LBB8_1279:
	s_waitcnt vmcnt(0)
	v_cvt_f32_f64_e32 v5, v[0:1]
	s_mov_b32 s4, exec_lo
	v_cmpx_nlg_f32_e64 0x7f800000, |v5|
	s_cbranch_execz .LBB8_1281
; %bb.1280:
	v_mov_b32_e32 v5, 0
	v_mov_b32_e32 v7, 1.0
	global_store_dword v5, v7, s[12:13]
.LBB8_1281:
	s_or_b32 exec_lo, exec_lo, s4
	v_mov_b32_e32 v5, 0
	v_add_co_u32 v10, s4, s10, v11
	s_lshr_b32 s0, s0, 8
	v_add_co_ci_u32_e64 v11, null, s11, 0, s4
	global_load_dword v24, v5, s[14:15]
	s_and_b32 s0, s0, 0xff
	s_cmp_lt_i32 s0, 11
	s_cbranch_scc1 .LBB8_1288
; %bb.1282:
	s_and_b32 s4, 0xffff, s0
	s_mov_b32 s6, 0
	s_cmp_gt_i32 s4, 25
	s_cbranch_scc0 .LBB8_1290
; %bb.1283:
	s_cmp_gt_i32 s4, 28
	s_cbranch_scc0 .LBB8_1291
; %bb.1284:
	;; [unrolled: 3-line block ×4, first 2 shown]
	s_cmp_eq_u32 s4, 46
	s_mov_b32 s18, 0
	s_cbranch_scc0 .LBB8_1297
; %bb.1287:
	global_load_dword v5, v[10:11], off
	s_mov_b32 s5, 0
	s_mov_b32 s7, -1
	s_waitcnt vmcnt(0)
	v_lshlrev_b32_e32 v5, 16, v5
	v_cvt_f64_f32_e32 v[13:14], v5
	s_branch .LBB8_1299
.LBB8_1288:
	s_mov_b32 s7, 0
                                        ; implicit-def: $vgpr13_vgpr14
	s_cbranch_execnz .LBB8_1364
.LBB8_1289:
	s_andn2_b32 vcc_lo, exec_lo, s7
	s_cbranch_vccnz .LBB8_2111
	s_branch .LBB8_1411
.LBB8_1290:
	s_mov_b32 s7, 0
	s_mov_b32 s5, 0
                                        ; implicit-def: $vgpr13_vgpr14
	s_cbranch_execnz .LBB8_1330
	s_branch .LBB8_1360
.LBB8_1291:
	s_mov_b32 s18, -1
	s_mov_b32 s7, 0
	s_mov_b32 s5, 0
                                        ; implicit-def: $vgpr13_vgpr14
	s_branch .LBB8_1309
.LBB8_1292:
	s_mov_b32 s18, -1
	s_mov_b32 s7, 0
	s_mov_b32 s5, 0
                                        ; implicit-def: $vgpr13_vgpr14
	s_branch .LBB8_1304
.LBB8_1293:
	s_or_b32 s1, s16, exec_lo
	s_trap 2
	s_cbranch_execz .LBB8_1232
	s_branch .LBB8_1233
.LBB8_1294:
	s_mov_b32 s18, -1
	s_mov_b32 s7, 0
	s_mov_b32 s5, 0
	s_branch .LBB8_1298
.LBB8_1295:
	s_andn2_saveexec_b32 s12, s12
	s_cbranch_execz .LBB8_1022
.LBB8_1296:
	v_add_f32_e64 v3, 0x42800000, |v2|
	s_andn2_b32 s11, s11, exec_lo
	v_and_b32_e32 v3, 0xff, v3
	v_cmp_ne_u32_e32 vcc_lo, 0, v3
	s_and_b32 s13, vcc_lo, exec_lo
	s_or_b32 s11, s11, s13
	s_or_b32 exec_lo, exec_lo, s12
	v_mov_b32_e32 v6, 0
	s_and_saveexec_b32 s12, s11
	s_cbranch_execnz .LBB8_1023
	s_branch .LBB8_1024
.LBB8_1297:
	s_mov_b32 s5, -1
	s_mov_b32 s7, 0
.LBB8_1298:
                                        ; implicit-def: $vgpr13_vgpr14
.LBB8_1299:
	s_and_b32 vcc_lo, exec_lo, s18
	s_cbranch_vccz .LBB8_1303
; %bb.1300:
	s_cmp_eq_u32 s4, 44
	s_cbranch_scc0 .LBB8_1302
; %bb.1301:
	global_load_ubyte v5, v[10:11], off
	s_mov_b32 s5, 0
	s_mov_b32 s7, -1
	s_waitcnt vmcnt(0)
	v_lshlrev_b32_e32 v7, 23, v5
	v_cmp_ne_u32_e32 vcc_lo, 0xff, v5
	v_cvt_f64_f32_e32 v[12:13], v7
	v_cndmask_b32_e32 v7, 0x20000000, v12, vcc_lo
	v_cndmask_b32_e32 v12, 0x7ff80000, v13, vcc_lo
	v_cmp_ne_u32_e32 vcc_lo, 0, v5
	v_cndmask_b32_e32 v14, 0x38000000, v12, vcc_lo
	v_cndmask_b32_e32 v13, 0, v7, vcc_lo
	s_branch .LBB8_1303
.LBB8_1302:
	s_mov_b32 s5, -1
                                        ; implicit-def: $vgpr13_vgpr14
.LBB8_1303:
	s_mov_b32 s18, 0
.LBB8_1304:
	s_and_b32 vcc_lo, exec_lo, s18
	s_cbranch_vccz .LBB8_1308
; %bb.1305:
	s_cmp_eq_u32 s4, 29
	s_cbranch_scc0 .LBB8_1307
; %bb.1306:
	global_load_dwordx2 v[12:13], v[10:11], off
	s_mov_b32 s5, 0
	s_mov_b32 s7, -1
	s_mov_b32 s18, 0
	s_waitcnt vmcnt(0)
	v_cvt_f64_u32_e32 v[13:14], v13
	v_cvt_f64_u32_e32 v[15:16], v12
	v_ldexp_f64 v[13:14], v[13:14], 32
	v_add_f64 v[13:14], v[13:14], v[15:16]
	s_branch .LBB8_1309
.LBB8_1307:
	s_mov_b32 s5, -1
                                        ; implicit-def: $vgpr13_vgpr14
.LBB8_1308:
	s_mov_b32 s18, 0
.LBB8_1309:
	s_and_b32 vcc_lo, exec_lo, s18
	s_cbranch_vccz .LBB8_1329
; %bb.1310:
	s_cmp_lt_i32 s4, 27
	s_cbranch_scc1 .LBB8_1313
; %bb.1311:
	s_cmp_gt_i32 s4, 27
	s_cbranch_scc0 .LBB8_1314
; %bb.1312:
	global_load_dword v5, v[10:11], off
	s_mov_b32 s7, 0
	s_waitcnt vmcnt(0)
	v_cvt_f64_u32_e32 v[13:14], v5
	s_branch .LBB8_1315
.LBB8_1313:
	s_mov_b32 s7, -1
                                        ; implicit-def: $vgpr13_vgpr14
	s_branch .LBB8_1318
.LBB8_1314:
	s_mov_b32 s7, -1
                                        ; implicit-def: $vgpr13_vgpr14
.LBB8_1315:
	s_andn2_b32 vcc_lo, exec_lo, s7
	s_cbranch_vccnz .LBB8_1317
; %bb.1316:
	global_load_ushort v5, v[10:11], off
	s_waitcnt vmcnt(0)
	v_cvt_f64_u32_e32 v[13:14], v5
.LBB8_1317:
	s_mov_b32 s7, 0
.LBB8_1318:
	s_andn2_b32 vcc_lo, exec_lo, s7
	s_cbranch_vccnz .LBB8_1328
; %bb.1319:
	global_load_ubyte v5, v[10:11], off
	s_mov_b32 s7, 0
	s_mov_b32 s18, exec_lo
	s_waitcnt vmcnt(0)
	v_cmpx_lt_i16_e32 0x7f, v5
	s_xor_b32 s18, exec_lo, s18
	s_cbranch_execz .LBB8_1323
; %bb.1320:
	s_mov_b32 s7, -1
	s_mov_b32 s19, exec_lo
	v_cmpx_eq_u16_e32 0x80, v5
; %bb.1321:
	s_xor_b32 s7, exec_lo, -1
; %bb.1322:
	s_or_b32 exec_lo, exec_lo, s19
	s_and_b32 s7, s7, exec_lo
.LBB8_1323:
	s_or_saveexec_b32 s18, s18
	v_bfrev_b32_e32 v13, 4
	v_mov_b32_e32 v14, 0x7ff80000
	s_xor_b32 exec_lo, exec_lo, s18
; %bb.1324:
	v_cmp_ne_u16_e32 vcc_lo, 0, v5
	v_mov_b32_e32 v13, 0
	v_mov_b32_e32 v14, 0
	s_andn2_b32 s7, s7, exec_lo
	s_and_b32 s19, vcc_lo, exec_lo
	s_or_b32 s7, s7, s19
; %bb.1325:
	s_or_b32 exec_lo, exec_lo, s18
	s_and_saveexec_b32 s18, s7
	s_cbranch_execz .LBB8_1327
; %bb.1326:
	v_and_b32_e32 v7, 0xffff, v5
	v_lshlrev_b32_e32 v5, 24, v5
	v_and_b32_e32 v12, 7, v7
	v_bfe_u32 v15, v7, 3, 4
	v_and_b32_e32 v5, 0x80000000, v5
	v_ffbh_u32_e32 v13, v12
	v_cmp_eq_u32_e32 vcc_lo, 0, v15
	v_min_u32_e32 v13, 32, v13
	v_subrev_nc_u32_e32 v14, 28, v13
	v_sub_nc_u32_e32 v13, 29, v13
	v_lshlrev_b32_e32 v7, v14, v7
	v_cndmask_b32_e32 v13, v15, v13, vcc_lo
	v_and_b32_e32 v7, 7, v7
	v_cndmask_b32_e32 v7, v12, v7, vcc_lo
	v_lshl_add_u32 v12, v13, 23, 0x3b800000
	v_lshlrev_b32_e32 v7, 20, v7
	v_or3_b32 v5, v5, v12, v7
	v_cvt_f64_f32_e32 v[13:14], v5
.LBB8_1327:
	s_or_b32 exec_lo, exec_lo, s18
.LBB8_1328:
	s_mov_b32 s7, -1
.LBB8_1329:
	s_branch .LBB8_1360
.LBB8_1330:
	s_cmp_gt_i32 s4, 22
	s_cbranch_scc0 .LBB8_1342
; %bb.1331:
	s_cmp_lt_i32 s4, 24
	s_cbranch_scc1 .LBB8_1343
; %bb.1332:
	s_cmp_gt_i32 s4, 24
	s_cbranch_scc0 .LBB8_1344
; %bb.1333:
	global_load_ubyte v5, v[10:11], off
	s_mov_b32 s7, exec_lo
	s_waitcnt vmcnt(0)
	v_cmpx_lt_i16_e32 0x7f, v5
	s_xor_b32 s7, exec_lo, s7
	s_cbranch_execz .LBB8_1337
; %bb.1334:
	s_mov_b32 s6, -1
	s_mov_b32 s18, exec_lo
	v_cmpx_eq_u16_e32 0x80, v5
; %bb.1335:
	s_xor_b32 s6, exec_lo, -1
; %bb.1336:
	s_or_b32 exec_lo, exec_lo, s18
	s_and_b32 s6, s6, exec_lo
.LBB8_1337:
	s_or_saveexec_b32 s7, s7
	v_bfrev_b32_e32 v13, 4
	v_mov_b32_e32 v14, 0x7ff80000
	s_xor_b32 exec_lo, exec_lo, s7
; %bb.1338:
	v_cmp_ne_u16_e32 vcc_lo, 0, v5
	v_mov_b32_e32 v13, 0
	v_mov_b32_e32 v14, 0
	s_andn2_b32 s6, s6, exec_lo
	s_and_b32 s18, vcc_lo, exec_lo
	s_or_b32 s6, s6, s18
; %bb.1339:
	s_or_b32 exec_lo, exec_lo, s7
	s_and_saveexec_b32 s7, s6
	s_cbranch_execz .LBB8_1341
; %bb.1340:
	v_and_b32_e32 v7, 0xffff, v5
	v_lshlrev_b32_e32 v5, 24, v5
	v_and_b32_e32 v12, 3, v7
	v_bfe_u32 v15, v7, 2, 5
	v_and_b32_e32 v5, 0x80000000, v5
	v_ffbh_u32_e32 v13, v12
	v_cmp_eq_u32_e32 vcc_lo, 0, v15
	v_min_u32_e32 v13, 32, v13
	v_subrev_nc_u32_e32 v14, 29, v13
	v_sub_nc_u32_e32 v13, 30, v13
	v_lshlrev_b32_e32 v7, v14, v7
	v_cndmask_b32_e32 v13, v15, v13, vcc_lo
	v_and_b32_e32 v7, 3, v7
	v_cndmask_b32_e32 v7, v12, v7, vcc_lo
	v_lshl_add_u32 v12, v13, 23, 0x37800000
	v_lshlrev_b32_e32 v7, 21, v7
	v_or3_b32 v5, v5, v12, v7
	v_cvt_f64_f32_e32 v[13:14], v5
.LBB8_1341:
	s_or_b32 exec_lo, exec_lo, s7
	s_mov_b32 s6, 0
	s_branch .LBB8_1345
.LBB8_1342:
	s_mov_b32 s6, -1
                                        ; implicit-def: $vgpr13_vgpr14
	s_branch .LBB8_1351
.LBB8_1343:
	s_mov_b32 s6, -1
                                        ; implicit-def: $vgpr13_vgpr14
	s_branch .LBB8_1348
.LBB8_1344:
	s_mov_b32 s6, -1
                                        ; implicit-def: $vgpr13_vgpr14
.LBB8_1345:
	s_and_b32 vcc_lo, exec_lo, s6
	s_cbranch_vccz .LBB8_1347
; %bb.1346:
	global_load_ubyte v5, v[10:11], off
	s_waitcnt vmcnt(0)
	v_lshlrev_b32_e32 v5, 24, v5
	v_and_b32_e32 v7, 0x7f000000, v5
	v_ffbh_u32_e32 v12, v7
	v_add_nc_u32_e32 v14, 0x1000000, v7
	v_cmp_ne_u32_e32 vcc_lo, 0, v7
	v_min_u32_e32 v12, 32, v12
	v_sub_nc_u32_e64 v12, v12, 4 clamp
	v_lshlrev_b32_e32 v13, v12, v7
	v_lshlrev_b32_e32 v12, 23, v12
	v_lshrrev_b32_e32 v13, 4, v13
	v_sub_nc_u32_e32 v12, v13, v12
	v_ashrrev_i32_e32 v13, 8, v14
	v_add_nc_u32_e32 v12, 0x3c000000, v12
	v_and_or_b32 v12, 0x7f800000, v13, v12
	v_cndmask_b32_e32 v7, 0, v12, vcc_lo
	v_and_or_b32 v5, 0x80000000, v5, v7
	v_cvt_f64_f32_e32 v[13:14], v5
.LBB8_1347:
	s_mov_b32 s6, 0
.LBB8_1348:
	s_andn2_b32 vcc_lo, exec_lo, s6
	s_cbranch_vccnz .LBB8_1350
; %bb.1349:
	global_load_ubyte v5, v[10:11], off
	s_waitcnt vmcnt(0)
	v_lshlrev_b32_e32 v7, 25, v5
	v_lshlrev_b16 v5, 8, v5
	v_lshrrev_b32_e32 v12, 4, v7
	v_and_or_b32 v13, 0x7f00, v5, 0.5
	v_cmp_gt_u32_e32 vcc_lo, 0x8000000, v7
	v_bfe_i32 v5, v5, 0, 16
	v_or_b32_e32 v12, 0x70000000, v12
	v_add_f32_e32 v13, -0.5, v13
	v_mul_f32_e32 v12, 0x7800000, v12
	v_cndmask_b32_e32 v7, v12, v13, vcc_lo
	v_and_or_b32 v5, 0x80000000, v5, v7
	v_cvt_f64_f32_e32 v[13:14], v5
.LBB8_1350:
	s_mov_b32 s6, 0
	s_mov_b32 s7, -1
.LBB8_1351:
	s_andn2_b32 vcc_lo, exec_lo, s6
	s_mov_b32 s6, 0
	s_cbranch_vccnz .LBB8_1360
; %bb.1352:
	s_cmp_gt_i32 s4, 14
	s_cbranch_scc0 .LBB8_1355
; %bb.1353:
	s_cmp_eq_u32 s4, 15
	s_cbranch_scc0 .LBB8_1356
; %bb.1354:
	global_load_ushort v5, v[10:11], off
	s_mov_b32 s5, 0
	s_mov_b32 s7, -1
	s_waitcnt vmcnt(0)
	v_lshlrev_b32_e32 v5, 16, v5
	v_cvt_f64_f32_e32 v[13:14], v5
	s_branch .LBB8_1358
.LBB8_1355:
	s_mov_b32 s6, -1
	s_branch .LBB8_1357
.LBB8_1356:
	s_mov_b32 s5, -1
.LBB8_1357:
                                        ; implicit-def: $vgpr13_vgpr14
.LBB8_1358:
	s_and_b32 vcc_lo, exec_lo, s6
	s_mov_b32 s6, 0
	s_cbranch_vccz .LBB8_1360
; %bb.1359:
	s_cmp_lg_u32 s4, 11
	s_mov_b32 s6, -1
	s_cselect_b32 s5, -1, 0
.LBB8_1360:
	s_and_b32 vcc_lo, exec_lo, s5
	s_cbranch_vccnz .LBB8_1425
; %bb.1361:
	s_andn2_b32 vcc_lo, exec_lo, s6
	s_cbranch_vccnz .LBB8_1363
.LBB8_1362:
	global_load_ubyte v5, v[10:11], off
	v_mov_b32_e32 v13, 0
	s_mov_b32 s7, -1
	s_waitcnt vmcnt(0)
	v_cmp_ne_u16_e32 vcc_lo, 0, v5
	v_cndmask_b32_e64 v14, 0, 0x3ff00000, vcc_lo
.LBB8_1363:
	s_branch .LBB8_1289
.LBB8_1364:
	s_and_b32 s4, 0xffff, s0
	s_cmp_lt_i32 s4, 5
	s_cbranch_scc1 .LBB8_1369
; %bb.1365:
	s_cmp_lt_i32 s4, 8
	s_cbranch_scc1 .LBB8_1370
; %bb.1366:
	;; [unrolled: 3-line block ×3, first 2 shown]
	s_cmp_gt_i32 s4, 9
	s_cbranch_scc0 .LBB8_1372
; %bb.1368:
	global_load_dwordx2 v[13:14], v[10:11], off
	s_mov_b32 s5, 0
	s_branch .LBB8_1373
.LBB8_1369:
                                        ; implicit-def: $vgpr13_vgpr14
	s_branch .LBB8_1391
.LBB8_1370:
	s_mov_b32 s5, -1
                                        ; implicit-def: $vgpr13_vgpr14
	s_branch .LBB8_1379
.LBB8_1371:
	s_mov_b32 s5, -1
                                        ; implicit-def: $vgpr13_vgpr14
	s_branch .LBB8_1376
.LBB8_1372:
	s_mov_b32 s5, -1
                                        ; implicit-def: $vgpr13_vgpr14
.LBB8_1373:
	s_andn2_b32 vcc_lo, exec_lo, s5
	s_cbranch_vccnz .LBB8_1375
; %bb.1374:
	global_load_dword v5, v[10:11], off
	s_waitcnt vmcnt(0)
	v_cvt_f64_f32_e32 v[13:14], v5
.LBB8_1375:
	s_mov_b32 s5, 0
.LBB8_1376:
	s_andn2_b32 vcc_lo, exec_lo, s5
	s_cbranch_vccnz .LBB8_1378
; %bb.1377:
	global_load_dword v5, v[10:11], off
	s_waitcnt vmcnt(0)
	v_cvt_f32_f16_e32 v5, v5
	v_cvt_f64_f32_e32 v[13:14], v5
.LBB8_1378:
	s_mov_b32 s5, 0
.LBB8_1379:
	s_andn2_b32 vcc_lo, exec_lo, s5
	s_cbranch_vccnz .LBB8_1390
; %bb.1380:
	s_cmp_lt_i32 s4, 6
	s_cbranch_scc1 .LBB8_1383
; %bb.1381:
	s_cmp_gt_i32 s4, 6
	s_cbranch_scc0 .LBB8_1384
; %bb.1382:
	global_load_dwordx2 v[13:14], v[10:11], off
	s_mov_b32 s5, 0
	s_branch .LBB8_1385
.LBB8_1383:
	s_mov_b32 s5, -1
                                        ; implicit-def: $vgpr13_vgpr14
	s_branch .LBB8_1388
.LBB8_1384:
	s_mov_b32 s5, -1
                                        ; implicit-def: $vgpr13_vgpr14
.LBB8_1385:
	s_andn2_b32 vcc_lo, exec_lo, s5
	s_cbranch_vccnz .LBB8_1387
; %bb.1386:
	global_load_dword v5, v[10:11], off
	s_waitcnt vmcnt(0)
	v_cvt_f64_f32_e32 v[13:14], v5
.LBB8_1387:
	s_mov_b32 s5, 0
.LBB8_1388:
	s_andn2_b32 vcc_lo, exec_lo, s5
	s_cbranch_vccnz .LBB8_1390
; %bb.1389:
	global_load_ushort v5, v[10:11], off
	s_waitcnt vmcnt(0)
	v_cvt_f32_f16_e32 v5, v5
	v_cvt_f64_f32_e32 v[13:14], v5
.LBB8_1390:
	s_cbranch_execnz .LBB8_1410
.LBB8_1391:
	s_cmp_lt_i32 s4, 2
	s_cbranch_scc1 .LBB8_1395
; %bb.1392:
	s_cmp_lt_i32 s4, 3
	s_cbranch_scc1 .LBB8_1396
; %bb.1393:
	s_cmp_gt_i32 s4, 3
	s_cbranch_scc0 .LBB8_1397
; %bb.1394:
	global_load_dwordx2 v[12:13], v[10:11], off
	s_mov_b32 s5, 0
	s_waitcnt vmcnt(0)
	v_cvt_f64_i32_e32 v[13:14], v13
	v_cvt_f64_u32_e32 v[15:16], v12
	v_ldexp_f64 v[13:14], v[13:14], 32
	v_add_f64 v[13:14], v[13:14], v[15:16]
	s_branch .LBB8_1398
.LBB8_1395:
	s_mov_b32 s5, -1
                                        ; implicit-def: $vgpr13_vgpr14
	s_branch .LBB8_1404
.LBB8_1396:
	s_mov_b32 s5, -1
                                        ; implicit-def: $vgpr13_vgpr14
	s_branch .LBB8_1401
.LBB8_1397:
	s_mov_b32 s5, -1
                                        ; implicit-def: $vgpr13_vgpr14
.LBB8_1398:
	s_andn2_b32 vcc_lo, exec_lo, s5
	s_cbranch_vccnz .LBB8_1400
; %bb.1399:
	global_load_dword v5, v[10:11], off
	s_waitcnt vmcnt(0)
	v_cvt_f64_i32_e32 v[13:14], v5
.LBB8_1400:
	s_mov_b32 s5, 0
.LBB8_1401:
	s_andn2_b32 vcc_lo, exec_lo, s5
	s_cbranch_vccnz .LBB8_1403
; %bb.1402:
	global_load_sshort v5, v[10:11], off
	s_waitcnt vmcnt(0)
	v_cvt_f64_i32_e32 v[13:14], v5
.LBB8_1403:
	s_mov_b32 s5, 0
.LBB8_1404:
	s_andn2_b32 vcc_lo, exec_lo, s5
	s_cbranch_vccnz .LBB8_1410
; %bb.1405:
	s_cmp_gt_i32 s4, 0
	s_mov_b32 s4, 0
	s_cbranch_scc0 .LBB8_1407
; %bb.1406:
	global_load_sbyte v5, v[10:11], off
	s_waitcnt vmcnt(0)
	v_cvt_f64_i32_e32 v[13:14], v5
	s_branch .LBB8_1408
.LBB8_1407:
	s_mov_b32 s4, -1
                                        ; implicit-def: $vgpr13_vgpr14
.LBB8_1408:
	s_andn2_b32 vcc_lo, exec_lo, s4
	s_cbranch_vccnz .LBB8_1410
; %bb.1409:
	global_load_ubyte v5, v[10:11], off
	s_waitcnt vmcnt(0)
	v_cvt_f64_u32_e32 v[13:14], v5
.LBB8_1410:
.LBB8_1411:
	s_waitcnt vmcnt(0)
	v_cvt_f64_f32_e32 v[21:22], v24
	v_cvt_f32_f64_e32 v5, v[13:14]
	v_mov_b32_e32 v7, v24
	s_mov_b32 s4, exec_lo
	v_mov_b32_e32 v19, v21
	v_mov_b32_e32 v20, v22
	v_cmpx_nlg_f32_e64 0x7f800000, |v5|
	s_cbranch_execz .LBB8_1413
; %bb.1412:
	v_mov_b32_e32 v5, 0
	v_mov_b32_e32 v7, 1.0
	global_store_dword v5, v7, s[12:13]
	global_load_dword v7, v5, s[14:15]
	s_waitcnt vmcnt(0)
	v_cvt_f64_f32_e32 v[19:20], v7
.LBB8_1413:
	s_or_b32 exec_lo, exec_lo, s4
	v_add_co_u32 v15, s4, s10, v3
	v_add_co_ci_u32_e64 v16, null, s11, 0, s4
	s_cmp_lt_i32 s0, 11
	s_cbranch_scc1 .LBB8_1420
; %bb.1414:
	s_and_b32 s4, 0xffff, s0
	s_mov_b32 s6, 0
	s_cmp_gt_i32 s4, 25
	s_cbranch_scc0 .LBB8_1422
; %bb.1415:
	s_cmp_gt_i32 s4, 28
	s_cbranch_scc0 .LBB8_1423
; %bb.1416:
	;; [unrolled: 3-line block ×4, first 2 shown]
	s_cmp_eq_u32 s4, 46
	s_mov_b32 s18, 0
	s_cbranch_scc0 .LBB8_1427
; %bb.1419:
	global_load_dword v3, v[15:16], off
	s_mov_b32 s5, 0
	s_mov_b32 s7, -1
	s_waitcnt vmcnt(0)
	v_lshlrev_b32_e32 v3, 16, v3
	v_cvt_f64_f32_e32 v[11:12], v3
	s_branch .LBB8_1429
.LBB8_1420:
	s_mov_b32 s7, 0
                                        ; implicit-def: $vgpr11_vgpr12
	s_cbranch_execnz .LBB8_1495
.LBB8_1421:
	s_andn2_b32 vcc_lo, exec_lo, s7
	s_cbranch_vccnz .LBB8_2111
	s_branch .LBB8_1543
.LBB8_1422:
	s_mov_b32 s18, -1
	s_mov_b32 s7, 0
	s_mov_b32 s5, 0
                                        ; implicit-def: $vgpr11_vgpr12
	s_branch .LBB8_1460
.LBB8_1423:
	s_mov_b32 s18, -1
	s_mov_b32 s7, 0
	s_mov_b32 s5, 0
                                        ; implicit-def: $vgpr11_vgpr12
	s_branch .LBB8_1439
.LBB8_1424:
	s_mov_b32 s18, -1
	s_mov_b32 s7, 0
	s_mov_b32 s5, 0
                                        ; implicit-def: $vgpr11_vgpr12
	s_branch .LBB8_1434
.LBB8_1425:
	s_or_b32 s1, s1, exec_lo
	s_trap 2
	s_cbranch_execz .LBB8_1362
	s_branch .LBB8_1363
.LBB8_1426:
	s_mov_b32 s18, -1
	s_mov_b32 s7, 0
	s_mov_b32 s5, 0
	s_branch .LBB8_1428
.LBB8_1427:
	s_mov_b32 s5, -1
	s_mov_b32 s7, 0
.LBB8_1428:
                                        ; implicit-def: $vgpr11_vgpr12
.LBB8_1429:
	s_and_b32 vcc_lo, exec_lo, s18
	s_cbranch_vccz .LBB8_1433
; %bb.1430:
	s_cmp_eq_u32 s4, 44
	s_cbranch_scc0 .LBB8_1432
; %bb.1431:
	global_load_ubyte v3, v[15:16], off
	s_mov_b32 s5, 0
	s_mov_b32 s7, -1
	s_waitcnt vmcnt(0)
	v_lshlrev_b32_e32 v5, 23, v3
	v_cmp_ne_u32_e32 vcc_lo, 0xff, v3
	v_cvt_f64_f32_e32 v[10:11], v5
	v_cndmask_b32_e32 v5, 0x20000000, v10, vcc_lo
	v_cndmask_b32_e32 v10, 0x7ff80000, v11, vcc_lo
	v_cmp_ne_u32_e32 vcc_lo, 0, v3
	v_cndmask_b32_e32 v12, 0x38000000, v10, vcc_lo
	v_cndmask_b32_e32 v11, 0, v5, vcc_lo
	s_branch .LBB8_1433
.LBB8_1432:
	s_mov_b32 s5, -1
                                        ; implicit-def: $vgpr11_vgpr12
.LBB8_1433:
	s_mov_b32 s18, 0
.LBB8_1434:
	s_and_b32 vcc_lo, exec_lo, s18
	s_cbranch_vccz .LBB8_1438
; %bb.1435:
	s_cmp_eq_u32 s4, 29
	s_cbranch_scc0 .LBB8_1437
; %bb.1436:
	global_load_dwordx2 v[10:11], v[15:16], off
	s_mov_b32 s5, 0
	s_mov_b32 s7, -1
	s_mov_b32 s18, 0
	s_waitcnt vmcnt(0)
	v_cvt_f64_u32_e32 v[11:12], v11
	v_cvt_f64_u32_e32 v[17:18], v10
	v_ldexp_f64 v[11:12], v[11:12], 32
	v_add_f64 v[11:12], v[11:12], v[17:18]
	s_branch .LBB8_1439
.LBB8_1437:
	s_mov_b32 s5, -1
                                        ; implicit-def: $vgpr11_vgpr12
.LBB8_1438:
	s_mov_b32 s18, 0
.LBB8_1439:
	s_and_b32 vcc_lo, exec_lo, s18
	s_cbranch_vccz .LBB8_1459
; %bb.1440:
	s_cmp_lt_i32 s4, 27
	s_cbranch_scc1 .LBB8_1443
; %bb.1441:
	s_cmp_gt_i32 s4, 27
	s_cbranch_scc0 .LBB8_1444
; %bb.1442:
	global_load_dword v3, v[15:16], off
	s_mov_b32 s7, 0
	s_waitcnt vmcnt(0)
	v_cvt_f64_u32_e32 v[11:12], v3
	s_branch .LBB8_1445
.LBB8_1443:
	s_mov_b32 s7, -1
                                        ; implicit-def: $vgpr11_vgpr12
	s_branch .LBB8_1448
.LBB8_1444:
	s_mov_b32 s7, -1
                                        ; implicit-def: $vgpr11_vgpr12
.LBB8_1445:
	s_andn2_b32 vcc_lo, exec_lo, s7
	s_cbranch_vccnz .LBB8_1447
; %bb.1446:
	global_load_ushort v3, v[15:16], off
	s_waitcnt vmcnt(0)
	v_cvt_f64_u32_e32 v[11:12], v3
.LBB8_1447:
	s_mov_b32 s7, 0
.LBB8_1448:
	s_andn2_b32 vcc_lo, exec_lo, s7
	s_cbranch_vccnz .LBB8_1458
; %bb.1449:
	global_load_ubyte v3, v[15:16], off
	s_mov_b32 s7, 0
	s_mov_b32 s18, exec_lo
	s_waitcnt vmcnt(0)
	v_cmpx_lt_i16_e32 0x7f, v3
	s_xor_b32 s18, exec_lo, s18
	s_cbranch_execz .LBB8_1453
; %bb.1450:
	s_mov_b32 s7, -1
	s_mov_b32 s19, exec_lo
	v_cmpx_eq_u16_e32 0x80, v3
; %bb.1451:
	s_xor_b32 s7, exec_lo, -1
; %bb.1452:
	s_or_b32 exec_lo, exec_lo, s19
	s_and_b32 s7, s7, exec_lo
.LBB8_1453:
	s_or_saveexec_b32 s18, s18
	v_bfrev_b32_e32 v11, 4
	v_mov_b32_e32 v12, 0x7ff80000
	s_xor_b32 exec_lo, exec_lo, s18
; %bb.1454:
	v_cmp_ne_u16_e32 vcc_lo, 0, v3
	v_mov_b32_e32 v11, 0
	v_mov_b32_e32 v12, 0
	s_andn2_b32 s7, s7, exec_lo
	s_and_b32 s19, vcc_lo, exec_lo
	s_or_b32 s7, s7, s19
; %bb.1455:
	s_or_b32 exec_lo, exec_lo, s18
	s_and_saveexec_b32 s18, s7
	s_cbranch_execz .LBB8_1457
; %bb.1456:
	v_and_b32_e32 v5, 0xffff, v3
	v_lshlrev_b32_e32 v3, 24, v3
	v_and_b32_e32 v10, 7, v5
	v_bfe_u32 v17, v5, 3, 4
	v_and_b32_e32 v3, 0x80000000, v3
	v_ffbh_u32_e32 v11, v10
	v_cmp_eq_u32_e32 vcc_lo, 0, v17
	v_min_u32_e32 v11, 32, v11
	v_subrev_nc_u32_e32 v12, 28, v11
	v_sub_nc_u32_e32 v11, 29, v11
	v_lshlrev_b32_e32 v5, v12, v5
	v_cndmask_b32_e32 v11, v17, v11, vcc_lo
	v_and_b32_e32 v5, 7, v5
	v_cndmask_b32_e32 v5, v10, v5, vcc_lo
	v_lshl_add_u32 v10, v11, 23, 0x3b800000
	v_lshlrev_b32_e32 v5, 20, v5
	v_or3_b32 v3, v3, v10, v5
	v_cvt_f64_f32_e32 v[11:12], v3
.LBB8_1457:
	s_or_b32 exec_lo, exec_lo, s18
.LBB8_1458:
	s_mov_b32 s7, -1
.LBB8_1459:
	s_mov_b32 s18, 0
.LBB8_1460:
	s_and_b32 vcc_lo, exec_lo, s18
	s_cbranch_vccz .LBB8_1491
; %bb.1461:
	s_cmp_gt_i32 s4, 22
	s_cbranch_scc0 .LBB8_1473
; %bb.1462:
	s_cmp_lt_i32 s4, 24
	s_cbranch_scc1 .LBB8_1474
; %bb.1463:
	s_cmp_gt_i32 s4, 24
	s_cbranch_scc0 .LBB8_1475
; %bb.1464:
	global_load_ubyte v3, v[15:16], off
	s_mov_b32 s7, exec_lo
	s_waitcnt vmcnt(0)
	v_cmpx_lt_i16_e32 0x7f, v3
	s_xor_b32 s7, exec_lo, s7
	s_cbranch_execz .LBB8_1468
; %bb.1465:
	s_mov_b32 s6, -1
	s_mov_b32 s18, exec_lo
	v_cmpx_eq_u16_e32 0x80, v3
; %bb.1466:
	s_xor_b32 s6, exec_lo, -1
; %bb.1467:
	s_or_b32 exec_lo, exec_lo, s18
	s_and_b32 s6, s6, exec_lo
.LBB8_1468:
	s_or_saveexec_b32 s7, s7
	v_bfrev_b32_e32 v11, 4
	v_mov_b32_e32 v12, 0x7ff80000
	s_xor_b32 exec_lo, exec_lo, s7
; %bb.1469:
	v_cmp_ne_u16_e32 vcc_lo, 0, v3
	v_mov_b32_e32 v11, 0
	v_mov_b32_e32 v12, 0
	s_andn2_b32 s6, s6, exec_lo
	s_and_b32 s18, vcc_lo, exec_lo
	s_or_b32 s6, s6, s18
; %bb.1470:
	s_or_b32 exec_lo, exec_lo, s7
	s_and_saveexec_b32 s7, s6
	s_cbranch_execz .LBB8_1472
; %bb.1471:
	v_and_b32_e32 v5, 0xffff, v3
	v_lshlrev_b32_e32 v3, 24, v3
	v_and_b32_e32 v10, 3, v5
	v_bfe_u32 v17, v5, 2, 5
	v_and_b32_e32 v3, 0x80000000, v3
	v_ffbh_u32_e32 v11, v10
	v_cmp_eq_u32_e32 vcc_lo, 0, v17
	v_min_u32_e32 v11, 32, v11
	v_subrev_nc_u32_e32 v12, 29, v11
	v_sub_nc_u32_e32 v11, 30, v11
	v_lshlrev_b32_e32 v5, v12, v5
	v_cndmask_b32_e32 v11, v17, v11, vcc_lo
	v_and_b32_e32 v5, 3, v5
	v_cndmask_b32_e32 v5, v10, v5, vcc_lo
	v_lshl_add_u32 v10, v11, 23, 0x37800000
	v_lshlrev_b32_e32 v5, 21, v5
	v_or3_b32 v3, v3, v10, v5
	v_cvt_f64_f32_e32 v[11:12], v3
.LBB8_1472:
	s_or_b32 exec_lo, exec_lo, s7
	s_mov_b32 s6, 0
	s_branch .LBB8_1476
.LBB8_1473:
	s_mov_b32 s6, -1
                                        ; implicit-def: $vgpr11_vgpr12
	s_branch .LBB8_1482
.LBB8_1474:
	s_mov_b32 s6, -1
                                        ; implicit-def: $vgpr11_vgpr12
	s_branch .LBB8_1479
.LBB8_1475:
	s_mov_b32 s6, -1
                                        ; implicit-def: $vgpr11_vgpr12
.LBB8_1476:
	s_and_b32 vcc_lo, exec_lo, s6
	s_cbranch_vccz .LBB8_1478
; %bb.1477:
	global_load_ubyte v3, v[15:16], off
	s_waitcnt vmcnt(0)
	v_lshlrev_b32_e32 v3, 24, v3
	v_and_b32_e32 v5, 0x7f000000, v3
	v_ffbh_u32_e32 v10, v5
	v_add_nc_u32_e32 v12, 0x1000000, v5
	v_cmp_ne_u32_e32 vcc_lo, 0, v5
	v_min_u32_e32 v10, 32, v10
	v_sub_nc_u32_e64 v10, v10, 4 clamp
	v_lshlrev_b32_e32 v11, v10, v5
	v_lshlrev_b32_e32 v10, 23, v10
	v_lshrrev_b32_e32 v11, 4, v11
	v_sub_nc_u32_e32 v10, v11, v10
	v_ashrrev_i32_e32 v11, 8, v12
	v_add_nc_u32_e32 v10, 0x3c000000, v10
	v_and_or_b32 v10, 0x7f800000, v11, v10
	v_cndmask_b32_e32 v5, 0, v10, vcc_lo
	v_and_or_b32 v3, 0x80000000, v3, v5
	v_cvt_f64_f32_e32 v[11:12], v3
.LBB8_1478:
	s_mov_b32 s6, 0
.LBB8_1479:
	s_andn2_b32 vcc_lo, exec_lo, s6
	s_cbranch_vccnz .LBB8_1481
; %bb.1480:
	global_load_ubyte v3, v[15:16], off
	s_waitcnt vmcnt(0)
	v_lshlrev_b32_e32 v5, 25, v3
	v_lshlrev_b16 v3, 8, v3
	v_lshrrev_b32_e32 v10, 4, v5
	v_and_or_b32 v11, 0x7f00, v3, 0.5
	v_cmp_gt_u32_e32 vcc_lo, 0x8000000, v5
	v_bfe_i32 v3, v3, 0, 16
	v_or_b32_e32 v10, 0x70000000, v10
	v_add_f32_e32 v11, -0.5, v11
	v_mul_f32_e32 v10, 0x7800000, v10
	v_cndmask_b32_e32 v5, v10, v11, vcc_lo
	v_and_or_b32 v3, 0x80000000, v3, v5
	v_cvt_f64_f32_e32 v[11:12], v3
.LBB8_1481:
	s_mov_b32 s6, 0
	s_mov_b32 s7, -1
.LBB8_1482:
	s_andn2_b32 vcc_lo, exec_lo, s6
	s_mov_b32 s6, 0
	s_cbranch_vccnz .LBB8_1491
; %bb.1483:
	s_cmp_gt_i32 s4, 14
	s_cbranch_scc0 .LBB8_1486
; %bb.1484:
	s_cmp_eq_u32 s4, 15
	s_cbranch_scc0 .LBB8_1487
; %bb.1485:
	global_load_ushort v3, v[15:16], off
	s_mov_b32 s5, 0
	s_mov_b32 s7, -1
	s_waitcnt vmcnt(0)
	v_lshlrev_b32_e32 v3, 16, v3
	v_cvt_f64_f32_e32 v[11:12], v3
	s_branch .LBB8_1489
.LBB8_1486:
	s_mov_b32 s6, -1
	s_branch .LBB8_1488
.LBB8_1487:
	s_mov_b32 s5, -1
.LBB8_1488:
                                        ; implicit-def: $vgpr11_vgpr12
.LBB8_1489:
	s_and_b32 vcc_lo, exec_lo, s6
	s_mov_b32 s6, 0
	s_cbranch_vccz .LBB8_1491
; %bb.1490:
	s_cmp_lg_u32 s4, 11
	s_mov_b32 s6, -1
	s_cselect_b32 s5, -1, 0
.LBB8_1491:
	s_and_b32 vcc_lo, exec_lo, s5
	s_cbranch_vccnz .LBB8_1556
; %bb.1492:
	s_andn2_b32 vcc_lo, exec_lo, s6
	s_cbranch_vccnz .LBB8_1494
.LBB8_1493:
	global_load_ubyte v3, v[15:16], off
	v_mov_b32_e32 v11, 0
	s_mov_b32 s7, -1
	s_waitcnt vmcnt(0)
	v_cmp_ne_u16_e32 vcc_lo, 0, v3
	v_cndmask_b32_e64 v12, 0, 0x3ff00000, vcc_lo
.LBB8_1494:
	s_branch .LBB8_1421
.LBB8_1495:
	s_and_b32 s4, 0xffff, s0
	s_cmp_lt_i32 s4, 5
	s_cbranch_scc1 .LBB8_1500
; %bb.1496:
	s_cmp_lt_i32 s4, 8
	s_cbranch_scc1 .LBB8_1501
; %bb.1497:
	;; [unrolled: 3-line block ×3, first 2 shown]
	s_cmp_gt_i32 s4, 9
	s_cbranch_scc0 .LBB8_1503
; %bb.1499:
	global_load_dwordx2 v[11:12], v[15:16], off
	s_mov_b32 s5, 0
	s_branch .LBB8_1504
.LBB8_1500:
	s_mov_b32 s5, -1
                                        ; implicit-def: $vgpr11_vgpr12
	s_branch .LBB8_1522
.LBB8_1501:
	s_mov_b32 s5, -1
                                        ; implicit-def: $vgpr11_vgpr12
	s_branch .LBB8_1510
.LBB8_1502:
	s_mov_b32 s5, -1
                                        ; implicit-def: $vgpr11_vgpr12
	s_branch .LBB8_1507
.LBB8_1503:
	s_mov_b32 s5, -1
                                        ; implicit-def: $vgpr11_vgpr12
.LBB8_1504:
	s_andn2_b32 vcc_lo, exec_lo, s5
	s_cbranch_vccnz .LBB8_1506
; %bb.1505:
	global_load_dword v3, v[15:16], off
	s_waitcnt vmcnt(0)
	v_cvt_f64_f32_e32 v[11:12], v3
.LBB8_1506:
	s_mov_b32 s5, 0
.LBB8_1507:
	s_andn2_b32 vcc_lo, exec_lo, s5
	s_cbranch_vccnz .LBB8_1509
; %bb.1508:
	global_load_dword v3, v[15:16], off
	s_waitcnt vmcnt(0)
	v_cvt_f32_f16_e32 v3, v3
	v_cvt_f64_f32_e32 v[11:12], v3
.LBB8_1509:
	s_mov_b32 s5, 0
.LBB8_1510:
	s_andn2_b32 vcc_lo, exec_lo, s5
	s_cbranch_vccnz .LBB8_1521
; %bb.1511:
	s_cmp_lt_i32 s4, 6
	s_cbranch_scc1 .LBB8_1514
; %bb.1512:
	s_cmp_gt_i32 s4, 6
	s_cbranch_scc0 .LBB8_1515
; %bb.1513:
	global_load_dwordx2 v[11:12], v[15:16], off
	s_mov_b32 s5, 0
	s_branch .LBB8_1516
.LBB8_1514:
	s_mov_b32 s5, -1
                                        ; implicit-def: $vgpr11_vgpr12
	s_branch .LBB8_1519
.LBB8_1515:
	s_mov_b32 s5, -1
                                        ; implicit-def: $vgpr11_vgpr12
.LBB8_1516:
	s_andn2_b32 vcc_lo, exec_lo, s5
	s_cbranch_vccnz .LBB8_1518
; %bb.1517:
	global_load_dword v3, v[15:16], off
	s_waitcnt vmcnt(0)
	v_cvt_f64_f32_e32 v[11:12], v3
.LBB8_1518:
	s_mov_b32 s5, 0
.LBB8_1519:
	s_andn2_b32 vcc_lo, exec_lo, s5
	s_cbranch_vccnz .LBB8_1521
; %bb.1520:
	global_load_ushort v3, v[15:16], off
	s_waitcnt vmcnt(0)
	v_cvt_f32_f16_e32 v3, v3
	v_cvt_f64_f32_e32 v[11:12], v3
.LBB8_1521:
	s_mov_b32 s5, 0
.LBB8_1522:
	s_andn2_b32 vcc_lo, exec_lo, s5
	s_cbranch_vccnz .LBB8_1542
; %bb.1523:
	s_cmp_lt_i32 s4, 2
	s_cbranch_scc1 .LBB8_1527
; %bb.1524:
	s_cmp_lt_i32 s4, 3
	s_cbranch_scc1 .LBB8_1528
; %bb.1525:
	s_cmp_gt_i32 s4, 3
	s_cbranch_scc0 .LBB8_1529
; %bb.1526:
	global_load_dwordx2 v[10:11], v[15:16], off
	s_mov_b32 s5, 0
	s_waitcnt vmcnt(0)
	v_cvt_f64_i32_e32 v[11:12], v11
	v_cvt_f64_u32_e32 v[17:18], v10
	v_ldexp_f64 v[11:12], v[11:12], 32
	v_add_f64 v[11:12], v[11:12], v[17:18]
	s_branch .LBB8_1530
.LBB8_1527:
	s_mov_b32 s5, -1
                                        ; implicit-def: $vgpr11_vgpr12
	s_branch .LBB8_1536
.LBB8_1528:
	s_mov_b32 s5, -1
                                        ; implicit-def: $vgpr11_vgpr12
	s_branch .LBB8_1533
.LBB8_1529:
	s_mov_b32 s5, -1
                                        ; implicit-def: $vgpr11_vgpr12
.LBB8_1530:
	s_andn2_b32 vcc_lo, exec_lo, s5
	s_cbranch_vccnz .LBB8_1532
; %bb.1531:
	global_load_dword v3, v[15:16], off
	s_waitcnt vmcnt(0)
	v_cvt_f64_i32_e32 v[11:12], v3
.LBB8_1532:
	s_mov_b32 s5, 0
.LBB8_1533:
	s_andn2_b32 vcc_lo, exec_lo, s5
	s_cbranch_vccnz .LBB8_1535
; %bb.1534:
	global_load_sshort v3, v[15:16], off
	s_waitcnt vmcnt(0)
	v_cvt_f64_i32_e32 v[11:12], v3
.LBB8_1535:
	s_mov_b32 s5, 0
.LBB8_1536:
	s_andn2_b32 vcc_lo, exec_lo, s5
	s_cbranch_vccnz .LBB8_1542
; %bb.1537:
	s_cmp_gt_i32 s4, 0
	s_mov_b32 s4, 0
	s_cbranch_scc0 .LBB8_1539
; %bb.1538:
	global_load_sbyte v3, v[15:16], off
	s_waitcnt vmcnt(0)
	v_cvt_f64_i32_e32 v[11:12], v3
	s_branch .LBB8_1540
.LBB8_1539:
	s_mov_b32 s4, -1
                                        ; implicit-def: $vgpr11_vgpr12
.LBB8_1540:
	s_andn2_b32 vcc_lo, exec_lo, s4
	s_cbranch_vccnz .LBB8_1542
; %bb.1541:
	global_load_ubyte v3, v[15:16], off
	s_waitcnt vmcnt(0)
	v_cvt_f64_u32_e32 v[11:12], v3
.LBB8_1542:
.LBB8_1543:
	s_waitcnt vmcnt(0)
	v_cvt_f32_f64_e32 v3, v[11:12]
	v_mov_b32_e32 v17, v19
	v_mov_b32_e32 v18, v20
	;; [unrolled: 1-line block ×3, first 2 shown]
	s_mov_b32 s4, exec_lo
	v_cmpx_nlg_f32_e64 0x7f800000, |v3|
	s_cbranch_execz .LBB8_1545
; %bb.1544:
	v_mov_b32_e32 v3, 0
	v_mov_b32_e32 v5, 1.0
	global_store_dword v3, v5, s[12:13]
	global_load_dword v5, v3, s[14:15]
	s_waitcnt vmcnt(0)
	v_cvt_f64_f32_e32 v[17:18], v5
.LBB8_1545:
	s_or_b32 exec_lo, exec_lo, s4
	v_add_co_u32 v15, s4, s10, v9
	v_add_co_ci_u32_e64 v16, null, s11, 0, s4
	s_cmp_lt_i32 s0, 11
	s_cbranch_scc1 .LBB8_1552
; %bb.1546:
	s_and_b32 s4, 0xffff, s0
	s_mov_b32 s6, 0
	s_cmp_gt_i32 s4, 25
	s_cbranch_scc0 .LBB8_1553
; %bb.1547:
	s_cmp_gt_i32 s4, 28
	s_cbranch_scc0 .LBB8_1554
; %bb.1548:
	;; [unrolled: 3-line block ×4, first 2 shown]
	s_cmp_eq_u32 s4, 46
	s_mov_b32 s10, 0
	s_cbranch_scc0 .LBB8_1558
; %bb.1551:
	global_load_dword v3, v[15:16], off
	s_mov_b32 s5, 0
	s_mov_b32 s7, -1
	s_waitcnt vmcnt(0)
	v_lshlrev_b32_e32 v3, 16, v3
	v_cvt_f64_f32_e32 v[9:10], v3
	s_branch .LBB8_1560
.LBB8_1552:
	s_mov_b32 s4, -1
	s_mov_b32 s7, 0
                                        ; implicit-def: $vgpr9_vgpr10
	s_branch .LBB8_1626
.LBB8_1553:
	s_mov_b32 s10, -1
	s_mov_b32 s7, 0
	s_mov_b32 s5, 0
                                        ; implicit-def: $vgpr9_vgpr10
	s_branch .LBB8_1591
.LBB8_1554:
	s_mov_b32 s10, -1
	s_mov_b32 s7, 0
	s_mov_b32 s5, 0
                                        ; implicit-def: $vgpr9_vgpr10
	s_branch .LBB8_1570
.LBB8_1555:
	s_mov_b32 s10, -1
	s_mov_b32 s7, 0
	s_mov_b32 s5, 0
                                        ; implicit-def: $vgpr9_vgpr10
	s_branch .LBB8_1565
.LBB8_1556:
	s_or_b32 s1, s1, exec_lo
	s_trap 2
	s_cbranch_execz .LBB8_1493
	s_branch .LBB8_1494
.LBB8_1557:
	s_mov_b32 s10, -1
	s_mov_b32 s7, 0
	s_mov_b32 s5, 0
	s_branch .LBB8_1559
.LBB8_1558:
	s_mov_b32 s5, -1
	s_mov_b32 s7, 0
.LBB8_1559:
                                        ; implicit-def: $vgpr9_vgpr10
.LBB8_1560:
	s_and_b32 vcc_lo, exec_lo, s10
	s_cbranch_vccz .LBB8_1564
; %bb.1561:
	s_cmp_eq_u32 s4, 44
	s_cbranch_scc0 .LBB8_1563
; %bb.1562:
	global_load_ubyte v3, v[15:16], off
	s_mov_b32 s5, 0
	s_mov_b32 s7, -1
	s_waitcnt vmcnt(0)
	v_lshlrev_b32_e32 v9, 23, v3
	v_cmp_ne_u32_e32 vcc_lo, 0xff, v3
	v_cvt_f64_f32_e32 v[9:10], v9
	v_cndmask_b32_e32 v9, 0x20000000, v9, vcc_lo
	v_cndmask_b32_e32 v10, 0x7ff80000, v10, vcc_lo
	v_cmp_ne_u32_e32 vcc_lo, 0, v3
	v_cndmask_b32_e32 v10, 0x38000000, v10, vcc_lo
	v_cndmask_b32_e32 v9, 0, v9, vcc_lo
	s_branch .LBB8_1564
.LBB8_1563:
	s_mov_b32 s5, -1
                                        ; implicit-def: $vgpr9_vgpr10
.LBB8_1564:
	s_mov_b32 s10, 0
.LBB8_1565:
	s_and_b32 vcc_lo, exec_lo, s10
	s_cbranch_vccz .LBB8_1569
; %bb.1566:
	s_cmp_eq_u32 s4, 29
	s_cbranch_scc0 .LBB8_1568
; %bb.1567:
	global_load_dwordx2 v[9:10], v[15:16], off
	s_mov_b32 s5, 0
	s_mov_b32 s7, -1
	s_mov_b32 s10, 0
	s_waitcnt vmcnt(0)
	v_cvt_f64_u32_e32 v[25:26], v10
	v_cvt_f64_u32_e32 v[9:10], v9
	v_ldexp_f64 v[25:26], v[25:26], 32
	v_add_f64 v[9:10], v[25:26], v[9:10]
	s_branch .LBB8_1570
.LBB8_1568:
	s_mov_b32 s5, -1
                                        ; implicit-def: $vgpr9_vgpr10
.LBB8_1569:
	s_mov_b32 s10, 0
.LBB8_1570:
	s_and_b32 vcc_lo, exec_lo, s10
	s_cbranch_vccz .LBB8_1590
; %bb.1571:
	s_cmp_lt_i32 s4, 27
	s_cbranch_scc1 .LBB8_1574
; %bb.1572:
	s_cmp_gt_i32 s4, 27
	s_cbranch_scc0 .LBB8_1575
; %bb.1573:
	global_load_dword v3, v[15:16], off
	s_mov_b32 s7, 0
	s_waitcnt vmcnt(0)
	v_cvt_f64_u32_e32 v[9:10], v3
	s_branch .LBB8_1576
.LBB8_1574:
	s_mov_b32 s7, -1
                                        ; implicit-def: $vgpr9_vgpr10
	s_branch .LBB8_1579
.LBB8_1575:
	s_mov_b32 s7, -1
                                        ; implicit-def: $vgpr9_vgpr10
.LBB8_1576:
	s_andn2_b32 vcc_lo, exec_lo, s7
	s_cbranch_vccnz .LBB8_1578
; %bb.1577:
	global_load_ushort v3, v[15:16], off
	s_waitcnt vmcnt(0)
	v_cvt_f64_u32_e32 v[9:10], v3
.LBB8_1578:
	s_mov_b32 s7, 0
.LBB8_1579:
	s_andn2_b32 vcc_lo, exec_lo, s7
	s_cbranch_vccnz .LBB8_1589
; %bb.1580:
	global_load_ubyte v3, v[15:16], off
	s_mov_b32 s7, 0
	s_mov_b32 s10, exec_lo
	s_waitcnt vmcnt(0)
	v_cmpx_lt_i16_e32 0x7f, v3
	s_xor_b32 s10, exec_lo, s10
	s_cbranch_execz .LBB8_1584
; %bb.1581:
	s_mov_b32 s7, -1
	s_mov_b32 s11, exec_lo
	v_cmpx_eq_u16_e32 0x80, v3
; %bb.1582:
	s_xor_b32 s7, exec_lo, -1
; %bb.1583:
	s_or_b32 exec_lo, exec_lo, s11
	s_and_b32 s7, s7, exec_lo
.LBB8_1584:
	s_or_saveexec_b32 s10, s10
	v_bfrev_b32_e32 v9, 4
	v_mov_b32_e32 v10, 0x7ff80000
	s_xor_b32 exec_lo, exec_lo, s10
; %bb.1585:
	v_cmp_ne_u16_e32 vcc_lo, 0, v3
	v_mov_b32_e32 v9, 0
	v_mov_b32_e32 v10, 0
	s_andn2_b32 s7, s7, exec_lo
	s_and_b32 s11, vcc_lo, exec_lo
	s_or_b32 s7, s7, s11
; %bb.1586:
	s_or_b32 exec_lo, exec_lo, s10
	s_and_saveexec_b32 s10, s7
	s_cbranch_execz .LBB8_1588
; %bb.1587:
	v_and_b32_e32 v9, 0xffff, v3
	v_lshlrev_b32_e32 v3, 24, v3
	v_and_b32_e32 v10, 7, v9
	v_bfe_u32 v26, v9, 3, 4
	v_and_b32_e32 v3, 0x80000000, v3
	v_ffbh_u32_e32 v23, v10
	v_cmp_eq_u32_e32 vcc_lo, 0, v26
	v_min_u32_e32 v23, 32, v23
	v_subrev_nc_u32_e32 v25, 28, v23
	v_sub_nc_u32_e32 v23, 29, v23
	v_lshlrev_b32_e32 v9, v25, v9
	v_cndmask_b32_e32 v23, v26, v23, vcc_lo
	v_and_b32_e32 v9, 7, v9
	v_cndmask_b32_e32 v9, v10, v9, vcc_lo
	v_lshl_add_u32 v10, v23, 23, 0x3b800000
	v_lshlrev_b32_e32 v9, 20, v9
	v_or3_b32 v3, v3, v10, v9
	v_cvt_f64_f32_e32 v[9:10], v3
.LBB8_1588:
	s_or_b32 exec_lo, exec_lo, s10
.LBB8_1589:
	s_mov_b32 s7, -1
.LBB8_1590:
	s_mov_b32 s10, 0
.LBB8_1591:
	s_and_b32 vcc_lo, exec_lo, s10
	s_cbranch_vccz .LBB8_1622
; %bb.1592:
	s_cmp_gt_i32 s4, 22
	s_cbranch_scc0 .LBB8_1604
; %bb.1593:
	s_cmp_lt_i32 s4, 24
	s_cbranch_scc1 .LBB8_1605
; %bb.1594:
	s_cmp_gt_i32 s4, 24
	s_cbranch_scc0 .LBB8_1606
; %bb.1595:
	global_load_ubyte v3, v[15:16], off
	s_mov_b32 s7, exec_lo
	s_waitcnt vmcnt(0)
	v_cmpx_lt_i16_e32 0x7f, v3
	s_xor_b32 s7, exec_lo, s7
	s_cbranch_execz .LBB8_1599
; %bb.1596:
	s_mov_b32 s6, -1
	s_mov_b32 s10, exec_lo
	v_cmpx_eq_u16_e32 0x80, v3
; %bb.1597:
	s_xor_b32 s6, exec_lo, -1
; %bb.1598:
	s_or_b32 exec_lo, exec_lo, s10
	s_and_b32 s6, s6, exec_lo
.LBB8_1599:
	s_or_saveexec_b32 s7, s7
	v_bfrev_b32_e32 v9, 4
	v_mov_b32_e32 v10, 0x7ff80000
	s_xor_b32 exec_lo, exec_lo, s7
; %bb.1600:
	v_cmp_ne_u16_e32 vcc_lo, 0, v3
	v_mov_b32_e32 v9, 0
	v_mov_b32_e32 v10, 0
	s_andn2_b32 s6, s6, exec_lo
	s_and_b32 s10, vcc_lo, exec_lo
	s_or_b32 s6, s6, s10
; %bb.1601:
	s_or_b32 exec_lo, exec_lo, s7
	s_and_saveexec_b32 s7, s6
	s_cbranch_execz .LBB8_1603
; %bb.1602:
	v_and_b32_e32 v9, 0xffff, v3
	v_lshlrev_b32_e32 v3, 24, v3
	v_and_b32_e32 v10, 3, v9
	v_bfe_u32 v26, v9, 2, 5
	v_and_b32_e32 v3, 0x80000000, v3
	v_ffbh_u32_e32 v23, v10
	v_cmp_eq_u32_e32 vcc_lo, 0, v26
	v_min_u32_e32 v23, 32, v23
	v_subrev_nc_u32_e32 v25, 29, v23
	v_sub_nc_u32_e32 v23, 30, v23
	v_lshlrev_b32_e32 v9, v25, v9
	v_cndmask_b32_e32 v23, v26, v23, vcc_lo
	v_and_b32_e32 v9, 3, v9
	v_cndmask_b32_e32 v9, v10, v9, vcc_lo
	v_lshl_add_u32 v10, v23, 23, 0x37800000
	v_lshlrev_b32_e32 v9, 21, v9
	v_or3_b32 v3, v3, v10, v9
	v_cvt_f64_f32_e32 v[9:10], v3
.LBB8_1603:
	s_or_b32 exec_lo, exec_lo, s7
	s_mov_b32 s6, 0
	s_branch .LBB8_1607
.LBB8_1604:
	s_mov_b32 s6, -1
                                        ; implicit-def: $vgpr9_vgpr10
	s_branch .LBB8_1613
.LBB8_1605:
	s_mov_b32 s6, -1
                                        ; implicit-def: $vgpr9_vgpr10
	s_branch .LBB8_1610
.LBB8_1606:
	s_mov_b32 s6, -1
                                        ; implicit-def: $vgpr9_vgpr10
.LBB8_1607:
	s_and_b32 vcc_lo, exec_lo, s6
	s_cbranch_vccz .LBB8_1609
; %bb.1608:
	global_load_ubyte v3, v[15:16], off
	s_waitcnt vmcnt(0)
	v_lshlrev_b32_e32 v3, 24, v3
	v_and_b32_e32 v9, 0x7f000000, v3
	v_ffbh_u32_e32 v10, v9
	v_add_nc_u32_e32 v25, 0x1000000, v9
	v_cmp_ne_u32_e32 vcc_lo, 0, v9
	v_min_u32_e32 v10, 32, v10
	v_sub_nc_u32_e64 v10, v10, 4 clamp
	v_lshlrev_b32_e32 v23, v10, v9
	v_lshlrev_b32_e32 v10, 23, v10
	v_lshrrev_b32_e32 v23, 4, v23
	v_sub_nc_u32_e32 v10, v23, v10
	v_ashrrev_i32_e32 v23, 8, v25
	v_add_nc_u32_e32 v10, 0x3c000000, v10
	v_and_or_b32 v10, 0x7f800000, v23, v10
	v_cndmask_b32_e32 v9, 0, v10, vcc_lo
	v_and_or_b32 v3, 0x80000000, v3, v9
	v_cvt_f64_f32_e32 v[9:10], v3
.LBB8_1609:
	s_mov_b32 s6, 0
.LBB8_1610:
	s_andn2_b32 vcc_lo, exec_lo, s6
	s_cbranch_vccnz .LBB8_1612
; %bb.1611:
	global_load_ubyte v3, v[15:16], off
	s_waitcnt vmcnt(0)
	v_lshlrev_b32_e32 v9, 25, v3
	v_lshlrev_b16 v3, 8, v3
	v_lshrrev_b32_e32 v10, 4, v9
	v_and_or_b32 v23, 0x7f00, v3, 0.5
	v_cmp_gt_u32_e32 vcc_lo, 0x8000000, v9
	v_bfe_i32 v3, v3, 0, 16
	v_or_b32_e32 v10, 0x70000000, v10
	v_add_f32_e32 v23, -0.5, v23
	v_mul_f32_e32 v10, 0x7800000, v10
	v_cndmask_b32_e32 v9, v10, v23, vcc_lo
	v_and_or_b32 v3, 0x80000000, v3, v9
	v_cvt_f64_f32_e32 v[9:10], v3
.LBB8_1612:
	s_mov_b32 s6, 0
	s_mov_b32 s7, -1
.LBB8_1613:
	s_andn2_b32 vcc_lo, exec_lo, s6
	s_mov_b32 s6, 0
	s_cbranch_vccnz .LBB8_1622
; %bb.1614:
	s_cmp_gt_i32 s4, 14
	s_cbranch_scc0 .LBB8_1617
; %bb.1615:
	s_cmp_eq_u32 s4, 15
	s_cbranch_scc0 .LBB8_1618
; %bb.1616:
	global_load_ushort v3, v[15:16], off
	s_mov_b32 s5, 0
	s_mov_b32 s7, -1
	s_waitcnt vmcnt(0)
	v_lshlrev_b32_e32 v3, 16, v3
	v_cvt_f64_f32_e32 v[9:10], v3
	s_branch .LBB8_1620
.LBB8_1617:
	s_mov_b32 s6, -1
	s_branch .LBB8_1619
.LBB8_1618:
	s_mov_b32 s5, -1
.LBB8_1619:
                                        ; implicit-def: $vgpr9_vgpr10
.LBB8_1620:
	s_and_b32 vcc_lo, exec_lo, s6
	s_mov_b32 s6, 0
	s_cbranch_vccz .LBB8_1622
; %bb.1621:
	s_cmp_lg_u32 s4, 11
	s_mov_b32 s6, -1
	s_cselect_b32 s5, -1, 0
.LBB8_1622:
	s_and_b32 vcc_lo, exec_lo, s5
	s_cbranch_vccnz .LBB8_2157
; %bb.1623:
	s_andn2_b32 vcc_lo, exec_lo, s6
	s_cbranch_vccnz .LBB8_1625
.LBB8_1624:
	global_load_ubyte v3, v[15:16], off
	v_mov_b32_e32 v9, 0
	s_mov_b32 s7, -1
	s_waitcnt vmcnt(0)
	v_cmp_ne_u16_e32 vcc_lo, 0, v3
	v_cndmask_b32_e64 v10, 0, 0x3ff00000, vcc_lo
.LBB8_1625:
	s_mov_b32 s4, 0
.LBB8_1626:
	s_and_b32 vcc_lo, exec_lo, s4
	s_cbranch_vccz .LBB8_1675
; %bb.1627:
	s_and_b32 s0, 0xffff, s0
	s_cmp_lt_i32 s0, 5
	s_cbranch_scc1 .LBB8_1632
; %bb.1628:
	s_cmp_lt_i32 s0, 8
	s_cbranch_scc1 .LBB8_1633
; %bb.1629:
	s_cmp_lt_i32 s0, 9
	s_cbranch_scc1 .LBB8_1634
; %bb.1630:
	s_cmp_gt_i32 s0, 9
	s_cbranch_scc0 .LBB8_1635
; %bb.1631:
	global_load_dwordx2 v[9:10], v[15:16], off
	s_mov_b32 s4, 0
	s_branch .LBB8_1636
.LBB8_1632:
	s_mov_b32 s4, -1
                                        ; implicit-def: $vgpr9_vgpr10
	s_branch .LBB8_1654
.LBB8_1633:
	s_mov_b32 s4, -1
                                        ; implicit-def: $vgpr9_vgpr10
	s_branch .LBB8_1642
.LBB8_1634:
	s_mov_b32 s4, -1
                                        ; implicit-def: $vgpr9_vgpr10
	s_branch .LBB8_1639
.LBB8_1635:
	s_mov_b32 s4, -1
                                        ; implicit-def: $vgpr9_vgpr10
.LBB8_1636:
	s_andn2_b32 vcc_lo, exec_lo, s4
	s_cbranch_vccnz .LBB8_1638
; %bb.1637:
	global_load_dword v3, v[15:16], off
	s_waitcnt vmcnt(0)
	v_cvt_f64_f32_e32 v[9:10], v3
.LBB8_1638:
	s_mov_b32 s4, 0
.LBB8_1639:
	s_andn2_b32 vcc_lo, exec_lo, s4
	s_cbranch_vccnz .LBB8_1641
; %bb.1640:
	global_load_dword v3, v[15:16], off
	s_waitcnt vmcnt(0)
	v_cvt_f32_f16_e32 v3, v3
	v_cvt_f64_f32_e32 v[9:10], v3
.LBB8_1641:
	s_mov_b32 s4, 0
.LBB8_1642:
	s_andn2_b32 vcc_lo, exec_lo, s4
	s_cbranch_vccnz .LBB8_1653
; %bb.1643:
	s_cmp_lt_i32 s0, 6
	s_cbranch_scc1 .LBB8_1646
; %bb.1644:
	s_cmp_gt_i32 s0, 6
	s_cbranch_scc0 .LBB8_1647
; %bb.1645:
	global_load_dwordx2 v[9:10], v[15:16], off
	s_mov_b32 s4, 0
	s_branch .LBB8_1648
.LBB8_1646:
	s_mov_b32 s4, -1
                                        ; implicit-def: $vgpr9_vgpr10
	s_branch .LBB8_1651
.LBB8_1647:
	s_mov_b32 s4, -1
                                        ; implicit-def: $vgpr9_vgpr10
.LBB8_1648:
	s_andn2_b32 vcc_lo, exec_lo, s4
	s_cbranch_vccnz .LBB8_1650
; %bb.1649:
	global_load_dword v3, v[15:16], off
	s_waitcnt vmcnt(0)
	v_cvt_f64_f32_e32 v[9:10], v3
.LBB8_1650:
	s_mov_b32 s4, 0
.LBB8_1651:
	s_andn2_b32 vcc_lo, exec_lo, s4
	s_cbranch_vccnz .LBB8_1653
; %bb.1652:
	global_load_ushort v3, v[15:16], off
	s_waitcnt vmcnt(0)
	v_cvt_f32_f16_e32 v3, v3
	v_cvt_f64_f32_e32 v[9:10], v3
.LBB8_1653:
	s_mov_b32 s4, 0
.LBB8_1654:
	s_andn2_b32 vcc_lo, exec_lo, s4
	s_cbranch_vccnz .LBB8_1674
; %bb.1655:
	s_cmp_lt_i32 s0, 2
	s_cbranch_scc1 .LBB8_1659
; %bb.1656:
	s_cmp_lt_i32 s0, 3
	s_cbranch_scc1 .LBB8_1660
; %bb.1657:
	s_cmp_gt_i32 s0, 3
	s_cbranch_scc0 .LBB8_1661
; %bb.1658:
	global_load_dwordx2 v[9:10], v[15:16], off
	s_mov_b32 s4, 0
	s_waitcnt vmcnt(0)
	v_cvt_f64_i32_e32 v[25:26], v10
	v_cvt_f64_u32_e32 v[9:10], v9
	v_ldexp_f64 v[25:26], v[25:26], 32
	v_add_f64 v[9:10], v[25:26], v[9:10]
	s_branch .LBB8_1662
.LBB8_1659:
	s_mov_b32 s4, -1
                                        ; implicit-def: $vgpr9_vgpr10
	s_branch .LBB8_1668
.LBB8_1660:
	s_mov_b32 s4, -1
                                        ; implicit-def: $vgpr9_vgpr10
	s_branch .LBB8_1665
.LBB8_1661:
	s_mov_b32 s4, -1
                                        ; implicit-def: $vgpr9_vgpr10
.LBB8_1662:
	s_andn2_b32 vcc_lo, exec_lo, s4
	s_cbranch_vccnz .LBB8_1664
; %bb.1663:
	global_load_dword v3, v[15:16], off
	s_waitcnt vmcnt(0)
	v_cvt_f64_i32_e32 v[9:10], v3
.LBB8_1664:
	s_mov_b32 s4, 0
.LBB8_1665:
	s_andn2_b32 vcc_lo, exec_lo, s4
	s_cbranch_vccnz .LBB8_1667
; %bb.1666:
	global_load_sshort v3, v[15:16], off
	s_waitcnt vmcnt(0)
	v_cvt_f64_i32_e32 v[9:10], v3
.LBB8_1667:
	s_mov_b32 s4, 0
.LBB8_1668:
	s_andn2_b32 vcc_lo, exec_lo, s4
	s_cbranch_vccnz .LBB8_1674
; %bb.1669:
	s_cmp_gt_i32 s0, 0
	s_mov_b32 s0, 0
	s_cbranch_scc0 .LBB8_1671
; %bb.1670:
	global_load_sbyte v3, v[15:16], off
	s_waitcnt vmcnt(0)
	v_cvt_f64_i32_e32 v[9:10], v3
	s_branch .LBB8_1672
.LBB8_1671:
	s_mov_b32 s0, -1
                                        ; implicit-def: $vgpr9_vgpr10
.LBB8_1672:
	s_andn2_b32 vcc_lo, exec_lo, s0
	s_cbranch_vccnz .LBB8_1674
; %bb.1673:
	global_load_ubyte v3, v[15:16], off
	s_waitcnt vmcnt(0)
	v_cvt_f64_u32_e32 v[9:10], v3
.LBB8_1674:
	s_mov_b32 s7, -1
.LBB8_1675:
	s_andn2_b32 vcc_lo, exec_lo, s7
	s_cbranch_vccnz .LBB8_2111
; %bb.1676:
	s_waitcnt vmcnt(0)
	v_cvt_f32_f64_e32 v3, v[9:10]
	v_mov_b32_e32 v15, v17
	v_mov_b32_e32 v16, v18
	;; [unrolled: 1-line block ×3, first 2 shown]
	s_mov_b32 s0, exec_lo
	v_cmpx_nlg_f32_e64 0x7f800000, |v3|
	s_cbranch_execz .LBB8_1678
; %bb.1677:
	v_mov_b32_e32 v3, 0
	v_mov_b32_e32 v15, 1.0
	global_store_dword v3, v15, s[12:13]
	global_load_dword v23, v3, s[14:15]
	s_waitcnt vmcnt(0)
	v_cvt_f64_f32_e32 v[15:16], v23
.LBB8_1678:
	s_or_b32 exec_lo, exec_lo, s0
	v_mul_f64 v[21:22], v[0:1], v[21:22]
	s_load_dword s0, s[2:3], 0x168
	v_cmp_eq_f32_e32 vcc_lo, 1.0, v24
	s_waitcnt lgkmcnt(0)
	s_and_b32 s6, s0, 0xff
	v_cndmask_b32_e32 v0, v21, v0, vcc_lo
	v_add_co_u32 v21, s0, s8, v2
	v_cndmask_b32_e32 v1, v22, v1, vcc_lo
	v_add_co_ci_u32_e64 v22, null, s9, 0, s0
	s_cmp_lt_i32 s6, 11
	s_cbranch_scc1 .LBB8_1756
; %bb.1679:
	s_and_b32 s2, 0xffff, s6
	s_mov_b32 s5, -1
	s_mov_b32 s3, 0
	s_cmp_gt_i32 s2, 25
	s_mov_b32 s4, 0
	s_mov_b32 s0, 0
	s_cbranch_scc0 .LBB8_1712
; %bb.1680:
	s_cmp_gt_i32 s2, 28
	s_cbranch_scc0 .LBB8_1695
; %bb.1681:
	s_cmp_gt_i32 s2, 43
	;; [unrolled: 3-line block ×3, first 2 shown]
	s_cbranch_scc0 .LBB8_1685
; %bb.1683:
	s_mov_b32 s0, -1
	s_mov_b32 s5, 0
	s_cmp_eq_u32 s2, 46
	s_cbranch_scc0 .LBB8_1685
; %bb.1684:
	v_cvt_f32_f64_e32 v2, v[0:1]
	s_mov_b32 s0, 0
	s_mov_b32 s4, -1
	v_bfe_u32 v3, v2, 16, 1
	v_cmp_o_f32_e32 vcc_lo, v2, v2
	v_add3_u32 v2, v2, v3, 0x7fff
	v_mov_b32_e32 v3, 0x7fc0
	v_cndmask_b32_sdwa v2, v3, v2, vcc_lo dst_sel:DWORD dst_unused:UNUSED_PAD src0_sel:DWORD src1_sel:WORD_1
	global_store_dword v[21:22], v2, off
.LBB8_1685:
	s_and_b32 vcc_lo, exec_lo, s5
	s_cbranch_vccz .LBB8_1690
; %bb.1686:
	s_cmp_eq_u32 s2, 44
	s_mov_b32 s0, -1
	s_cbranch_scc0 .LBB8_1690
; %bb.1687:
	v_cvt_f32_f64_e32 v2, v[0:1]
	v_mov_b32_e32 v3, 0xff
	s_mov_b32 s4, exec_lo
	v_bfe_u32 v24, v2, 23, 8
	v_cmpx_ne_u32_e32 0xff, v24
	s_cbranch_execz .LBB8_1689
; %bb.1688:
	v_and_b32_e32 v3, 0x400000, v2
	v_and_or_b32 v24, 0x3fffff, v2, v24
	v_lshrrev_b32_e32 v2, 23, v2
	v_cmp_ne_u32_e32 vcc_lo, 0, v3
	v_cmp_ne_u32_e64 s0, 0, v24
	s_and_b32 s0, vcc_lo, s0
	v_cndmask_b32_e64 v3, 0, 1, s0
	v_add_nc_u32_e32 v3, v2, v3
.LBB8_1689:
	s_or_b32 exec_lo, exec_lo, s4
	s_mov_b32 s0, 0
	s_mov_b32 s4, -1
	global_store_byte v[21:22], v3, off
.LBB8_1690:
	s_mov_b32 s5, 0
.LBB8_1691:
	s_and_b32 vcc_lo, exec_lo, s5
	s_cbranch_vccz .LBB8_1694
; %bb.1692:
	s_cmp_eq_u32 s2, 29
	s_mov_b32 s0, -1
	s_cbranch_scc0 .LBB8_1694
; %bb.1693:
	v_trunc_f64_e32 v[2:3], v[0:1]
	s_mov_b32 s0, 0
	s_mov_b32 s4, -1
	v_ldexp_f64 v[24:25], v[2:3], 0xffffffe0
	v_floor_f64_e32 v[24:25], v[24:25]
	v_fma_f64 v[2:3], 0xc1f00000, v[24:25], v[2:3]
	v_cvt_u32_f64_e32 v25, v[24:25]
	v_cvt_u32_f64_e32 v24, v[2:3]
	global_store_dwordx2 v[21:22], v[24:25], off
.LBB8_1694:
	s_mov_b32 s5, 0
.LBB8_1695:
	s_and_b32 vcc_lo, exec_lo, s5
	s_cbranch_vccz .LBB8_1711
; %bb.1696:
	s_cmp_lt_i32 s2, 27
	s_mov_b32 s4, -1
	s_cbranch_scc1 .LBB8_1702
; %bb.1697:
	v_cvt_u32_f64_e32 v2, v[0:1]
	s_cmp_gt_i32 s2, 27
	s_cbranch_scc0 .LBB8_1699
; %bb.1698:
	s_mov_b32 s4, 0
	global_store_dword v[21:22], v2, off
.LBB8_1699:
	s_andn2_b32 vcc_lo, exec_lo, s4
	s_cbranch_vccnz .LBB8_1701
; %bb.1700:
	global_store_short v[21:22], v2, off
.LBB8_1701:
	s_mov_b32 s4, 0
.LBB8_1702:
	s_andn2_b32 vcc_lo, exec_lo, s4
	s_cbranch_vccnz .LBB8_1710
; %bb.1703:
	v_cvt_f32_f64_e32 v2, v[0:1]
	v_mov_b32_e32 v24, 0x80
	s_mov_b32 s4, exec_lo
	v_and_b32_e32 v3, 0x7fffffff, v2
	v_cmpx_gt_u32_e32 0x43800000, v3
	s_cbranch_execz .LBB8_1709
; %bb.1704:
	v_cmp_lt_u32_e32 vcc_lo, 0x3bffffff, v3
	s_mov_b32 s5, 0
                                        ; implicit-def: $vgpr3
	s_and_saveexec_b32 s7, vcc_lo
	s_xor_b32 s7, exec_lo, s7
	s_cbranch_execz .LBB8_2158
; %bb.1705:
	v_bfe_u32 v3, v2, 20, 1
	s_mov_b32 s5, exec_lo
	v_add3_u32 v3, v2, v3, 0x487ffff
	v_lshrrev_b32_e32 v3, 20, v3
	s_andn2_saveexec_b32 s7, s7
	s_cbranch_execnz .LBB8_2159
.LBB8_1706:
	s_or_b32 exec_lo, exec_lo, s7
	v_mov_b32_e32 v24, 0
	s_and_saveexec_b32 s7, s5
.LBB8_1707:
	v_lshrrev_b32_e32 v2, 24, v2
	v_and_or_b32 v24, 0x80, v2, v3
.LBB8_1708:
	s_or_b32 exec_lo, exec_lo, s7
.LBB8_1709:
	s_or_b32 exec_lo, exec_lo, s4
	global_store_byte v[21:22], v24, off
.LBB8_1710:
	s_mov_b32 s4, -1
.LBB8_1711:
	s_mov_b32 s5, 0
.LBB8_1712:
	s_and_b32 vcc_lo, exec_lo, s5
	s_cbranch_vccz .LBB8_1752
; %bb.1713:
	s_cmp_gt_i32 s2, 22
	s_mov_b32 s3, -1
	s_cbranch_scc0 .LBB8_1745
; %bb.1714:
	s_cmp_lt_i32 s2, 24
	s_cbranch_scc1 .LBB8_1734
; %bb.1715:
	s_cmp_gt_i32 s2, 24
	s_cbranch_scc0 .LBB8_1723
; %bb.1716:
	v_cvt_f32_f64_e32 v2, v[0:1]
	v_mov_b32_e32 v24, 0x80
	s_mov_b32 s3, exec_lo
	v_and_b32_e32 v3, 0x7fffffff, v2
	v_cmpx_gt_u32_e32 0x47800000, v3
	s_cbranch_execz .LBB8_1722
; %bb.1717:
	v_cmp_lt_u32_e32 vcc_lo, 0x37ffffff, v3
	s_mov_b32 s4, 0
                                        ; implicit-def: $vgpr3
	s_and_saveexec_b32 s5, vcc_lo
	s_xor_b32 s5, exec_lo, s5
	s_cbranch_execz .LBB8_2161
; %bb.1718:
	v_bfe_u32 v3, v2, 21, 1
	s_mov_b32 s4, exec_lo
	v_add3_u32 v3, v2, v3, 0x88fffff
	v_lshrrev_b32_e32 v3, 21, v3
	s_andn2_saveexec_b32 s5, s5
	s_cbranch_execnz .LBB8_2162
.LBB8_1719:
	s_or_b32 exec_lo, exec_lo, s5
	v_mov_b32_e32 v24, 0
	s_and_saveexec_b32 s5, s4
.LBB8_1720:
	v_lshrrev_b32_e32 v2, 24, v2
	v_and_or_b32 v24, 0x80, v2, v3
.LBB8_1721:
	s_or_b32 exec_lo, exec_lo, s5
.LBB8_1722:
	s_or_b32 exec_lo, exec_lo, s3
	s_mov_b32 s3, 0
	global_store_byte v[21:22], v24, off
.LBB8_1723:
	s_and_b32 vcc_lo, exec_lo, s3
	s_cbranch_vccz .LBB8_1733
; %bb.1724:
	v_cvt_f32_f64_e32 v2, v[0:1]
	s_mov_b32 s3, exec_lo
                                        ; implicit-def: $vgpr3
	v_and_b32_e32 v24, 0x7fffffff, v2
	v_cmpx_gt_u32_e32 0x43f00000, v24
	s_xor_b32 s3, exec_lo, s3
	s_cbranch_execz .LBB8_1730
; %bb.1725:
	s_mov_b32 s4, exec_lo
                                        ; implicit-def: $vgpr3
	v_cmpx_lt_u32_e32 0x3c7fffff, v24
	s_xor_b32 s4, exec_lo, s4
; %bb.1726:
	v_bfe_u32 v3, v2, 20, 1
	v_add3_u32 v3, v2, v3, 0x407ffff
	v_and_b32_e32 v24, 0xff00000, v3
	v_lshrrev_b32_e32 v3, 20, v3
	v_cmp_ne_u32_e32 vcc_lo, 0x7f00000, v24
	v_cndmask_b32_e32 v3, 0x7e, v3, vcc_lo
; %bb.1727:
	s_andn2_saveexec_b32 s4, s4
; %bb.1728:
	v_add_f32_e64 v3, 0x46800000, |v2|
; %bb.1729:
	s_or_b32 exec_lo, exec_lo, s4
                                        ; implicit-def: $vgpr24
.LBB8_1730:
	s_andn2_saveexec_b32 s3, s3
; %bb.1731:
	v_mov_b32_e32 v3, 0x7f
	v_cmp_lt_u32_e32 vcc_lo, 0x7f800000, v24
	v_cndmask_b32_e32 v3, 0x7e, v3, vcc_lo
; %bb.1732:
	s_or_b32 exec_lo, exec_lo, s3
	v_lshrrev_b32_e32 v2, 24, v2
	v_and_or_b32 v2, 0x80, v2, v3
	global_store_byte v[21:22], v2, off
.LBB8_1733:
	s_mov_b32 s3, 0
.LBB8_1734:
	s_andn2_b32 vcc_lo, exec_lo, s3
	s_cbranch_vccnz .LBB8_1744
; %bb.1735:
	v_cvt_f32_f64_e32 v2, v[0:1]
	s_mov_b32 s3, exec_lo
                                        ; implicit-def: $vgpr3
	v_and_b32_e32 v24, 0x7fffffff, v2
	v_cmpx_gt_u32_e32 0x47800000, v24
	s_xor_b32 s3, exec_lo, s3
	s_cbranch_execz .LBB8_1741
; %bb.1736:
	s_mov_b32 s4, exec_lo
                                        ; implicit-def: $vgpr3
	v_cmpx_lt_u32_e32 0x387fffff, v24
	s_xor_b32 s4, exec_lo, s4
; %bb.1737:
	v_bfe_u32 v3, v2, 21, 1
	v_add3_u32 v3, v2, v3, 0x80fffff
	v_lshrrev_b32_e32 v3, 21, v3
; %bb.1738:
	s_andn2_saveexec_b32 s4, s4
; %bb.1739:
	v_add_f32_e64 v3, 0x43000000, |v2|
; %bb.1740:
	s_or_b32 exec_lo, exec_lo, s4
                                        ; implicit-def: $vgpr24
.LBB8_1741:
	s_andn2_saveexec_b32 s3, s3
; %bb.1742:
	v_mov_b32_e32 v3, 0x7f
	v_cmp_lt_u32_e32 vcc_lo, 0x7f800000, v24
	v_cndmask_b32_e32 v3, 0x7c, v3, vcc_lo
; %bb.1743:
	s_or_b32 exec_lo, exec_lo, s3
	v_lshrrev_b32_e32 v2, 24, v2
	v_and_or_b32 v2, 0x80, v2, v3
	global_store_byte v[21:22], v2, off
.LBB8_1744:
	s_mov_b32 s3, 0
	s_mov_b32 s4, -1
.LBB8_1745:
	s_andn2_b32 vcc_lo, exec_lo, s3
	s_mov_b32 s3, 0
	s_cbranch_vccnz .LBB8_1752
; %bb.1746:
	s_cmp_gt_i32 s2, 14
	s_mov_b32 s3, -1
	s_cbranch_scc0 .LBB8_1750
; %bb.1747:
	s_cmp_eq_u32 s2, 15
	s_mov_b32 s0, -1
	s_cbranch_scc0 .LBB8_1749
; %bb.1748:
	v_cvt_f32_f64_e32 v2, v[0:1]
	s_mov_b32 s0, 0
	s_mov_b32 s4, -1
	v_bfe_u32 v3, v2, 16, 1
	v_cmp_o_f32_e32 vcc_lo, v2, v2
	v_add3_u32 v2, v2, v3, 0x7fff
	v_mov_b32_e32 v3, 0x7fc0
	v_cndmask_b32_sdwa v2, v3, v2, vcc_lo dst_sel:DWORD dst_unused:UNUSED_PAD src0_sel:DWORD src1_sel:WORD_1
	global_store_short v[21:22], v2, off
.LBB8_1749:
	s_mov_b32 s3, 0
.LBB8_1750:
	s_and_b32 vcc_lo, exec_lo, s3
	s_mov_b32 s3, 0
	s_cbranch_vccz .LBB8_1752
; %bb.1751:
	s_cmp_lg_u32 s2, 11
	s_mov_b32 s3, -1
	s_cselect_b32 s0, -1, 0
.LBB8_1752:
	s_and_b32 vcc_lo, exec_lo, s0
	s_cbranch_vccnz .LBB8_2160
; %bb.1753:
	s_andn2_b32 vcc_lo, exec_lo, s3
	s_cbranch_vccnz .LBB8_1755
.LBB8_1754:
	v_cmp_neq_f64_e32 vcc_lo, 0, v[0:1]
	s_mov_b32 s4, -1
	v_cndmask_b32_e64 v2, 0, 1, vcc_lo
	global_store_byte v[21:22], v2, off
.LBB8_1755:
	s_mov_b32 s0, 0
	s_branch .LBB8_1757
.LBB8_1756:
	s_mov_b32 s0, -1
	s_mov_b32 s4, 0
.LBB8_1757:
	s_and_b32 vcc_lo, exec_lo, s0
	s_cbranch_vccz .LBB8_1796
; %bb.1758:
	s_and_b32 s0, 0xffff, s6
	s_mov_b32 s2, -1
	s_cmp_lt_i32 s0, 5
	s_cbranch_scc1 .LBB8_1779
; %bb.1759:
	s_cmp_lt_i32 s0, 8
	s_cbranch_scc1 .LBB8_1769
; %bb.1760:
	;; [unrolled: 3-line block ×3, first 2 shown]
	s_cmp_gt_i32 s0, 9
	s_cbranch_scc0 .LBB8_1763
; %bb.1762:
	v_mov_b32_e32 v2, 0
	s_mov_b32 s2, 0
	v_mov_b32_e32 v3, v2
	global_store_dwordx4 v[21:22], v[0:3], off
.LBB8_1763:
	s_andn2_b32 vcc_lo, exec_lo, s2
	s_cbranch_vccnz .LBB8_1765
; %bb.1764:
	v_cvt_f32_f64_e32 v2, v[0:1]
	v_mov_b32_e32 v3, 0
	global_store_dwordx2 v[21:22], v[2:3], off
.LBB8_1765:
	s_mov_b32 s2, 0
.LBB8_1766:
	s_andn2_b32 vcc_lo, exec_lo, s2
	s_cbranch_vccnz .LBB8_1768
; %bb.1767:
	v_and_or_b32 v2, 0x1ff, v1, v0
	v_lshrrev_b32_e32 v3, 8, v1
	v_bfe_u32 v24, v1, 20, 11
	v_cmp_ne_u32_e32 vcc_lo, 0, v2
	v_sub_nc_u32_e32 v25, 0x3f1, v24
	v_add_nc_u32_e32 v24, 0xfffffc10, v24
	v_cndmask_b32_e64 v2, 0, 1, vcc_lo
	v_and_or_b32 v2, 0xffe, v3, v2
	v_med3_i32 v3, v25, 0, 13
	v_or_b32_e32 v25, 0x1000, v2
	v_lshrrev_b32_e32 v26, v3, v25
	v_lshlrev_b32_e32 v3, v3, v26
	v_cmp_ne_u32_e32 vcc_lo, v3, v25
	v_lshl_or_b32 v25, v24, 12, v2
	v_cndmask_b32_e64 v3, 0, 1, vcc_lo
	v_cmp_gt_i32_e32 vcc_lo, 1, v24
	v_or_b32_e32 v3, v26, v3
	v_cndmask_b32_e32 v3, v25, v3, vcc_lo
	v_and_b32_e32 v25, 7, v3
	v_lshrrev_b32_e32 v3, 2, v3
	v_cmp_lt_i32_e32 vcc_lo, 5, v25
	v_cndmask_b32_e64 v26, 0, 1, vcc_lo
	v_cmp_eq_u32_e32 vcc_lo, 3, v25
	v_cndmask_b32_e64 v25, 0, 1, vcc_lo
	v_cmp_ne_u32_e32 vcc_lo, 0, v2
	v_or_b32_e32 v25, v25, v26
	v_mov_b32_e32 v26, 0x7e00
	v_add_nc_u32_e32 v3, v3, v25
	v_cndmask_b32_e32 v2, 0x7c00, v26, vcc_lo
	v_cmp_gt_i32_e32 vcc_lo, 31, v24
	v_cndmask_b32_e32 v3, 0x7c00, v3, vcc_lo
	v_cmp_eq_u32_e32 vcc_lo, 0x40f, v24
	v_cndmask_b32_e32 v2, v3, v2, vcc_lo
	v_lshrrev_b32_e32 v3, 16, v1
	v_and_or_b32 v2, 0x8000, v3, v2
	v_and_b32_e32 v2, 0xffff, v2
	global_store_dword v[21:22], v2, off
.LBB8_1768:
	s_mov_b32 s2, 0
.LBB8_1769:
	s_andn2_b32 vcc_lo, exec_lo, s2
	s_cbranch_vccnz .LBB8_1778
; %bb.1770:
	s_cmp_lt_i32 s0, 6
	s_mov_b32 s2, -1
	s_cbranch_scc1 .LBB8_1776
; %bb.1771:
	s_cmp_gt_i32 s0, 6
	s_cbranch_scc0 .LBB8_1773
; %bb.1772:
	s_mov_b32 s2, 0
	global_store_dwordx2 v[21:22], v[0:1], off
.LBB8_1773:
	s_andn2_b32 vcc_lo, exec_lo, s2
	s_cbranch_vccnz .LBB8_1775
; %bb.1774:
	v_cvt_f32_f64_e32 v2, v[0:1]
	global_store_dword v[21:22], v2, off
.LBB8_1775:
	s_mov_b32 s2, 0
.LBB8_1776:
	s_andn2_b32 vcc_lo, exec_lo, s2
	s_cbranch_vccnz .LBB8_1778
; %bb.1777:
	v_and_or_b32 v2, 0x1ff, v1, v0
	v_lshrrev_b32_e32 v3, 8, v1
	v_bfe_u32 v24, v1, 20, 11
	v_cmp_ne_u32_e32 vcc_lo, 0, v2
	v_sub_nc_u32_e32 v25, 0x3f1, v24
	v_add_nc_u32_e32 v24, 0xfffffc10, v24
	v_cndmask_b32_e64 v2, 0, 1, vcc_lo
	v_and_or_b32 v2, 0xffe, v3, v2
	v_med3_i32 v3, v25, 0, 13
	v_or_b32_e32 v25, 0x1000, v2
	v_lshrrev_b32_e32 v26, v3, v25
	v_lshlrev_b32_e32 v3, v3, v26
	v_cmp_ne_u32_e32 vcc_lo, v3, v25
	v_lshl_or_b32 v25, v24, 12, v2
	v_cndmask_b32_e64 v3, 0, 1, vcc_lo
	v_cmp_gt_i32_e32 vcc_lo, 1, v24
	v_or_b32_e32 v3, v26, v3
	v_cndmask_b32_e32 v3, v25, v3, vcc_lo
	v_and_b32_e32 v25, 7, v3
	v_lshrrev_b32_e32 v3, 2, v3
	v_cmp_lt_i32_e32 vcc_lo, 5, v25
	v_cndmask_b32_e64 v26, 0, 1, vcc_lo
	v_cmp_eq_u32_e32 vcc_lo, 3, v25
	v_cndmask_b32_e64 v25, 0, 1, vcc_lo
	v_cmp_ne_u32_e32 vcc_lo, 0, v2
	v_or_b32_e32 v25, v25, v26
	v_mov_b32_e32 v26, 0x7e00
	v_add_nc_u32_e32 v3, v3, v25
	v_cndmask_b32_e32 v2, 0x7c00, v26, vcc_lo
	v_cmp_gt_i32_e32 vcc_lo, 31, v24
	v_cndmask_b32_e32 v3, 0x7c00, v3, vcc_lo
	v_cmp_eq_u32_e32 vcc_lo, 0x40f, v24
	v_cndmask_b32_e32 v2, v3, v2, vcc_lo
	v_lshrrev_b32_e32 v3, 16, v1
	v_and_or_b32 v2, 0x8000, v3, v2
	global_store_short v[21:22], v2, off
.LBB8_1778:
	s_mov_b32 s2, 0
.LBB8_1779:
	s_andn2_b32 vcc_lo, exec_lo, s2
	s_cbranch_vccnz .LBB8_1795
; %bb.1780:
	s_cmp_lt_i32 s0, 2
	s_mov_b32 s2, -1
	s_cbranch_scc1 .LBB8_1790
; %bb.1781:
	s_cmp_lt_i32 s0, 3
	s_cbranch_scc1 .LBB8_1787
; %bb.1782:
	s_cmp_gt_i32 s0, 3
	s_cbranch_scc0 .LBB8_1784
; %bb.1783:
	v_trunc_f64_e32 v[2:3], v[0:1]
	s_mov_b32 s2, 0
	v_ldexp_f64 v[24:25], v[2:3], 0xffffffe0
	v_floor_f64_e32 v[24:25], v[24:25]
	v_fma_f64 v[2:3], 0xc1f00000, v[24:25], v[2:3]
	v_cvt_i32_f64_e32 v25, v[24:25]
	v_cvt_u32_f64_e32 v24, v[2:3]
	global_store_dwordx2 v[21:22], v[24:25], off
.LBB8_1784:
	s_andn2_b32 vcc_lo, exec_lo, s2
	s_cbranch_vccnz .LBB8_1786
; %bb.1785:
	v_cvt_i32_f64_e32 v2, v[0:1]
	global_store_dword v[21:22], v2, off
.LBB8_1786:
	s_mov_b32 s2, 0
.LBB8_1787:
	s_andn2_b32 vcc_lo, exec_lo, s2
	s_cbranch_vccnz .LBB8_1789
; %bb.1788:
	v_cvt_i32_f64_e32 v2, v[0:1]
	global_store_short v[21:22], v2, off
.LBB8_1789:
	s_mov_b32 s2, 0
.LBB8_1790:
	s_andn2_b32 vcc_lo, exec_lo, s2
	s_cbranch_vccnz .LBB8_1795
; %bb.1791:
	s_cmp_gt_i32 s0, 0
	s_mov_b32 s0, -1
	s_cbranch_scc0 .LBB8_1793
; %bb.1792:
	v_cvt_i32_f64_e32 v2, v[0:1]
	s_mov_b32 s0, 0
	global_store_byte v[21:22], v2, off
.LBB8_1793:
	s_andn2_b32 vcc_lo, exec_lo, s0
	s_cbranch_vccnz .LBB8_1795
; %bb.1794:
	v_trunc_f64_e32 v[0:1], v[0:1]
	v_ldexp_f64 v[2:3], v[0:1], 0xffffffe0
	v_floor_f64_e32 v[2:3], v[2:3]
	v_fma_f64 v[0:1], 0xc1f00000, v[2:3], v[0:1]
	v_cvt_u32_f64_e32 v0, v[0:1]
	global_store_byte v[21:22], v0, off
.LBB8_1795:
	s_mov_b32 s4, -1
.LBB8_1796:
	s_andn2_b32 vcc_lo, exec_lo, s4
	s_cbranch_vccnz .LBB8_2111
; %bb.1797:
	v_mul_f64 v[0:1], v[13:14], v[19:20]
	v_cmp_eq_f32_e32 vcc_lo, 1.0, v7
	v_add_co_u32 v7, s0, s8, v8
	v_add_co_ci_u32_e64 v8, null, s9, 0, s0
	s_and_b32 s2, 0xffff, s6
	s_cmp_lt_i32 s2, 11
	v_cndmask_b32_e32 v1, v1, v14, vcc_lo
	v_cndmask_b32_e32 v0, v0, v13, vcc_lo
	s_cbranch_scc1 .LBB8_1875
; %bb.1798:
	s_mov_b32 s5, -1
	s_mov_b32 s3, 0
	s_cmp_gt_i32 s2, 25
	s_mov_b32 s4, 0
	s_mov_b32 s0, 0
	s_cbranch_scc0 .LBB8_1831
; %bb.1799:
	s_cmp_gt_i32 s2, 28
	s_cbranch_scc0 .LBB8_1814
; %bb.1800:
	s_cmp_gt_i32 s2, 43
	;; [unrolled: 3-line block ×3, first 2 shown]
	s_cbranch_scc0 .LBB8_1804
; %bb.1802:
	s_mov_b32 s0, -1
	s_mov_b32 s5, 0
	s_cmp_eq_u32 s2, 46
	s_cbranch_scc0 .LBB8_1804
; %bb.1803:
	v_cvt_f32_f64_e32 v2, v[0:1]
	s_mov_b32 s0, 0
	s_mov_b32 s4, -1
	v_bfe_u32 v3, v2, 16, 1
	v_cmp_o_f32_e32 vcc_lo, v2, v2
	v_add3_u32 v2, v2, v3, 0x7fff
	v_mov_b32_e32 v3, 0x7fc0
	v_cndmask_b32_sdwa v2, v3, v2, vcc_lo dst_sel:DWORD dst_unused:UNUSED_PAD src0_sel:DWORD src1_sel:WORD_1
	global_store_dword v[7:8], v2, off
.LBB8_1804:
	s_and_b32 vcc_lo, exec_lo, s5
	s_cbranch_vccz .LBB8_1809
; %bb.1805:
	s_cmp_eq_u32 s2, 44
	s_mov_b32 s0, -1
	s_cbranch_scc0 .LBB8_1809
; %bb.1806:
	v_cvt_f32_f64_e32 v2, v[0:1]
	v_mov_b32_e32 v3, 0xff
	s_mov_b32 s4, exec_lo
	v_bfe_u32 v13, v2, 23, 8
	v_cmpx_ne_u32_e32 0xff, v13
	s_cbranch_execz .LBB8_1808
; %bb.1807:
	v_and_b32_e32 v3, 0x400000, v2
	v_and_or_b32 v13, 0x3fffff, v2, v13
	v_lshrrev_b32_e32 v2, 23, v2
	v_cmp_ne_u32_e32 vcc_lo, 0, v3
	v_cmp_ne_u32_e64 s0, 0, v13
	s_and_b32 s0, vcc_lo, s0
	v_cndmask_b32_e64 v3, 0, 1, s0
	v_add_nc_u32_e32 v3, v2, v3
.LBB8_1808:
	s_or_b32 exec_lo, exec_lo, s4
	s_mov_b32 s0, 0
	s_mov_b32 s4, -1
	global_store_byte v[7:8], v3, off
.LBB8_1809:
	s_mov_b32 s5, 0
.LBB8_1810:
	s_and_b32 vcc_lo, exec_lo, s5
	s_cbranch_vccz .LBB8_1813
; %bb.1811:
	s_cmp_eq_u32 s2, 29
	s_mov_b32 s0, -1
	s_cbranch_scc0 .LBB8_1813
; %bb.1812:
	v_trunc_f64_e32 v[2:3], v[0:1]
	s_mov_b32 s0, 0
	s_mov_b32 s4, -1
	v_ldexp_f64 v[13:14], v[2:3], 0xffffffe0
	v_floor_f64_e32 v[13:14], v[13:14]
	v_fma_f64 v[2:3], 0xc1f00000, v[13:14], v[2:3]
	v_cvt_u32_f64_e32 v14, v[13:14]
	v_cvt_u32_f64_e32 v13, v[2:3]
	global_store_dwordx2 v[7:8], v[13:14], off
.LBB8_1813:
	s_mov_b32 s5, 0
.LBB8_1814:
	s_and_b32 vcc_lo, exec_lo, s5
	s_cbranch_vccz .LBB8_1830
; %bb.1815:
	s_cmp_lt_i32 s2, 27
	s_mov_b32 s4, -1
	s_cbranch_scc1 .LBB8_1821
; %bb.1816:
	s_cmp_gt_i32 s2, 27
	s_cbranch_scc0 .LBB8_1818
; %bb.1817:
	v_cvt_u32_f64_e32 v2, v[0:1]
	s_mov_b32 s4, 0
	global_store_dword v[7:8], v2, off
.LBB8_1818:
	s_andn2_b32 vcc_lo, exec_lo, s4
	s_cbranch_vccnz .LBB8_1820
; %bb.1819:
	v_cvt_u32_f64_e32 v2, v[0:1]
	global_store_short v[7:8], v2, off
.LBB8_1820:
	s_mov_b32 s4, 0
.LBB8_1821:
	s_andn2_b32 vcc_lo, exec_lo, s4
	s_cbranch_vccnz .LBB8_1829
; %bb.1822:
	v_cvt_f32_f64_e32 v2, v[0:1]
	v_mov_b32_e32 v13, 0x80
	s_mov_b32 s4, exec_lo
	v_and_b32_e32 v3, 0x7fffffff, v2
	v_cmpx_gt_u32_e32 0x43800000, v3
	s_cbranch_execz .LBB8_1828
; %bb.1823:
	v_cmp_lt_u32_e32 vcc_lo, 0x3bffffff, v3
	s_mov_b32 s5, 0
                                        ; implicit-def: $vgpr3
	s_and_saveexec_b32 s7, vcc_lo
	s_xor_b32 s7, exec_lo, s7
	s_cbranch_execz .LBB8_2163
; %bb.1824:
	v_bfe_u32 v3, v2, 20, 1
	s_mov_b32 s5, exec_lo
	v_add3_u32 v3, v2, v3, 0x487ffff
	v_lshrrev_b32_e32 v3, 20, v3
	s_andn2_saveexec_b32 s7, s7
	s_cbranch_execnz .LBB8_2164
.LBB8_1825:
	s_or_b32 exec_lo, exec_lo, s7
	v_mov_b32_e32 v13, 0
	s_and_saveexec_b32 s7, s5
.LBB8_1826:
	v_lshrrev_b32_e32 v2, 24, v2
	v_and_or_b32 v13, 0x80, v2, v3
.LBB8_1827:
	s_or_b32 exec_lo, exec_lo, s7
.LBB8_1828:
	s_or_b32 exec_lo, exec_lo, s4
	global_store_byte v[7:8], v13, off
.LBB8_1829:
	s_mov_b32 s4, -1
.LBB8_1830:
	s_mov_b32 s5, 0
.LBB8_1831:
	s_and_b32 vcc_lo, exec_lo, s5
	s_cbranch_vccz .LBB8_1871
; %bb.1832:
	s_cmp_gt_i32 s2, 22
	s_mov_b32 s3, -1
	s_cbranch_scc0 .LBB8_1864
; %bb.1833:
	s_cmp_lt_i32 s2, 24
	s_cbranch_scc1 .LBB8_1853
; %bb.1834:
	s_cmp_gt_i32 s2, 24
	s_cbranch_scc0 .LBB8_1842
; %bb.1835:
	v_cvt_f32_f64_e32 v2, v[0:1]
	v_mov_b32_e32 v13, 0x80
	s_mov_b32 s3, exec_lo
	v_and_b32_e32 v3, 0x7fffffff, v2
	v_cmpx_gt_u32_e32 0x47800000, v3
	s_cbranch_execz .LBB8_1841
; %bb.1836:
	v_cmp_lt_u32_e32 vcc_lo, 0x37ffffff, v3
	s_mov_b32 s4, 0
                                        ; implicit-def: $vgpr3
	s_and_saveexec_b32 s5, vcc_lo
	s_xor_b32 s5, exec_lo, s5
	s_cbranch_execz .LBB8_2166
; %bb.1837:
	v_bfe_u32 v3, v2, 21, 1
	s_mov_b32 s4, exec_lo
	v_add3_u32 v3, v2, v3, 0x88fffff
	v_lshrrev_b32_e32 v3, 21, v3
	s_andn2_saveexec_b32 s5, s5
	s_cbranch_execnz .LBB8_2167
.LBB8_1838:
	s_or_b32 exec_lo, exec_lo, s5
	v_mov_b32_e32 v13, 0
	s_and_saveexec_b32 s5, s4
.LBB8_1839:
	v_lshrrev_b32_e32 v2, 24, v2
	v_and_or_b32 v13, 0x80, v2, v3
.LBB8_1840:
	s_or_b32 exec_lo, exec_lo, s5
.LBB8_1841:
	s_or_b32 exec_lo, exec_lo, s3
	s_mov_b32 s3, 0
	global_store_byte v[7:8], v13, off
.LBB8_1842:
	s_and_b32 vcc_lo, exec_lo, s3
	s_cbranch_vccz .LBB8_1852
; %bb.1843:
	v_cvt_f32_f64_e32 v2, v[0:1]
	s_mov_b32 s3, exec_lo
                                        ; implicit-def: $vgpr3
	v_and_b32_e32 v13, 0x7fffffff, v2
	v_cmpx_gt_u32_e32 0x43f00000, v13
	s_xor_b32 s3, exec_lo, s3
	s_cbranch_execz .LBB8_1849
; %bb.1844:
	s_mov_b32 s4, exec_lo
                                        ; implicit-def: $vgpr3
	v_cmpx_lt_u32_e32 0x3c7fffff, v13
	s_xor_b32 s4, exec_lo, s4
; %bb.1845:
	v_bfe_u32 v3, v2, 20, 1
	v_add3_u32 v3, v2, v3, 0x407ffff
	v_and_b32_e32 v13, 0xff00000, v3
	v_lshrrev_b32_e32 v3, 20, v3
	v_cmp_ne_u32_e32 vcc_lo, 0x7f00000, v13
	v_cndmask_b32_e32 v3, 0x7e, v3, vcc_lo
; %bb.1846:
	s_andn2_saveexec_b32 s4, s4
; %bb.1847:
	v_add_f32_e64 v3, 0x46800000, |v2|
; %bb.1848:
	s_or_b32 exec_lo, exec_lo, s4
                                        ; implicit-def: $vgpr13
.LBB8_1849:
	s_andn2_saveexec_b32 s3, s3
; %bb.1850:
	v_mov_b32_e32 v3, 0x7f
	v_cmp_lt_u32_e32 vcc_lo, 0x7f800000, v13
	v_cndmask_b32_e32 v3, 0x7e, v3, vcc_lo
; %bb.1851:
	s_or_b32 exec_lo, exec_lo, s3
	v_lshrrev_b32_e32 v2, 24, v2
	v_and_or_b32 v2, 0x80, v2, v3
	global_store_byte v[7:8], v2, off
.LBB8_1852:
	s_mov_b32 s3, 0
.LBB8_1853:
	s_andn2_b32 vcc_lo, exec_lo, s3
	s_cbranch_vccnz .LBB8_1863
; %bb.1854:
	v_cvt_f32_f64_e32 v2, v[0:1]
	s_mov_b32 s3, exec_lo
                                        ; implicit-def: $vgpr3
	v_and_b32_e32 v13, 0x7fffffff, v2
	v_cmpx_gt_u32_e32 0x47800000, v13
	s_xor_b32 s3, exec_lo, s3
	s_cbranch_execz .LBB8_1860
; %bb.1855:
	s_mov_b32 s4, exec_lo
                                        ; implicit-def: $vgpr3
	v_cmpx_lt_u32_e32 0x387fffff, v13
	s_xor_b32 s4, exec_lo, s4
; %bb.1856:
	v_bfe_u32 v3, v2, 21, 1
	v_add3_u32 v3, v2, v3, 0x80fffff
	v_lshrrev_b32_e32 v3, 21, v3
; %bb.1857:
	s_andn2_saveexec_b32 s4, s4
; %bb.1858:
	v_add_f32_e64 v3, 0x43000000, |v2|
; %bb.1859:
	s_or_b32 exec_lo, exec_lo, s4
                                        ; implicit-def: $vgpr13
.LBB8_1860:
	s_andn2_saveexec_b32 s3, s3
; %bb.1861:
	v_mov_b32_e32 v3, 0x7f
	v_cmp_lt_u32_e32 vcc_lo, 0x7f800000, v13
	v_cndmask_b32_e32 v3, 0x7c, v3, vcc_lo
; %bb.1862:
	s_or_b32 exec_lo, exec_lo, s3
	v_lshrrev_b32_e32 v2, 24, v2
	v_and_or_b32 v2, 0x80, v2, v3
	global_store_byte v[7:8], v2, off
.LBB8_1863:
	s_mov_b32 s3, 0
	s_mov_b32 s4, -1
.LBB8_1864:
	s_andn2_b32 vcc_lo, exec_lo, s3
	s_mov_b32 s3, 0
	s_cbranch_vccnz .LBB8_1871
; %bb.1865:
	s_cmp_gt_i32 s2, 14
	s_mov_b32 s3, -1
	s_cbranch_scc0 .LBB8_1869
; %bb.1866:
	s_cmp_eq_u32 s2, 15
	s_mov_b32 s0, -1
	s_cbranch_scc0 .LBB8_1868
; %bb.1867:
	v_cvt_f32_f64_e32 v2, v[0:1]
	s_mov_b32 s0, 0
	s_mov_b32 s4, -1
	v_bfe_u32 v3, v2, 16, 1
	v_cmp_o_f32_e32 vcc_lo, v2, v2
	v_add3_u32 v2, v2, v3, 0x7fff
	v_mov_b32_e32 v3, 0x7fc0
	v_cndmask_b32_sdwa v2, v3, v2, vcc_lo dst_sel:DWORD dst_unused:UNUSED_PAD src0_sel:DWORD src1_sel:WORD_1
	global_store_short v[7:8], v2, off
.LBB8_1868:
	s_mov_b32 s3, 0
.LBB8_1869:
	s_and_b32 vcc_lo, exec_lo, s3
	s_mov_b32 s3, 0
	s_cbranch_vccz .LBB8_1871
; %bb.1870:
	s_cmp_lg_u32 s2, 11
	s_mov_b32 s3, -1
	s_cselect_b32 s0, -1, 0
.LBB8_1871:
	s_and_b32 vcc_lo, exec_lo, s0
	s_cbranch_vccnz .LBB8_2165
; %bb.1872:
	s_andn2_b32 vcc_lo, exec_lo, s3
	s_cbranch_vccnz .LBB8_1874
.LBB8_1873:
	v_cmp_neq_f64_e32 vcc_lo, 0, v[0:1]
	s_mov_b32 s4, -1
	v_cndmask_b32_e64 v2, 0, 1, vcc_lo
	global_store_byte v[7:8], v2, off
.LBB8_1874:
	s_mov_b32 s0, 0
	s_branch .LBB8_1876
.LBB8_1875:
	s_mov_b32 s0, -1
	s_mov_b32 s4, 0
.LBB8_1876:
	s_and_b32 vcc_lo, exec_lo, s0
	s_cbranch_vccz .LBB8_1915
; %bb.1877:
	s_cmp_lt_i32 s2, 5
	s_mov_b32 s0, -1
	s_cbranch_scc1 .LBB8_1898
; %bb.1878:
	s_cmp_lt_i32 s2, 8
	s_cbranch_scc1 .LBB8_1888
; %bb.1879:
	s_cmp_lt_i32 s2, 9
	s_cbranch_scc1 .LBB8_1885
; %bb.1880:
	s_cmp_gt_i32 s2, 9
	s_cbranch_scc0 .LBB8_1882
; %bb.1881:
	v_mov_b32_e32 v2, 0
	s_mov_b32 s0, 0
	v_mov_b32_e32 v3, v2
	global_store_dwordx4 v[7:8], v[0:3], off
.LBB8_1882:
	s_andn2_b32 vcc_lo, exec_lo, s0
	s_cbranch_vccnz .LBB8_1884
; %bb.1883:
	v_cvt_f32_f64_e32 v2, v[0:1]
	v_mov_b32_e32 v3, 0
	global_store_dwordx2 v[7:8], v[2:3], off
.LBB8_1884:
	s_mov_b32 s0, 0
.LBB8_1885:
	s_andn2_b32 vcc_lo, exec_lo, s0
	s_cbranch_vccnz .LBB8_1887
; %bb.1886:
	v_and_or_b32 v2, 0x1ff, v1, v0
	v_lshrrev_b32_e32 v3, 8, v1
	v_bfe_u32 v13, v1, 20, 11
	v_cmp_ne_u32_e32 vcc_lo, 0, v2
	v_sub_nc_u32_e32 v14, 0x3f1, v13
	v_add_nc_u32_e32 v13, 0xfffffc10, v13
	v_cndmask_b32_e64 v2, 0, 1, vcc_lo
	v_and_or_b32 v2, 0xffe, v3, v2
	v_med3_i32 v3, v14, 0, 13
	v_or_b32_e32 v14, 0x1000, v2
	v_lshrrev_b32_e32 v19, v3, v14
	v_lshlrev_b32_e32 v3, v3, v19
	v_cmp_ne_u32_e32 vcc_lo, v3, v14
	v_lshl_or_b32 v14, v13, 12, v2
	v_cndmask_b32_e64 v3, 0, 1, vcc_lo
	v_cmp_gt_i32_e32 vcc_lo, 1, v13
	v_or_b32_e32 v3, v19, v3
	v_cndmask_b32_e32 v3, v14, v3, vcc_lo
	v_and_b32_e32 v14, 7, v3
	v_lshrrev_b32_e32 v3, 2, v3
	v_cmp_lt_i32_e32 vcc_lo, 5, v14
	v_cndmask_b32_e64 v19, 0, 1, vcc_lo
	v_cmp_eq_u32_e32 vcc_lo, 3, v14
	v_cndmask_b32_e64 v14, 0, 1, vcc_lo
	v_cmp_ne_u32_e32 vcc_lo, 0, v2
	v_or_b32_e32 v14, v14, v19
	v_mov_b32_e32 v19, 0x7e00
	v_add_nc_u32_e32 v3, v3, v14
	v_cndmask_b32_e32 v2, 0x7c00, v19, vcc_lo
	v_cmp_gt_i32_e32 vcc_lo, 31, v13
	v_cndmask_b32_e32 v3, 0x7c00, v3, vcc_lo
	v_cmp_eq_u32_e32 vcc_lo, 0x40f, v13
	v_cndmask_b32_e32 v2, v3, v2, vcc_lo
	v_lshrrev_b32_e32 v3, 16, v1
	v_and_or_b32 v2, 0x8000, v3, v2
	v_and_b32_e32 v2, 0xffff, v2
	global_store_dword v[7:8], v2, off
.LBB8_1887:
	s_mov_b32 s0, 0
.LBB8_1888:
	s_andn2_b32 vcc_lo, exec_lo, s0
	s_cbranch_vccnz .LBB8_1897
; %bb.1889:
	s_cmp_lt_i32 s2, 6
	s_mov_b32 s0, -1
	s_cbranch_scc1 .LBB8_1895
; %bb.1890:
	s_cmp_gt_i32 s2, 6
	s_cbranch_scc0 .LBB8_1892
; %bb.1891:
	s_mov_b32 s0, 0
	global_store_dwordx2 v[7:8], v[0:1], off
.LBB8_1892:
	s_andn2_b32 vcc_lo, exec_lo, s0
	s_cbranch_vccnz .LBB8_1894
; %bb.1893:
	v_cvt_f32_f64_e32 v2, v[0:1]
	global_store_dword v[7:8], v2, off
.LBB8_1894:
	s_mov_b32 s0, 0
.LBB8_1895:
	s_andn2_b32 vcc_lo, exec_lo, s0
	s_cbranch_vccnz .LBB8_1897
; %bb.1896:
	v_and_or_b32 v2, 0x1ff, v1, v0
	v_lshrrev_b32_e32 v3, 8, v1
	v_bfe_u32 v13, v1, 20, 11
	v_cmp_ne_u32_e32 vcc_lo, 0, v2
	v_sub_nc_u32_e32 v14, 0x3f1, v13
	v_add_nc_u32_e32 v13, 0xfffffc10, v13
	v_cndmask_b32_e64 v2, 0, 1, vcc_lo
	v_and_or_b32 v2, 0xffe, v3, v2
	v_med3_i32 v3, v14, 0, 13
	v_or_b32_e32 v14, 0x1000, v2
	v_lshrrev_b32_e32 v19, v3, v14
	v_lshlrev_b32_e32 v3, v3, v19
	v_cmp_ne_u32_e32 vcc_lo, v3, v14
	v_lshl_or_b32 v14, v13, 12, v2
	v_cndmask_b32_e64 v3, 0, 1, vcc_lo
	v_cmp_gt_i32_e32 vcc_lo, 1, v13
	v_or_b32_e32 v3, v19, v3
	v_cndmask_b32_e32 v3, v14, v3, vcc_lo
	v_and_b32_e32 v14, 7, v3
	v_lshrrev_b32_e32 v3, 2, v3
	v_cmp_lt_i32_e32 vcc_lo, 5, v14
	v_cndmask_b32_e64 v19, 0, 1, vcc_lo
	v_cmp_eq_u32_e32 vcc_lo, 3, v14
	v_cndmask_b32_e64 v14, 0, 1, vcc_lo
	v_cmp_ne_u32_e32 vcc_lo, 0, v2
	v_or_b32_e32 v14, v14, v19
	v_mov_b32_e32 v19, 0x7e00
	v_add_nc_u32_e32 v3, v3, v14
	v_cndmask_b32_e32 v2, 0x7c00, v19, vcc_lo
	v_cmp_gt_i32_e32 vcc_lo, 31, v13
	v_cndmask_b32_e32 v3, 0x7c00, v3, vcc_lo
	v_cmp_eq_u32_e32 vcc_lo, 0x40f, v13
	v_cndmask_b32_e32 v2, v3, v2, vcc_lo
	v_lshrrev_b32_e32 v3, 16, v1
	v_and_or_b32 v2, 0x8000, v3, v2
	global_store_short v[7:8], v2, off
.LBB8_1897:
	s_mov_b32 s0, 0
.LBB8_1898:
	s_andn2_b32 vcc_lo, exec_lo, s0
	s_cbranch_vccnz .LBB8_1914
; %bb.1899:
	s_cmp_lt_i32 s2, 2
	s_mov_b32 s0, -1
	s_cbranch_scc1 .LBB8_1909
; %bb.1900:
	s_cmp_lt_i32 s2, 3
	s_cbranch_scc1 .LBB8_1906
; %bb.1901:
	s_cmp_gt_i32 s2, 3
	s_cbranch_scc0 .LBB8_1903
; %bb.1902:
	v_trunc_f64_e32 v[2:3], v[0:1]
	s_mov_b32 s0, 0
	v_ldexp_f64 v[13:14], v[2:3], 0xffffffe0
	v_floor_f64_e32 v[13:14], v[13:14]
	v_fma_f64 v[2:3], 0xc1f00000, v[13:14], v[2:3]
	v_cvt_i32_f64_e32 v14, v[13:14]
	v_cvt_u32_f64_e32 v13, v[2:3]
	global_store_dwordx2 v[7:8], v[13:14], off
.LBB8_1903:
	s_andn2_b32 vcc_lo, exec_lo, s0
	s_cbranch_vccnz .LBB8_1905
; %bb.1904:
	v_cvt_i32_f64_e32 v2, v[0:1]
	global_store_dword v[7:8], v2, off
.LBB8_1905:
	s_mov_b32 s0, 0
.LBB8_1906:
	s_andn2_b32 vcc_lo, exec_lo, s0
	s_cbranch_vccnz .LBB8_1908
; %bb.1907:
	v_cvt_i32_f64_e32 v2, v[0:1]
	global_store_short v[7:8], v2, off
.LBB8_1908:
	s_mov_b32 s0, 0
.LBB8_1909:
	s_andn2_b32 vcc_lo, exec_lo, s0
	s_cbranch_vccnz .LBB8_1914
; %bb.1910:
	s_cmp_gt_i32 s2, 0
	s_mov_b32 s0, -1
	s_cbranch_scc0 .LBB8_1912
; %bb.1911:
	v_cvt_i32_f64_e32 v2, v[0:1]
	s_mov_b32 s0, 0
	global_store_byte v[7:8], v2, off
.LBB8_1912:
	s_andn2_b32 vcc_lo, exec_lo, s0
	s_cbranch_vccnz .LBB8_1914
; %bb.1913:
	v_trunc_f64_e32 v[0:1], v[0:1]
	v_ldexp_f64 v[2:3], v[0:1], 0xffffffe0
	v_floor_f64_e32 v[2:3], v[2:3]
	v_fma_f64 v[0:1], 0xc1f00000, v[2:3], v[0:1]
	v_cvt_u32_f64_e32 v0, v[0:1]
	global_store_byte v[7:8], v0, off
.LBB8_1914:
	s_mov_b32 s4, -1
.LBB8_1915:
	s_andn2_b32 vcc_lo, exec_lo, s4
	s_cbranch_vccnz .LBB8_2111
; %bb.1916:
	v_mul_f64 v[0:1], v[11:12], v[17:18]
	v_cmp_eq_f32_e32 vcc_lo, 1.0, v5
	v_add_co_u32 v5, s0, s8, v6
	v_add_co_ci_u32_e64 v6, null, s9, 0, s0
	s_cmp_lt_i32 s2, 11
	v_cndmask_b32_e32 v1, v1, v12, vcc_lo
	v_cndmask_b32_e32 v0, v0, v11, vcc_lo
	s_cbranch_scc1 .LBB8_1994
; %bb.1917:
	s_mov_b32 s5, -1
	s_mov_b32 s3, 0
	s_cmp_gt_i32 s2, 25
	s_mov_b32 s4, 0
	s_mov_b32 s0, 0
	s_cbranch_scc0 .LBB8_1950
; %bb.1918:
	s_cmp_gt_i32 s2, 28
	s_cbranch_scc0 .LBB8_1933
; %bb.1919:
	s_cmp_gt_i32 s2, 43
	s_cbranch_scc0 .LBB8_1929
; %bb.1920:
	s_cmp_gt_i32 s2, 45
	s_cbranch_scc0 .LBB8_1923
; %bb.1921:
	s_mov_b32 s0, -1
	s_mov_b32 s5, 0
	s_cmp_eq_u32 s2, 46
	s_cbranch_scc0 .LBB8_1923
; %bb.1922:
	v_cvt_f32_f64_e32 v2, v[0:1]
	s_mov_b32 s0, 0
	s_mov_b32 s4, -1
	v_bfe_u32 v3, v2, 16, 1
	v_cmp_o_f32_e32 vcc_lo, v2, v2
	v_add3_u32 v2, v2, v3, 0x7fff
	v_mov_b32_e32 v3, 0x7fc0
	v_cndmask_b32_sdwa v2, v3, v2, vcc_lo dst_sel:DWORD dst_unused:UNUSED_PAD src0_sel:DWORD src1_sel:WORD_1
	global_store_dword v[5:6], v2, off
.LBB8_1923:
	s_and_b32 vcc_lo, exec_lo, s5
	s_cbranch_vccz .LBB8_1928
; %bb.1924:
	s_cmp_eq_u32 s2, 44
	s_mov_b32 s0, -1
	s_cbranch_scc0 .LBB8_1928
; %bb.1925:
	v_cvt_f32_f64_e32 v2, v[0:1]
	v_mov_b32_e32 v3, 0xff
	s_mov_b32 s4, exec_lo
	v_bfe_u32 v7, v2, 23, 8
	v_cmpx_ne_u32_e32 0xff, v7
	s_cbranch_execz .LBB8_1927
; %bb.1926:
	v_and_b32_e32 v3, 0x400000, v2
	v_and_or_b32 v7, 0x3fffff, v2, v7
	v_lshrrev_b32_e32 v2, 23, v2
	v_cmp_ne_u32_e32 vcc_lo, 0, v3
	v_cmp_ne_u32_e64 s0, 0, v7
	s_and_b32 s0, vcc_lo, s0
	v_cndmask_b32_e64 v3, 0, 1, s0
	v_add_nc_u32_e32 v3, v2, v3
.LBB8_1927:
	s_or_b32 exec_lo, exec_lo, s4
	s_mov_b32 s0, 0
	s_mov_b32 s4, -1
	global_store_byte v[5:6], v3, off
.LBB8_1928:
	s_mov_b32 s5, 0
.LBB8_1929:
	s_and_b32 vcc_lo, exec_lo, s5
	s_cbranch_vccz .LBB8_1932
; %bb.1930:
	s_cmp_eq_u32 s2, 29
	s_mov_b32 s0, -1
	s_cbranch_scc0 .LBB8_1932
; %bb.1931:
	v_trunc_f64_e32 v[2:3], v[0:1]
	s_mov_b32 s0, 0
	s_mov_b32 s4, -1
	v_ldexp_f64 v[7:8], v[2:3], 0xffffffe0
	v_floor_f64_e32 v[7:8], v[7:8]
	v_fma_f64 v[2:3], 0xc1f00000, v[7:8], v[2:3]
	v_cvt_u32_f64_e32 v8, v[7:8]
	v_cvt_u32_f64_e32 v7, v[2:3]
	global_store_dwordx2 v[5:6], v[7:8], off
.LBB8_1932:
	s_mov_b32 s5, 0
.LBB8_1933:
	s_and_b32 vcc_lo, exec_lo, s5
	s_cbranch_vccz .LBB8_1949
; %bb.1934:
	s_cmp_lt_i32 s2, 27
	s_mov_b32 s4, -1
	s_cbranch_scc1 .LBB8_1940
; %bb.1935:
	v_cvt_u32_f64_e32 v2, v[0:1]
	s_cmp_gt_i32 s2, 27
	s_cbranch_scc0 .LBB8_1937
; %bb.1936:
	s_mov_b32 s4, 0
	global_store_dword v[5:6], v2, off
.LBB8_1937:
	s_andn2_b32 vcc_lo, exec_lo, s4
	s_cbranch_vccnz .LBB8_1939
; %bb.1938:
	global_store_short v[5:6], v2, off
.LBB8_1939:
	s_mov_b32 s4, 0
.LBB8_1940:
	s_andn2_b32 vcc_lo, exec_lo, s4
	s_cbranch_vccnz .LBB8_1948
; %bb.1941:
	v_cvt_f32_f64_e32 v2, v[0:1]
	v_mov_b32_e32 v7, 0x80
	s_mov_b32 s4, exec_lo
	v_and_b32_e32 v3, 0x7fffffff, v2
	v_cmpx_gt_u32_e32 0x43800000, v3
	s_cbranch_execz .LBB8_1947
; %bb.1942:
	v_cmp_lt_u32_e32 vcc_lo, 0x3bffffff, v3
	s_mov_b32 s5, 0
                                        ; implicit-def: $vgpr3
	s_and_saveexec_b32 s7, vcc_lo
	s_xor_b32 s7, exec_lo, s7
	s_cbranch_execz .LBB8_2168
; %bb.1943:
	v_bfe_u32 v3, v2, 20, 1
	s_mov_b32 s5, exec_lo
	v_add3_u32 v3, v2, v3, 0x487ffff
	v_lshrrev_b32_e32 v3, 20, v3
	s_andn2_saveexec_b32 s7, s7
	s_cbranch_execnz .LBB8_2169
.LBB8_1944:
	s_or_b32 exec_lo, exec_lo, s7
	v_mov_b32_e32 v7, 0
	s_and_saveexec_b32 s7, s5
.LBB8_1945:
	v_lshrrev_b32_e32 v2, 24, v2
	v_and_or_b32 v7, 0x80, v2, v3
.LBB8_1946:
	s_or_b32 exec_lo, exec_lo, s7
.LBB8_1947:
	s_or_b32 exec_lo, exec_lo, s4
	global_store_byte v[5:6], v7, off
.LBB8_1948:
	s_mov_b32 s4, -1
.LBB8_1949:
	s_mov_b32 s5, 0
.LBB8_1950:
	s_and_b32 vcc_lo, exec_lo, s5
	s_cbranch_vccz .LBB8_1990
; %bb.1951:
	s_cmp_gt_i32 s2, 22
	s_mov_b32 s3, -1
	s_cbranch_scc0 .LBB8_1983
; %bb.1952:
	s_cmp_lt_i32 s2, 24
	s_cbranch_scc1 .LBB8_1972
; %bb.1953:
	s_cmp_gt_i32 s2, 24
	s_cbranch_scc0 .LBB8_1961
; %bb.1954:
	v_cvt_f32_f64_e32 v2, v[0:1]
	v_mov_b32_e32 v7, 0x80
	s_mov_b32 s3, exec_lo
	v_and_b32_e32 v3, 0x7fffffff, v2
	v_cmpx_gt_u32_e32 0x47800000, v3
	s_cbranch_execz .LBB8_1960
; %bb.1955:
	v_cmp_lt_u32_e32 vcc_lo, 0x37ffffff, v3
	s_mov_b32 s4, 0
                                        ; implicit-def: $vgpr3
	s_and_saveexec_b32 s5, vcc_lo
	s_xor_b32 s5, exec_lo, s5
	s_cbranch_execz .LBB8_2171
; %bb.1956:
	v_bfe_u32 v3, v2, 21, 1
	s_mov_b32 s4, exec_lo
	v_add3_u32 v3, v2, v3, 0x88fffff
	v_lshrrev_b32_e32 v3, 21, v3
	s_andn2_saveexec_b32 s5, s5
	s_cbranch_execnz .LBB8_2172
.LBB8_1957:
	s_or_b32 exec_lo, exec_lo, s5
	v_mov_b32_e32 v7, 0
	s_and_saveexec_b32 s5, s4
.LBB8_1958:
	v_lshrrev_b32_e32 v2, 24, v2
	v_and_or_b32 v7, 0x80, v2, v3
.LBB8_1959:
	s_or_b32 exec_lo, exec_lo, s5
.LBB8_1960:
	s_or_b32 exec_lo, exec_lo, s3
	s_mov_b32 s3, 0
	global_store_byte v[5:6], v7, off
.LBB8_1961:
	s_and_b32 vcc_lo, exec_lo, s3
	s_cbranch_vccz .LBB8_1971
; %bb.1962:
	v_cvt_f32_f64_e32 v2, v[0:1]
	s_mov_b32 s3, exec_lo
                                        ; implicit-def: $vgpr3
	v_and_b32_e32 v7, 0x7fffffff, v2
	v_cmpx_gt_u32_e32 0x43f00000, v7
	s_xor_b32 s3, exec_lo, s3
	s_cbranch_execz .LBB8_1968
; %bb.1963:
	s_mov_b32 s4, exec_lo
                                        ; implicit-def: $vgpr3
	v_cmpx_lt_u32_e32 0x3c7fffff, v7
	s_xor_b32 s4, exec_lo, s4
; %bb.1964:
	v_bfe_u32 v3, v2, 20, 1
	v_add3_u32 v3, v2, v3, 0x407ffff
	v_and_b32_e32 v7, 0xff00000, v3
	v_lshrrev_b32_e32 v3, 20, v3
	v_cmp_ne_u32_e32 vcc_lo, 0x7f00000, v7
	v_cndmask_b32_e32 v3, 0x7e, v3, vcc_lo
; %bb.1965:
	s_andn2_saveexec_b32 s4, s4
; %bb.1966:
	v_add_f32_e64 v3, 0x46800000, |v2|
; %bb.1967:
	s_or_b32 exec_lo, exec_lo, s4
                                        ; implicit-def: $vgpr7
.LBB8_1968:
	s_andn2_saveexec_b32 s3, s3
; %bb.1969:
	v_mov_b32_e32 v3, 0x7f
	v_cmp_lt_u32_e32 vcc_lo, 0x7f800000, v7
	v_cndmask_b32_e32 v3, 0x7e, v3, vcc_lo
; %bb.1970:
	s_or_b32 exec_lo, exec_lo, s3
	v_lshrrev_b32_e32 v2, 24, v2
	v_and_or_b32 v2, 0x80, v2, v3
	global_store_byte v[5:6], v2, off
.LBB8_1971:
	s_mov_b32 s3, 0
.LBB8_1972:
	s_andn2_b32 vcc_lo, exec_lo, s3
	s_cbranch_vccnz .LBB8_1982
; %bb.1973:
	v_cvt_f32_f64_e32 v2, v[0:1]
	s_mov_b32 s3, exec_lo
                                        ; implicit-def: $vgpr3
	v_and_b32_e32 v7, 0x7fffffff, v2
	v_cmpx_gt_u32_e32 0x47800000, v7
	s_xor_b32 s3, exec_lo, s3
	s_cbranch_execz .LBB8_1979
; %bb.1974:
	s_mov_b32 s4, exec_lo
                                        ; implicit-def: $vgpr3
	v_cmpx_lt_u32_e32 0x387fffff, v7
	s_xor_b32 s4, exec_lo, s4
; %bb.1975:
	v_bfe_u32 v3, v2, 21, 1
	v_add3_u32 v3, v2, v3, 0x80fffff
	v_lshrrev_b32_e32 v3, 21, v3
; %bb.1976:
	s_andn2_saveexec_b32 s4, s4
; %bb.1977:
	v_add_f32_e64 v3, 0x43000000, |v2|
; %bb.1978:
	s_or_b32 exec_lo, exec_lo, s4
                                        ; implicit-def: $vgpr7
.LBB8_1979:
	s_andn2_saveexec_b32 s3, s3
; %bb.1980:
	v_mov_b32_e32 v3, 0x7f
	v_cmp_lt_u32_e32 vcc_lo, 0x7f800000, v7
	v_cndmask_b32_e32 v3, 0x7c, v3, vcc_lo
; %bb.1981:
	s_or_b32 exec_lo, exec_lo, s3
	v_lshrrev_b32_e32 v2, 24, v2
	v_and_or_b32 v2, 0x80, v2, v3
	global_store_byte v[5:6], v2, off
.LBB8_1982:
	s_mov_b32 s3, 0
	s_mov_b32 s4, -1
.LBB8_1983:
	s_andn2_b32 vcc_lo, exec_lo, s3
	s_mov_b32 s3, 0
	s_cbranch_vccnz .LBB8_1990
; %bb.1984:
	s_cmp_gt_i32 s2, 14
	s_mov_b32 s3, -1
	s_cbranch_scc0 .LBB8_1988
; %bb.1985:
	s_cmp_eq_u32 s2, 15
	s_mov_b32 s0, -1
	s_cbranch_scc0 .LBB8_1987
; %bb.1986:
	v_cvt_f32_f64_e32 v2, v[0:1]
	s_mov_b32 s0, 0
	s_mov_b32 s4, -1
	v_bfe_u32 v3, v2, 16, 1
	v_cmp_o_f32_e32 vcc_lo, v2, v2
	v_add3_u32 v2, v2, v3, 0x7fff
	v_mov_b32_e32 v3, 0x7fc0
	v_cndmask_b32_sdwa v2, v3, v2, vcc_lo dst_sel:DWORD dst_unused:UNUSED_PAD src0_sel:DWORD src1_sel:WORD_1
	global_store_short v[5:6], v2, off
.LBB8_1987:
	s_mov_b32 s3, 0
.LBB8_1988:
	s_and_b32 vcc_lo, exec_lo, s3
	s_mov_b32 s3, 0
	s_cbranch_vccz .LBB8_1990
; %bb.1989:
	s_cmp_lg_u32 s2, 11
	s_mov_b32 s3, -1
	s_cselect_b32 s0, -1, 0
.LBB8_1990:
	s_and_b32 vcc_lo, exec_lo, s0
	s_cbranch_vccnz .LBB8_2170
; %bb.1991:
	s_andn2_b32 vcc_lo, exec_lo, s3
	s_cbranch_vccnz .LBB8_1993
.LBB8_1992:
	v_cmp_neq_f64_e32 vcc_lo, 0, v[0:1]
	s_mov_b32 s4, -1
	v_cndmask_b32_e64 v2, 0, 1, vcc_lo
	global_store_byte v[5:6], v2, off
.LBB8_1993:
	s_mov_b32 s0, 0
	s_branch .LBB8_1995
.LBB8_1994:
	s_mov_b32 s0, -1
	s_mov_b32 s4, 0
.LBB8_1995:
	s_and_b32 vcc_lo, exec_lo, s0
	s_cbranch_vccz .LBB8_2034
; %bb.1996:
	s_cmp_lt_i32 s2, 5
	s_mov_b32 s0, -1
	s_cbranch_scc1 .LBB8_2017
; %bb.1997:
	s_cmp_lt_i32 s2, 8
	s_cbranch_scc1 .LBB8_2007
; %bb.1998:
	s_cmp_lt_i32 s2, 9
	s_cbranch_scc1 .LBB8_2004
; %bb.1999:
	s_cmp_gt_i32 s2, 9
	s_cbranch_scc0 .LBB8_2001
; %bb.2000:
	v_mov_b32_e32 v2, 0
	s_mov_b32 s0, 0
	v_mov_b32_e32 v3, v2
	global_store_dwordx4 v[5:6], v[0:3], off
.LBB8_2001:
	s_andn2_b32 vcc_lo, exec_lo, s0
	s_cbranch_vccnz .LBB8_2003
; %bb.2002:
	v_cvt_f32_f64_e32 v2, v[0:1]
	v_mov_b32_e32 v3, 0
	global_store_dwordx2 v[5:6], v[2:3], off
.LBB8_2003:
	s_mov_b32 s0, 0
.LBB8_2004:
	s_andn2_b32 vcc_lo, exec_lo, s0
	s_cbranch_vccnz .LBB8_2006
; %bb.2005:
	v_and_or_b32 v2, 0x1ff, v1, v0
	v_lshrrev_b32_e32 v3, 8, v1
	v_bfe_u32 v7, v1, 20, 11
	v_cmp_ne_u32_e32 vcc_lo, 0, v2
	v_sub_nc_u32_e32 v8, 0x3f1, v7
	v_add_nc_u32_e32 v7, 0xfffffc10, v7
	v_cndmask_b32_e64 v2, 0, 1, vcc_lo
	v_and_or_b32 v2, 0xffe, v3, v2
	v_med3_i32 v3, v8, 0, 13
	v_or_b32_e32 v8, 0x1000, v2
	v_lshrrev_b32_e32 v11, v3, v8
	v_lshlrev_b32_e32 v3, v3, v11
	v_cmp_ne_u32_e32 vcc_lo, v3, v8
	v_lshl_or_b32 v8, v7, 12, v2
	v_cndmask_b32_e64 v3, 0, 1, vcc_lo
	v_cmp_gt_i32_e32 vcc_lo, 1, v7
	v_or_b32_e32 v3, v11, v3
	v_cndmask_b32_e32 v3, v8, v3, vcc_lo
	v_and_b32_e32 v8, 7, v3
	v_lshrrev_b32_e32 v3, 2, v3
	v_cmp_lt_i32_e32 vcc_lo, 5, v8
	v_cndmask_b32_e64 v11, 0, 1, vcc_lo
	v_cmp_eq_u32_e32 vcc_lo, 3, v8
	v_cndmask_b32_e64 v8, 0, 1, vcc_lo
	v_cmp_ne_u32_e32 vcc_lo, 0, v2
	v_or_b32_e32 v8, v8, v11
	v_mov_b32_e32 v11, 0x7e00
	v_add_nc_u32_e32 v3, v3, v8
	v_cndmask_b32_e32 v2, 0x7c00, v11, vcc_lo
	v_cmp_gt_i32_e32 vcc_lo, 31, v7
	v_cndmask_b32_e32 v3, 0x7c00, v3, vcc_lo
	v_cmp_eq_u32_e32 vcc_lo, 0x40f, v7
	v_cndmask_b32_e32 v2, v3, v2, vcc_lo
	v_lshrrev_b32_e32 v3, 16, v1
	v_and_or_b32 v2, 0x8000, v3, v2
	v_and_b32_e32 v2, 0xffff, v2
	global_store_dword v[5:6], v2, off
.LBB8_2006:
	s_mov_b32 s0, 0
.LBB8_2007:
	s_andn2_b32 vcc_lo, exec_lo, s0
	s_cbranch_vccnz .LBB8_2016
; %bb.2008:
	s_cmp_lt_i32 s2, 6
	s_mov_b32 s0, -1
	s_cbranch_scc1 .LBB8_2014
; %bb.2009:
	s_cmp_gt_i32 s2, 6
	s_cbranch_scc0 .LBB8_2011
; %bb.2010:
	s_mov_b32 s0, 0
	global_store_dwordx2 v[5:6], v[0:1], off
.LBB8_2011:
	s_andn2_b32 vcc_lo, exec_lo, s0
	s_cbranch_vccnz .LBB8_2013
; %bb.2012:
	v_cvt_f32_f64_e32 v2, v[0:1]
	global_store_dword v[5:6], v2, off
.LBB8_2013:
	s_mov_b32 s0, 0
.LBB8_2014:
	s_andn2_b32 vcc_lo, exec_lo, s0
	s_cbranch_vccnz .LBB8_2016
; %bb.2015:
	v_and_or_b32 v2, 0x1ff, v1, v0
	v_lshrrev_b32_e32 v3, 8, v1
	v_bfe_u32 v7, v1, 20, 11
	v_cmp_ne_u32_e32 vcc_lo, 0, v2
	v_sub_nc_u32_e32 v8, 0x3f1, v7
	v_add_nc_u32_e32 v7, 0xfffffc10, v7
	v_cndmask_b32_e64 v2, 0, 1, vcc_lo
	v_and_or_b32 v2, 0xffe, v3, v2
	v_med3_i32 v3, v8, 0, 13
	v_or_b32_e32 v8, 0x1000, v2
	v_lshrrev_b32_e32 v11, v3, v8
	v_lshlrev_b32_e32 v3, v3, v11
	v_cmp_ne_u32_e32 vcc_lo, v3, v8
	v_lshl_or_b32 v8, v7, 12, v2
	v_cndmask_b32_e64 v3, 0, 1, vcc_lo
	v_cmp_gt_i32_e32 vcc_lo, 1, v7
	v_or_b32_e32 v3, v11, v3
	v_cndmask_b32_e32 v3, v8, v3, vcc_lo
	v_and_b32_e32 v8, 7, v3
	v_lshrrev_b32_e32 v3, 2, v3
	v_cmp_lt_i32_e32 vcc_lo, 5, v8
	v_cndmask_b32_e64 v11, 0, 1, vcc_lo
	v_cmp_eq_u32_e32 vcc_lo, 3, v8
	v_cndmask_b32_e64 v8, 0, 1, vcc_lo
	v_cmp_ne_u32_e32 vcc_lo, 0, v2
	v_or_b32_e32 v8, v8, v11
	v_mov_b32_e32 v11, 0x7e00
	v_add_nc_u32_e32 v3, v3, v8
	v_cndmask_b32_e32 v2, 0x7c00, v11, vcc_lo
	v_cmp_gt_i32_e32 vcc_lo, 31, v7
	v_cndmask_b32_e32 v3, 0x7c00, v3, vcc_lo
	v_cmp_eq_u32_e32 vcc_lo, 0x40f, v7
	v_cndmask_b32_e32 v2, v3, v2, vcc_lo
	v_lshrrev_b32_e32 v3, 16, v1
	v_and_or_b32 v2, 0x8000, v3, v2
	global_store_short v[5:6], v2, off
.LBB8_2016:
	s_mov_b32 s0, 0
.LBB8_2017:
	s_andn2_b32 vcc_lo, exec_lo, s0
	s_cbranch_vccnz .LBB8_2033
; %bb.2018:
	s_cmp_lt_i32 s2, 2
	s_mov_b32 s0, -1
	s_cbranch_scc1 .LBB8_2028
; %bb.2019:
	s_cmp_lt_i32 s2, 3
	s_cbranch_scc1 .LBB8_2025
; %bb.2020:
	s_cmp_gt_i32 s2, 3
	s_cbranch_scc0 .LBB8_2022
; %bb.2021:
	v_trunc_f64_e32 v[2:3], v[0:1]
	s_mov_b32 s0, 0
	v_ldexp_f64 v[7:8], v[2:3], 0xffffffe0
	v_floor_f64_e32 v[7:8], v[7:8]
	v_fma_f64 v[2:3], 0xc1f00000, v[7:8], v[2:3]
	v_cvt_i32_f64_e32 v8, v[7:8]
	v_cvt_u32_f64_e32 v7, v[2:3]
	global_store_dwordx2 v[5:6], v[7:8], off
.LBB8_2022:
	s_andn2_b32 vcc_lo, exec_lo, s0
	s_cbranch_vccnz .LBB8_2024
; %bb.2023:
	v_cvt_i32_f64_e32 v2, v[0:1]
	global_store_dword v[5:6], v2, off
.LBB8_2024:
	s_mov_b32 s0, 0
.LBB8_2025:
	s_andn2_b32 vcc_lo, exec_lo, s0
	s_cbranch_vccnz .LBB8_2027
; %bb.2026:
	v_cvt_i32_f64_e32 v2, v[0:1]
	global_store_short v[5:6], v2, off
.LBB8_2027:
	s_mov_b32 s0, 0
.LBB8_2028:
	s_andn2_b32 vcc_lo, exec_lo, s0
	s_cbranch_vccnz .LBB8_2033
; %bb.2029:
	s_cmp_gt_i32 s2, 0
	s_mov_b32 s0, -1
	s_cbranch_scc0 .LBB8_2031
; %bb.2030:
	v_cvt_i32_f64_e32 v2, v[0:1]
	s_mov_b32 s0, 0
	global_store_byte v[5:6], v2, off
.LBB8_2031:
	s_andn2_b32 vcc_lo, exec_lo, s0
	s_cbranch_vccnz .LBB8_2033
; %bb.2032:
	v_trunc_f64_e32 v[0:1], v[0:1]
	v_ldexp_f64 v[2:3], v[0:1], 0xffffffe0
	v_floor_f64_e32 v[2:3], v[2:3]
	v_fma_f64 v[0:1], 0xc1f00000, v[2:3], v[0:1]
	v_cvt_u32_f64_e32 v0, v[0:1]
	global_store_byte v[5:6], v0, off
.LBB8_2033:
	s_mov_b32 s4, -1
.LBB8_2034:
	s_andn2_b32 vcc_lo, exec_lo, s4
	s_cbranch_vccnz .LBB8_2111
; %bb.2035:
	v_mul_f64 v[0:1], v[9:10], v[15:16]
	v_cmp_eq_f32_e32 vcc_lo, 1.0, v23
	v_add_co_u32 v4, s0, s8, v4
	v_add_co_ci_u32_e64 v5, null, s9, 0, s0
	s_cmp_lt_i32 s2, 11
	v_cndmask_b32_e32 v1, v1, v10, vcc_lo
	v_cndmask_b32_e32 v0, v0, v9, vcc_lo
	s_cbranch_scc1 .LBB8_2156
; %bb.2036:
	s_mov_b32 s4, -1
	s_mov_b32 s3, 0
	s_cmp_gt_i32 s2, 25
	s_mov_b32 s0, 0
	s_cbranch_scc0 .LBB8_2069
; %bb.2037:
	s_cmp_gt_i32 s2, 28
	s_cbranch_scc0 .LBB8_2053
; %bb.2038:
	s_cmp_gt_i32 s2, 43
	;; [unrolled: 3-line block ×3, first 2 shown]
	s_cbranch_scc0 .LBB8_2043
; %bb.2040:
	s_cmp_eq_u32 s2, 46
	s_mov_b32 s0, -1
	s_cbranch_scc0 .LBB8_2042
; %bb.2041:
	v_cvt_f32_f64_e32 v2, v[0:1]
	s_mov_b32 s0, 0
	v_bfe_u32 v3, v2, 16, 1
	v_cmp_o_f32_e32 vcc_lo, v2, v2
	v_add3_u32 v2, v2, v3, 0x7fff
	v_mov_b32_e32 v3, 0x7fc0
	v_cndmask_b32_sdwa v2, v3, v2, vcc_lo dst_sel:DWORD dst_unused:UNUSED_PAD src0_sel:DWORD src1_sel:WORD_1
	global_store_dword v[4:5], v2, off
.LBB8_2042:
	s_mov_b32 s4, 0
.LBB8_2043:
	s_and_b32 vcc_lo, exec_lo, s4
	s_cbranch_vccz .LBB8_2048
; %bb.2044:
	s_cmp_eq_u32 s2, 44
	s_mov_b32 s0, -1
	s_cbranch_scc0 .LBB8_2048
; %bb.2045:
	v_cvt_f32_f64_e32 v2, v[0:1]
	v_mov_b32_e32 v3, 0xff
	s_mov_b32 s4, exec_lo
	v_bfe_u32 v6, v2, 23, 8
	v_cmpx_ne_u32_e32 0xff, v6
	s_cbranch_execz .LBB8_2047
; %bb.2046:
	v_and_b32_e32 v3, 0x400000, v2
	v_and_or_b32 v6, 0x3fffff, v2, v6
	v_lshrrev_b32_e32 v2, 23, v2
	v_cmp_ne_u32_e32 vcc_lo, 0, v3
	v_cmp_ne_u32_e64 s0, 0, v6
	s_and_b32 s0, vcc_lo, s0
	v_cndmask_b32_e64 v3, 0, 1, s0
	v_add_nc_u32_e32 v3, v2, v3
.LBB8_2047:
	s_or_b32 exec_lo, exec_lo, s4
	s_mov_b32 s0, 0
	global_store_byte v[4:5], v3, off
.LBB8_2048:
	s_mov_b32 s4, 0
.LBB8_2049:
	s_and_b32 vcc_lo, exec_lo, s4
	s_cbranch_vccz .LBB8_2052
; %bb.2050:
	s_cmp_eq_u32 s2, 29
	s_mov_b32 s0, -1
	s_cbranch_scc0 .LBB8_2052
; %bb.2051:
	v_trunc_f64_e32 v[2:3], v[0:1]
	s_mov_b32 s0, 0
	v_ldexp_f64 v[6:7], v[2:3], 0xffffffe0
	v_floor_f64_e32 v[6:7], v[6:7]
	v_fma_f64 v[2:3], 0xc1f00000, v[6:7], v[2:3]
	v_cvt_u32_f64_e32 v7, v[6:7]
	v_cvt_u32_f64_e32 v6, v[2:3]
	global_store_dwordx2 v[4:5], v[6:7], off
.LBB8_2052:
	s_mov_b32 s4, 0
.LBB8_2053:
	s_and_b32 vcc_lo, exec_lo, s4
	s_cbranch_vccz .LBB8_2068
; %bb.2054:
	s_cmp_lt_i32 s2, 27
	s_mov_b32 s4, -1
	s_cbranch_scc1 .LBB8_2060
; %bb.2055:
	s_cmp_gt_i32 s2, 27
	s_cbranch_scc0 .LBB8_2057
; %bb.2056:
	v_cvt_u32_f64_e32 v2, v[0:1]
	s_mov_b32 s4, 0
	global_store_dword v[4:5], v2, off
.LBB8_2057:
	s_andn2_b32 vcc_lo, exec_lo, s4
	s_cbranch_vccnz .LBB8_2059
; %bb.2058:
	v_cvt_u32_f64_e32 v2, v[0:1]
	global_store_short v[4:5], v2, off
.LBB8_2059:
	s_mov_b32 s4, 0
.LBB8_2060:
	s_andn2_b32 vcc_lo, exec_lo, s4
	s_cbranch_vccnz .LBB8_2068
; %bb.2061:
	v_cvt_f32_f64_e32 v2, v[0:1]
	v_mov_b32_e32 v6, 0x80
	s_mov_b32 s4, exec_lo
	v_and_b32_e32 v3, 0x7fffffff, v2
	v_cmpx_gt_u32_e32 0x43800000, v3
	s_cbranch_execz .LBB8_2067
; %bb.2062:
	v_cmp_lt_u32_e32 vcc_lo, 0x3bffffff, v3
	s_mov_b32 s5, 0
                                        ; implicit-def: $vgpr3
	s_and_saveexec_b32 s7, vcc_lo
	s_xor_b32 s7, exec_lo, s7
	s_cbranch_execz .LBB8_2173
; %bb.2063:
	v_bfe_u32 v3, v2, 20, 1
	s_mov_b32 s5, exec_lo
	v_add3_u32 v3, v2, v3, 0x487ffff
	v_lshrrev_b32_e32 v3, 20, v3
	s_andn2_saveexec_b32 s7, s7
	s_cbranch_execnz .LBB8_2174
.LBB8_2064:
	s_or_b32 exec_lo, exec_lo, s7
	v_mov_b32_e32 v6, 0
	s_and_saveexec_b32 s7, s5
.LBB8_2065:
	v_lshrrev_b32_e32 v2, 24, v2
	v_and_or_b32 v6, 0x80, v2, v3
.LBB8_2066:
	s_or_b32 exec_lo, exec_lo, s7
.LBB8_2067:
	s_or_b32 exec_lo, exec_lo, s4
	global_store_byte v[4:5], v6, off
.LBB8_2068:
	s_mov_b32 s4, 0
.LBB8_2069:
	s_and_b32 vcc_lo, exec_lo, s4
	s_cbranch_vccz .LBB8_2109
; %bb.2070:
	s_cmp_gt_i32 s2, 22
	s_mov_b32 s3, -1
	s_cbranch_scc0 .LBB8_2102
; %bb.2071:
	s_cmp_lt_i32 s2, 24
	s_cbranch_scc1 .LBB8_2091
; %bb.2072:
	s_cmp_gt_i32 s2, 24
	s_cbranch_scc0 .LBB8_2080
; %bb.2073:
	v_cvt_f32_f64_e32 v2, v[0:1]
	v_mov_b32_e32 v6, 0x80
	s_mov_b32 s3, exec_lo
	v_and_b32_e32 v3, 0x7fffffff, v2
	v_cmpx_gt_u32_e32 0x47800000, v3
	s_cbranch_execz .LBB8_2079
; %bb.2074:
	v_cmp_lt_u32_e32 vcc_lo, 0x37ffffff, v3
	s_mov_b32 s4, 0
                                        ; implicit-def: $vgpr3
	s_and_saveexec_b32 s5, vcc_lo
	s_xor_b32 s5, exec_lo, s5
	s_cbranch_execz .LBB8_2176
; %bb.2075:
	v_bfe_u32 v3, v2, 21, 1
	s_mov_b32 s4, exec_lo
	v_add3_u32 v3, v2, v3, 0x88fffff
	v_lshrrev_b32_e32 v3, 21, v3
	s_andn2_saveexec_b32 s5, s5
	s_cbranch_execnz .LBB8_2177
.LBB8_2076:
	s_or_b32 exec_lo, exec_lo, s5
	v_mov_b32_e32 v6, 0
	s_and_saveexec_b32 s5, s4
.LBB8_2077:
	v_lshrrev_b32_e32 v2, 24, v2
	v_and_or_b32 v6, 0x80, v2, v3
.LBB8_2078:
	s_or_b32 exec_lo, exec_lo, s5
.LBB8_2079:
	s_or_b32 exec_lo, exec_lo, s3
	s_mov_b32 s3, 0
	global_store_byte v[4:5], v6, off
.LBB8_2080:
	s_and_b32 vcc_lo, exec_lo, s3
	s_cbranch_vccz .LBB8_2090
; %bb.2081:
	v_cvt_f32_f64_e32 v2, v[0:1]
	s_mov_b32 s3, exec_lo
                                        ; implicit-def: $vgpr3
	v_and_b32_e32 v6, 0x7fffffff, v2
	v_cmpx_gt_u32_e32 0x43f00000, v6
	s_xor_b32 s3, exec_lo, s3
	s_cbranch_execz .LBB8_2087
; %bb.2082:
	s_mov_b32 s4, exec_lo
                                        ; implicit-def: $vgpr3
	v_cmpx_lt_u32_e32 0x3c7fffff, v6
	s_xor_b32 s4, exec_lo, s4
; %bb.2083:
	v_bfe_u32 v3, v2, 20, 1
	v_add3_u32 v3, v2, v3, 0x407ffff
	v_and_b32_e32 v6, 0xff00000, v3
	v_lshrrev_b32_e32 v3, 20, v3
	v_cmp_ne_u32_e32 vcc_lo, 0x7f00000, v6
	v_cndmask_b32_e32 v3, 0x7e, v3, vcc_lo
; %bb.2084:
	s_andn2_saveexec_b32 s4, s4
; %bb.2085:
	v_add_f32_e64 v3, 0x46800000, |v2|
; %bb.2086:
	s_or_b32 exec_lo, exec_lo, s4
                                        ; implicit-def: $vgpr6
.LBB8_2087:
	s_andn2_saveexec_b32 s3, s3
; %bb.2088:
	v_mov_b32_e32 v3, 0x7f
	v_cmp_lt_u32_e32 vcc_lo, 0x7f800000, v6
	v_cndmask_b32_e32 v3, 0x7e, v3, vcc_lo
; %bb.2089:
	s_or_b32 exec_lo, exec_lo, s3
	v_lshrrev_b32_e32 v2, 24, v2
	v_and_or_b32 v2, 0x80, v2, v3
	global_store_byte v[4:5], v2, off
.LBB8_2090:
	s_mov_b32 s3, 0
.LBB8_2091:
	s_andn2_b32 vcc_lo, exec_lo, s3
	s_cbranch_vccnz .LBB8_2101
; %bb.2092:
	v_cvt_f32_f64_e32 v2, v[0:1]
	s_mov_b32 s3, exec_lo
                                        ; implicit-def: $vgpr3
	v_and_b32_e32 v6, 0x7fffffff, v2
	v_cmpx_gt_u32_e32 0x47800000, v6
	s_xor_b32 s3, exec_lo, s3
	s_cbranch_execz .LBB8_2098
; %bb.2093:
	s_mov_b32 s4, exec_lo
                                        ; implicit-def: $vgpr3
	v_cmpx_lt_u32_e32 0x387fffff, v6
	s_xor_b32 s4, exec_lo, s4
; %bb.2094:
	v_bfe_u32 v3, v2, 21, 1
	v_add3_u32 v3, v2, v3, 0x80fffff
	v_lshrrev_b32_e32 v3, 21, v3
; %bb.2095:
	s_andn2_saveexec_b32 s4, s4
; %bb.2096:
	v_add_f32_e64 v3, 0x43000000, |v2|
; %bb.2097:
	s_or_b32 exec_lo, exec_lo, s4
                                        ; implicit-def: $vgpr6
.LBB8_2098:
	s_andn2_saveexec_b32 s3, s3
; %bb.2099:
	v_mov_b32_e32 v3, 0x7f
	v_cmp_lt_u32_e32 vcc_lo, 0x7f800000, v6
	v_cndmask_b32_e32 v3, 0x7c, v3, vcc_lo
; %bb.2100:
	s_or_b32 exec_lo, exec_lo, s3
	v_lshrrev_b32_e32 v2, 24, v2
	v_and_or_b32 v2, 0x80, v2, v3
	global_store_byte v[4:5], v2, off
.LBB8_2101:
	s_mov_b32 s3, 0
.LBB8_2102:
	s_andn2_b32 vcc_lo, exec_lo, s3
	s_mov_b32 s3, 0
	s_cbranch_vccnz .LBB8_2109
; %bb.2103:
	s_cmp_gt_i32 s2, 14
	s_mov_b32 s3, -1
	s_cbranch_scc0 .LBB8_2107
; %bb.2104:
	s_cmp_eq_u32 s2, 15
	s_mov_b32 s0, -1
	s_cbranch_scc0 .LBB8_2106
; %bb.2105:
	v_cvt_f32_f64_e32 v2, v[0:1]
	s_mov_b32 s0, 0
	v_bfe_u32 v3, v2, 16, 1
	v_cmp_o_f32_e32 vcc_lo, v2, v2
	v_add3_u32 v2, v2, v3, 0x7fff
	v_mov_b32_e32 v3, 0x7fc0
	v_cndmask_b32_sdwa v2, v3, v2, vcc_lo dst_sel:DWORD dst_unused:UNUSED_PAD src0_sel:DWORD src1_sel:WORD_1
	global_store_short v[4:5], v2, off
.LBB8_2106:
	s_mov_b32 s3, 0
.LBB8_2107:
	s_and_b32 vcc_lo, exec_lo, s3
	s_mov_b32 s3, 0
	s_cbranch_vccz .LBB8_2109
; %bb.2108:
	s_cmp_lg_u32 s2, 11
	s_mov_b32 s3, -1
	s_cselect_b32 s0, -1, 0
.LBB8_2109:
	s_and_b32 vcc_lo, exec_lo, s0
	s_cbranch_vccnz .LBB8_2175
.LBB8_2110:
	s_mov_b32 s0, 0
	s_branch .LBB8_2112
.LBB8_2111:
	s_mov_b32 s0, 0
	s_mov_b32 s3, 0
                                        ; implicit-def: $vgpr4_vgpr5
                                        ; implicit-def: $sgpr6
                                        ; implicit-def: $vgpr0_vgpr1
.LBB8_2112:
	s_andn2_b32 s2, s16, exec_lo
	s_and_b32 s1, s1, exec_lo
	s_and_b32 s0, s0, exec_lo
	;; [unrolled: 1-line block ×3, first 2 shown]
	s_or_b32 s16, s2, s1
.LBB8_2113:
	s_or_b32 exec_lo, exec_lo, s17
	s_and_saveexec_b32 s1, s16
	s_cbranch_execz .LBB8_2116
; %bb.2114:
	; divergent unreachable
	s_or_b32 exec_lo, exec_lo, s1
	s_and_saveexec_b32 s1, s30
	s_xor_b32 s1, exec_lo, s1
	s_cbranch_execnz .LBB8_2117
.LBB8_2115:
	s_or_b32 exec_lo, exec_lo, s1
	s_and_saveexec_b32 s1, s0
	s_cbranch_execnz .LBB8_2118
	s_branch .LBB8_2155
.LBB8_2116:
	s_or_b32 exec_lo, exec_lo, s1
	s_and_saveexec_b32 s1, s30
	s_xor_b32 s1, exec_lo, s1
	s_cbranch_execz .LBB8_2115
.LBB8_2117:
	s_waitcnt vmcnt(0)
	v_cmp_neq_f64_e32 vcc_lo, 0, v[0:1]
	v_cndmask_b32_e64 v2, 0, 1, vcc_lo
	global_store_byte v[4:5], v2, off
	s_or_b32 exec_lo, exec_lo, s1
	s_and_saveexec_b32 s1, s0
	s_cbranch_execz .LBB8_2155
.LBB8_2118:
	s_sext_i32_i16 s1, s6
	s_mov_b32 s0, -1
	s_cmp_lt_i32 s1, 5
	s_cbranch_scc1 .LBB8_2139
; %bb.2119:
	s_cmp_lt_i32 s1, 8
	s_cbranch_scc1 .LBB8_2129
; %bb.2120:
	;; [unrolled: 3-line block ×3, first 2 shown]
	s_cmp_gt_i32 s1, 9
	s_cbranch_scc0 .LBB8_2123
; %bb.2122:
	v_mov_b32_e32 v2, 0
	s_mov_b32 s0, 0
	v_mov_b32_e32 v3, v2
	s_waitcnt vmcnt(0)
	global_store_dwordx4 v[4:5], v[0:3], off
.LBB8_2123:
	s_andn2_b32 vcc_lo, exec_lo, s0
	s_cbranch_vccnz .LBB8_2125
; %bb.2124:
	s_waitcnt vmcnt(0)
	v_cvt_f32_f64_e32 v2, v[0:1]
	v_mov_b32_e32 v3, 0
	global_store_dwordx2 v[4:5], v[2:3], off
.LBB8_2125:
	s_mov_b32 s0, 0
.LBB8_2126:
	s_andn2_b32 vcc_lo, exec_lo, s0
	s_cbranch_vccnz .LBB8_2128
; %bb.2127:
	s_waitcnt vmcnt(0)
	v_and_or_b32 v2, 0x1ff, v1, v0
	v_lshrrev_b32_e32 v3, 8, v1
	v_bfe_u32 v6, v1, 20, 11
	v_cmp_ne_u32_e32 vcc_lo, 0, v2
	v_sub_nc_u32_e32 v7, 0x3f1, v6
	v_add_nc_u32_e32 v6, 0xfffffc10, v6
	v_cndmask_b32_e64 v2, 0, 1, vcc_lo
	v_and_or_b32 v2, 0xffe, v3, v2
	v_med3_i32 v3, v7, 0, 13
	v_or_b32_e32 v7, 0x1000, v2
	v_lshrrev_b32_e32 v8, v3, v7
	v_lshlrev_b32_e32 v3, v3, v8
	v_cmp_ne_u32_e32 vcc_lo, v3, v7
	v_lshl_or_b32 v7, v6, 12, v2
	v_cndmask_b32_e64 v3, 0, 1, vcc_lo
	v_cmp_gt_i32_e32 vcc_lo, 1, v6
	v_or_b32_e32 v3, v8, v3
	v_cndmask_b32_e32 v3, v7, v3, vcc_lo
	v_and_b32_e32 v7, 7, v3
	v_lshrrev_b32_e32 v3, 2, v3
	v_cmp_lt_i32_e32 vcc_lo, 5, v7
	v_cndmask_b32_e64 v8, 0, 1, vcc_lo
	v_cmp_eq_u32_e32 vcc_lo, 3, v7
	v_cndmask_b32_e64 v7, 0, 1, vcc_lo
	v_cmp_ne_u32_e32 vcc_lo, 0, v2
	v_or_b32_e32 v7, v7, v8
	v_mov_b32_e32 v8, 0x7e00
	v_add_nc_u32_e32 v3, v3, v7
	v_cndmask_b32_e32 v2, 0x7c00, v8, vcc_lo
	v_cmp_gt_i32_e32 vcc_lo, 31, v6
	v_cndmask_b32_e32 v3, 0x7c00, v3, vcc_lo
	v_cmp_eq_u32_e32 vcc_lo, 0x40f, v6
	v_cndmask_b32_e32 v2, v3, v2, vcc_lo
	v_lshrrev_b32_e32 v3, 16, v1
	v_and_or_b32 v2, 0x8000, v3, v2
	v_and_b32_e32 v2, 0xffff, v2
	global_store_dword v[4:5], v2, off
.LBB8_2128:
	s_mov_b32 s0, 0
.LBB8_2129:
	s_andn2_b32 vcc_lo, exec_lo, s0
	s_cbranch_vccnz .LBB8_2138
; %bb.2130:
	s_sext_i32_i16 s1, s6
	s_mov_b32 s0, -1
	s_cmp_lt_i32 s1, 6
	s_cbranch_scc1 .LBB8_2136
; %bb.2131:
	s_cmp_gt_i32 s1, 6
	s_cbranch_scc0 .LBB8_2133
; %bb.2132:
	s_mov_b32 s0, 0
	s_waitcnt vmcnt(0)
	global_store_dwordx2 v[4:5], v[0:1], off
.LBB8_2133:
	s_andn2_b32 vcc_lo, exec_lo, s0
	s_cbranch_vccnz .LBB8_2135
; %bb.2134:
	s_waitcnt vmcnt(0)
	v_cvt_f32_f64_e32 v2, v[0:1]
	global_store_dword v[4:5], v2, off
.LBB8_2135:
	s_mov_b32 s0, 0
.LBB8_2136:
	s_andn2_b32 vcc_lo, exec_lo, s0
	s_cbranch_vccnz .LBB8_2138
; %bb.2137:
	s_waitcnt vmcnt(0)
	v_and_or_b32 v2, 0x1ff, v1, v0
	v_lshrrev_b32_e32 v3, 8, v1
	v_bfe_u32 v6, v1, 20, 11
	v_cmp_ne_u32_e32 vcc_lo, 0, v2
	v_sub_nc_u32_e32 v7, 0x3f1, v6
	v_add_nc_u32_e32 v6, 0xfffffc10, v6
	v_cndmask_b32_e64 v2, 0, 1, vcc_lo
	v_and_or_b32 v2, 0xffe, v3, v2
	v_med3_i32 v3, v7, 0, 13
	v_or_b32_e32 v7, 0x1000, v2
	v_lshrrev_b32_e32 v8, v3, v7
	v_lshlrev_b32_e32 v3, v3, v8
	v_cmp_ne_u32_e32 vcc_lo, v3, v7
	v_lshl_or_b32 v7, v6, 12, v2
	v_cndmask_b32_e64 v3, 0, 1, vcc_lo
	v_cmp_gt_i32_e32 vcc_lo, 1, v6
	v_or_b32_e32 v3, v8, v3
	v_cndmask_b32_e32 v3, v7, v3, vcc_lo
	v_and_b32_e32 v7, 7, v3
	v_lshrrev_b32_e32 v3, 2, v3
	v_cmp_lt_i32_e32 vcc_lo, 5, v7
	v_cndmask_b32_e64 v8, 0, 1, vcc_lo
	v_cmp_eq_u32_e32 vcc_lo, 3, v7
	v_cndmask_b32_e64 v7, 0, 1, vcc_lo
	v_cmp_ne_u32_e32 vcc_lo, 0, v2
	v_or_b32_e32 v7, v7, v8
	v_mov_b32_e32 v8, 0x7e00
	v_add_nc_u32_e32 v3, v3, v7
	v_cndmask_b32_e32 v2, 0x7c00, v8, vcc_lo
	v_cmp_gt_i32_e32 vcc_lo, 31, v6
	v_cndmask_b32_e32 v3, 0x7c00, v3, vcc_lo
	v_cmp_eq_u32_e32 vcc_lo, 0x40f, v6
	v_cndmask_b32_e32 v2, v3, v2, vcc_lo
	v_lshrrev_b32_e32 v3, 16, v1
	v_and_or_b32 v2, 0x8000, v3, v2
	global_store_short v[4:5], v2, off
.LBB8_2138:
	s_mov_b32 s0, 0
.LBB8_2139:
	s_andn2_b32 vcc_lo, exec_lo, s0
	s_cbranch_vccnz .LBB8_2155
; %bb.2140:
	s_sext_i32_i16 s1, s6
	s_mov_b32 s0, -1
	s_cmp_lt_i32 s1, 2
	s_cbranch_scc1 .LBB8_2150
; %bb.2141:
	s_cmp_lt_i32 s1, 3
	s_cbranch_scc1 .LBB8_2147
; %bb.2142:
	s_cmp_gt_i32 s1, 3
	s_cbranch_scc0 .LBB8_2144
; %bb.2143:
	s_waitcnt vmcnt(0)
	v_trunc_f64_e32 v[2:3], v[0:1]
	s_mov_b32 s0, 0
	v_ldexp_f64 v[6:7], v[2:3], 0xffffffe0
	v_floor_f64_e32 v[6:7], v[6:7]
	v_fma_f64 v[2:3], 0xc1f00000, v[6:7], v[2:3]
	v_cvt_i32_f64_e32 v7, v[6:7]
	v_cvt_u32_f64_e32 v6, v[2:3]
	global_store_dwordx2 v[4:5], v[6:7], off
.LBB8_2144:
	s_andn2_b32 vcc_lo, exec_lo, s0
	s_cbranch_vccnz .LBB8_2146
; %bb.2145:
	s_waitcnt vmcnt(0)
	v_cvt_i32_f64_e32 v2, v[0:1]
	global_store_dword v[4:5], v2, off
.LBB8_2146:
	s_mov_b32 s0, 0
.LBB8_2147:
	s_andn2_b32 vcc_lo, exec_lo, s0
	s_cbranch_vccnz .LBB8_2149
; %bb.2148:
	s_waitcnt vmcnt(0)
	v_cvt_i32_f64_e32 v2, v[0:1]
	global_store_short v[4:5], v2, off
.LBB8_2149:
	s_mov_b32 s0, 0
.LBB8_2150:
	s_andn2_b32 vcc_lo, exec_lo, s0
	s_cbranch_vccnz .LBB8_2155
; %bb.2151:
	s_sext_i32_i16 s0, s6
	s_cmp_gt_i32 s0, 0
	s_mov_b32 s0, -1
	s_cbranch_scc0 .LBB8_2153
; %bb.2152:
	s_waitcnt vmcnt(0)
	v_cvt_i32_f64_e32 v2, v[0:1]
	s_mov_b32 s0, 0
	global_store_byte v[4:5], v2, off
.LBB8_2153:
	s_andn2_b32 vcc_lo, exec_lo, s0
	s_cbranch_vccnz .LBB8_2155
; %bb.2154:
	s_waitcnt vmcnt(0)
	v_trunc_f64_e32 v[0:1], v[0:1]
	v_ldexp_f64 v[2:3], v[0:1], 0xffffffe0
	v_floor_f64_e32 v[2:3], v[2:3]
	v_fma_f64 v[0:1], 0xc1f00000, v[2:3], v[0:1]
	v_cvt_u32_f64_e32 v0, v[0:1]
	global_store_byte v[4:5], v0, off
	s_endpgm
.LBB8_2155:
	s_endpgm
.LBB8_2156:
	s_mov_b32 s3, 0
	s_mov_b32 s0, -1
	s_branch .LBB8_2112
.LBB8_2157:
	s_or_b32 s1, s1, exec_lo
	s_trap 2
	s_cbranch_execz .LBB8_1624
	s_branch .LBB8_1625
.LBB8_2158:
	s_andn2_saveexec_b32 s7, s7
	s_cbranch_execz .LBB8_1706
.LBB8_2159:
	v_add_f32_e64 v3, 0x46000000, |v2|
	s_andn2_b32 s5, s5, exec_lo
	v_and_b32_e32 v3, 0xff, v3
	v_cmp_ne_u32_e32 vcc_lo, 0, v3
	s_and_b32 s10, vcc_lo, exec_lo
	s_or_b32 s5, s5, s10
	s_or_b32 exec_lo, exec_lo, s7
	v_mov_b32_e32 v24, 0
	s_and_saveexec_b32 s7, s5
	s_cbranch_execnz .LBB8_1707
	s_branch .LBB8_1708
.LBB8_2160:
	s_or_b32 s1, s1, exec_lo
	s_trap 2
	s_cbranch_execz .LBB8_1754
	s_branch .LBB8_1755
.LBB8_2161:
	s_andn2_saveexec_b32 s5, s5
	s_cbranch_execz .LBB8_1719
.LBB8_2162:
	v_add_f32_e64 v3, 0x42800000, |v2|
	s_andn2_b32 s4, s4, exec_lo
	v_and_b32_e32 v3, 0xff, v3
	v_cmp_ne_u32_e32 vcc_lo, 0, v3
	s_and_b32 s7, vcc_lo, exec_lo
	s_or_b32 s4, s4, s7
	s_or_b32 exec_lo, exec_lo, s5
	v_mov_b32_e32 v24, 0
	s_and_saveexec_b32 s5, s4
	s_cbranch_execnz .LBB8_1720
	s_branch .LBB8_1721
.LBB8_2163:
	s_andn2_saveexec_b32 s7, s7
	s_cbranch_execz .LBB8_1825
.LBB8_2164:
	v_add_f32_e64 v3, 0x46000000, |v2|
	s_andn2_b32 s5, s5, exec_lo
	v_and_b32_e32 v3, 0xff, v3
	v_cmp_ne_u32_e32 vcc_lo, 0, v3
	s_and_b32 s10, vcc_lo, exec_lo
	s_or_b32 s5, s5, s10
	s_or_b32 exec_lo, exec_lo, s7
	v_mov_b32_e32 v13, 0
	s_and_saveexec_b32 s7, s5
	s_cbranch_execnz .LBB8_1826
	s_branch .LBB8_1827
.LBB8_2165:
	s_or_b32 s1, s1, exec_lo
	s_trap 2
	s_cbranch_execz .LBB8_1873
	s_branch .LBB8_1874
.LBB8_2166:
	s_andn2_saveexec_b32 s5, s5
	s_cbranch_execz .LBB8_1838
.LBB8_2167:
	v_add_f32_e64 v3, 0x42800000, |v2|
	s_andn2_b32 s4, s4, exec_lo
	v_and_b32_e32 v3, 0xff, v3
	v_cmp_ne_u32_e32 vcc_lo, 0, v3
	s_and_b32 s7, vcc_lo, exec_lo
	s_or_b32 s4, s4, s7
	s_or_b32 exec_lo, exec_lo, s5
	v_mov_b32_e32 v13, 0
	s_and_saveexec_b32 s5, s4
	s_cbranch_execnz .LBB8_1839
	s_branch .LBB8_1840
.LBB8_2168:
	s_andn2_saveexec_b32 s7, s7
	s_cbranch_execz .LBB8_1944
.LBB8_2169:
	v_add_f32_e64 v3, 0x46000000, |v2|
	s_andn2_b32 s5, s5, exec_lo
	v_and_b32_e32 v3, 0xff, v3
	v_cmp_ne_u32_e32 vcc_lo, 0, v3
	s_and_b32 s10, vcc_lo, exec_lo
	s_or_b32 s5, s5, s10
	s_or_b32 exec_lo, exec_lo, s7
	v_mov_b32_e32 v7, 0
	s_and_saveexec_b32 s7, s5
	s_cbranch_execnz .LBB8_1945
	s_branch .LBB8_1946
.LBB8_2170:
	s_or_b32 s1, s1, exec_lo
	s_trap 2
	s_cbranch_execz .LBB8_1992
	s_branch .LBB8_1993
.LBB8_2171:
	s_andn2_saveexec_b32 s5, s5
	s_cbranch_execz .LBB8_1957
.LBB8_2172:
	v_add_f32_e64 v3, 0x42800000, |v2|
	s_andn2_b32 s4, s4, exec_lo
	v_and_b32_e32 v3, 0xff, v3
	v_cmp_ne_u32_e32 vcc_lo, 0, v3
	s_and_b32 s7, vcc_lo, exec_lo
	s_or_b32 s4, s4, s7
	s_or_b32 exec_lo, exec_lo, s5
	v_mov_b32_e32 v7, 0
	s_and_saveexec_b32 s5, s4
	s_cbranch_execnz .LBB8_1958
	s_branch .LBB8_1959
.LBB8_2173:
	s_andn2_saveexec_b32 s7, s7
	s_cbranch_execz .LBB8_2064
.LBB8_2174:
	v_add_f32_e64 v3, 0x46000000, |v2|
	s_andn2_b32 s5, s5, exec_lo
	v_and_b32_e32 v3, 0xff, v3
	v_cmp_ne_u32_e32 vcc_lo, 0, v3
	s_and_b32 s8, vcc_lo, exec_lo
	s_or_b32 s5, s5, s8
	s_or_b32 exec_lo, exec_lo, s7
	v_mov_b32_e32 v6, 0
	s_and_saveexec_b32 s7, s5
	s_cbranch_execnz .LBB8_2065
	s_branch .LBB8_2066
.LBB8_2175:
	s_mov_b32 s3, 0
	s_or_b32 s1, s1, exec_lo
	s_trap 2
	s_branch .LBB8_2110
.LBB8_2176:
	s_andn2_saveexec_b32 s5, s5
	s_cbranch_execz .LBB8_2076
.LBB8_2177:
	v_add_f32_e64 v3, 0x42800000, |v2|
	s_andn2_b32 s4, s4, exec_lo
	v_and_b32_e32 v3, 0xff, v3
	v_cmp_ne_u32_e32 vcc_lo, 0, v3
	s_and_b32 s7, vcc_lo, exec_lo
	s_or_b32 s4, s4, s7
	s_or_b32 exec_lo, exec_lo, s5
	v_mov_b32_e32 v6, 0
	s_and_saveexec_b32 s5, s4
	s_cbranch_execnz .LBB8_2077
	s_branch .LBB8_2078
	.section	.rodata,"a",@progbits
	.p2align	6, 0x0
	.amdhsa_kernel _ZN2at6native32elementwise_kernel_manual_unrollILi128ELi4EZNS0_15gpu_kernel_implIZZZNS0_12_GLOBAL__N_139_amp_non_finite_check_and_unscale_cuda_ERNS_6TensorES5_RKS4_ENKUlvE_clEvENKUlvE_clEvEUldE_EEvRNS_18TensorIteratorBaseERKT_EUlibE0_EEviT1_
		.amdhsa_group_segment_fixed_size 0
		.amdhsa_private_segment_fixed_size 0
		.amdhsa_kernarg_size 376
		.amdhsa_user_sgpr_count 6
		.amdhsa_user_sgpr_private_segment_buffer 1
		.amdhsa_user_sgpr_dispatch_ptr 0
		.amdhsa_user_sgpr_queue_ptr 0
		.amdhsa_user_sgpr_kernarg_segment_ptr 1
		.amdhsa_user_sgpr_dispatch_id 0
		.amdhsa_user_sgpr_flat_scratch_init 0
		.amdhsa_user_sgpr_private_segment_size 0
		.amdhsa_wavefront_size32 1
		.amdhsa_uses_dynamic_stack 0
		.amdhsa_system_sgpr_private_segment_wavefront_offset 0
		.amdhsa_system_sgpr_workgroup_id_x 1
		.amdhsa_system_sgpr_workgroup_id_y 0
		.amdhsa_system_sgpr_workgroup_id_z 0
		.amdhsa_system_sgpr_workgroup_info 0
		.amdhsa_system_vgpr_workitem_id 0
		.amdhsa_next_free_vgpr 27
		.amdhsa_next_free_sgpr 72
		.amdhsa_reserve_vcc 1
		.amdhsa_reserve_flat_scratch 0
		.amdhsa_float_round_mode_32 0
		.amdhsa_float_round_mode_16_64 0
		.amdhsa_float_denorm_mode_32 3
		.amdhsa_float_denorm_mode_16_64 3
		.amdhsa_dx10_clamp 1
		.amdhsa_ieee_mode 1
		.amdhsa_fp16_overflow 0
		.amdhsa_workgroup_processor_mode 1
		.amdhsa_memory_ordered 1
		.amdhsa_forward_progress 1
		.amdhsa_shared_vgpr_count 0
		.amdhsa_exception_fp_ieee_invalid_op 0
		.amdhsa_exception_fp_denorm_src 0
		.amdhsa_exception_fp_ieee_div_zero 0
		.amdhsa_exception_fp_ieee_overflow 0
		.amdhsa_exception_fp_ieee_underflow 0
		.amdhsa_exception_fp_ieee_inexact 0
		.amdhsa_exception_int_div_zero 0
	.end_amdhsa_kernel
	.section	.text._ZN2at6native32elementwise_kernel_manual_unrollILi128ELi4EZNS0_15gpu_kernel_implIZZZNS0_12_GLOBAL__N_139_amp_non_finite_check_and_unscale_cuda_ERNS_6TensorES5_RKS4_ENKUlvE_clEvENKUlvE_clEvEUldE_EEvRNS_18TensorIteratorBaseERKT_EUlibE0_EEviT1_,"axG",@progbits,_ZN2at6native32elementwise_kernel_manual_unrollILi128ELi4EZNS0_15gpu_kernel_implIZZZNS0_12_GLOBAL__N_139_amp_non_finite_check_and_unscale_cuda_ERNS_6TensorES5_RKS4_ENKUlvE_clEvENKUlvE_clEvEUldE_EEvRNS_18TensorIteratorBaseERKT_EUlibE0_EEviT1_,comdat
.Lfunc_end8:
	.size	_ZN2at6native32elementwise_kernel_manual_unrollILi128ELi4EZNS0_15gpu_kernel_implIZZZNS0_12_GLOBAL__N_139_amp_non_finite_check_and_unscale_cuda_ERNS_6TensorES5_RKS4_ENKUlvE_clEvENKUlvE_clEvEUldE_EEvRNS_18TensorIteratorBaseERKT_EUlibE0_EEviT1_, .Lfunc_end8-_ZN2at6native32elementwise_kernel_manual_unrollILi128ELi4EZNS0_15gpu_kernel_implIZZZNS0_12_GLOBAL__N_139_amp_non_finite_check_and_unscale_cuda_ERNS_6TensorES5_RKS4_ENKUlvE_clEvENKUlvE_clEvEUldE_EEvRNS_18TensorIteratorBaseERKT_EUlibE0_EEviT1_
                                        ; -- End function
	.set _ZN2at6native32elementwise_kernel_manual_unrollILi128ELi4EZNS0_15gpu_kernel_implIZZZNS0_12_GLOBAL__N_139_amp_non_finite_check_and_unscale_cuda_ERNS_6TensorES5_RKS4_ENKUlvE_clEvENKUlvE_clEvEUldE_EEvRNS_18TensorIteratorBaseERKT_EUlibE0_EEviT1_.num_vgpr, 27
	.set _ZN2at6native32elementwise_kernel_manual_unrollILi128ELi4EZNS0_15gpu_kernel_implIZZZNS0_12_GLOBAL__N_139_amp_non_finite_check_and_unscale_cuda_ERNS_6TensorES5_RKS4_ENKUlvE_clEvENKUlvE_clEvEUldE_EEvRNS_18TensorIteratorBaseERKT_EUlibE0_EEviT1_.num_agpr, 0
	.set _ZN2at6native32elementwise_kernel_manual_unrollILi128ELi4EZNS0_15gpu_kernel_implIZZZNS0_12_GLOBAL__N_139_amp_non_finite_check_and_unscale_cuda_ERNS_6TensorES5_RKS4_ENKUlvE_clEvENKUlvE_clEvEUldE_EEvRNS_18TensorIteratorBaseERKT_EUlibE0_EEviT1_.numbered_sgpr, 72
	.set _ZN2at6native32elementwise_kernel_manual_unrollILi128ELi4EZNS0_15gpu_kernel_implIZZZNS0_12_GLOBAL__N_139_amp_non_finite_check_and_unscale_cuda_ERNS_6TensorES5_RKS4_ENKUlvE_clEvENKUlvE_clEvEUldE_EEvRNS_18TensorIteratorBaseERKT_EUlibE0_EEviT1_.num_named_barrier, 0
	.set _ZN2at6native32elementwise_kernel_manual_unrollILi128ELi4EZNS0_15gpu_kernel_implIZZZNS0_12_GLOBAL__N_139_amp_non_finite_check_and_unscale_cuda_ERNS_6TensorES5_RKS4_ENKUlvE_clEvENKUlvE_clEvEUldE_EEvRNS_18TensorIteratorBaseERKT_EUlibE0_EEviT1_.private_seg_size, 0
	.set _ZN2at6native32elementwise_kernel_manual_unrollILi128ELi4EZNS0_15gpu_kernel_implIZZZNS0_12_GLOBAL__N_139_amp_non_finite_check_and_unscale_cuda_ERNS_6TensorES5_RKS4_ENKUlvE_clEvENKUlvE_clEvEUldE_EEvRNS_18TensorIteratorBaseERKT_EUlibE0_EEviT1_.uses_vcc, 1
	.set _ZN2at6native32elementwise_kernel_manual_unrollILi128ELi4EZNS0_15gpu_kernel_implIZZZNS0_12_GLOBAL__N_139_amp_non_finite_check_and_unscale_cuda_ERNS_6TensorES5_RKS4_ENKUlvE_clEvENKUlvE_clEvEUldE_EEvRNS_18TensorIteratorBaseERKT_EUlibE0_EEviT1_.uses_flat_scratch, 0
	.set _ZN2at6native32elementwise_kernel_manual_unrollILi128ELi4EZNS0_15gpu_kernel_implIZZZNS0_12_GLOBAL__N_139_amp_non_finite_check_and_unscale_cuda_ERNS_6TensorES5_RKS4_ENKUlvE_clEvENKUlvE_clEvEUldE_EEvRNS_18TensorIteratorBaseERKT_EUlibE0_EEviT1_.has_dyn_sized_stack, 0
	.set _ZN2at6native32elementwise_kernel_manual_unrollILi128ELi4EZNS0_15gpu_kernel_implIZZZNS0_12_GLOBAL__N_139_amp_non_finite_check_and_unscale_cuda_ERNS_6TensorES5_RKS4_ENKUlvE_clEvENKUlvE_clEvEUldE_EEvRNS_18TensorIteratorBaseERKT_EUlibE0_EEviT1_.has_recursion, 0
	.set _ZN2at6native32elementwise_kernel_manual_unrollILi128ELi4EZNS0_15gpu_kernel_implIZZZNS0_12_GLOBAL__N_139_amp_non_finite_check_and_unscale_cuda_ERNS_6TensorES5_RKS4_ENKUlvE_clEvENKUlvE_clEvEUldE_EEvRNS_18TensorIteratorBaseERKT_EUlibE0_EEviT1_.has_indirect_call, 0
	.section	.AMDGPU.csdata,"",@progbits
; Kernel info:
; codeLenInByte = 40756
; TotalNumSgprs: 74
; NumVgprs: 27
; ScratchSize: 0
; MemoryBound: 1
; FloatMode: 240
; IeeeMode: 1
; LDSByteSize: 0 bytes/workgroup (compile time only)
; SGPRBlocks: 0
; VGPRBlocks: 3
; NumSGPRsForWavesPerEU: 74
; NumVGPRsForWavesPerEU: 27
; Occupancy: 16
; WaveLimiterHint : 1
; COMPUTE_PGM_RSRC2:SCRATCH_EN: 0
; COMPUTE_PGM_RSRC2:USER_SGPR: 6
; COMPUTE_PGM_RSRC2:TRAP_HANDLER: 0
; COMPUTE_PGM_RSRC2:TGID_X_EN: 1
; COMPUTE_PGM_RSRC2:TGID_Y_EN: 0
; COMPUTE_PGM_RSRC2:TGID_Z_EN: 0
; COMPUTE_PGM_RSRC2:TIDIG_COMP_CNT: 0
	.section	.text._ZN2at6native29vectorized_elementwise_kernelILi16EZZZNS0_12_GLOBAL__N_139_amp_non_finite_check_and_unscale_cuda_ERNS_6TensorES4_RKS3_ENKUlvE_clEvENKUlvE0_clEvEUlfE_St5arrayIPcLm2EEEEviT0_T1_,"axG",@progbits,_ZN2at6native29vectorized_elementwise_kernelILi16EZZZNS0_12_GLOBAL__N_139_amp_non_finite_check_and_unscale_cuda_ERNS_6TensorES4_RKS3_ENKUlvE_clEvENKUlvE0_clEvEUlfE_St5arrayIPcLm2EEEEviT0_T1_,comdat
	.globl	_ZN2at6native29vectorized_elementwise_kernelILi16EZZZNS0_12_GLOBAL__N_139_amp_non_finite_check_and_unscale_cuda_ERNS_6TensorES4_RKS3_ENKUlvE_clEvENKUlvE0_clEvEUlfE_St5arrayIPcLm2EEEEviT0_T1_ ; -- Begin function _ZN2at6native29vectorized_elementwise_kernelILi16EZZZNS0_12_GLOBAL__N_139_amp_non_finite_check_and_unscale_cuda_ERNS_6TensorES4_RKS3_ENKUlvE_clEvENKUlvE0_clEvEUlfE_St5arrayIPcLm2EEEEviT0_T1_
	.p2align	8
	.type	_ZN2at6native29vectorized_elementwise_kernelILi16EZZZNS0_12_GLOBAL__N_139_amp_non_finite_check_and_unscale_cuda_ERNS_6TensorES4_RKS3_ENKUlvE_clEvENKUlvE0_clEvEUlfE_St5arrayIPcLm2EEEEviT0_T1_,@function
_ZN2at6native29vectorized_elementwise_kernelILi16EZZZNS0_12_GLOBAL__N_139_amp_non_finite_check_and_unscale_cuda_ERNS_6TensorES4_RKS3_ENKUlvE_clEvENKUlvE0_clEvEUlfE_St5arrayIPcLm2EEEEviT0_T1_: ; @_ZN2at6native29vectorized_elementwise_kernelILi16EZZZNS0_12_GLOBAL__N_139_amp_non_finite_check_and_unscale_cuda_ERNS_6TensorES4_RKS3_ENKUlvE_clEvENKUlvE0_clEvEUlfE_St5arrayIPcLm2EEEEviT0_T1_
; %bb.0:
	s_clause 0x1
	s_load_dword s0, s[4:5], 0x0
	s_load_dwordx8 s[8:15], s[4:5], 0x8
	s_lshl_b32 s2, s6, 10
	s_waitcnt lgkmcnt(0)
	s_sub_i32 s4, s0, s2
	s_mov_b32 s0, -1
	s_cmpk_gt_i32 s4, 0x3ff
	s_cbranch_scc0 .LBB9_10
; %bb.1:
	s_ashr_i32 s3, s2, 31
	v_lshlrev_b32_e32 v5, 4, v0
	s_lshl_b64 s[0:1], s[2:3], 2
	v_mov_b32_e32 v6, 0
	s_add_u32 s6, s14, s0
	s_addc_u32 s7, s15, s1
	s_mov_b32 s3, exec_lo
	global_load_dwordx4 v[1:4], v5, s[6:7]
	s_waitcnt vmcnt(0)
	v_cmpx_nlg_f32_e64 0x7f800000, |v1|
	s_cbranch_execz .LBB9_3
; %bb.2:
	v_mov_b32_e32 v7, 1.0
	global_store_dword v6, v7, s[8:9]
.LBB9_3:
	s_or_b32 exec_lo, exec_lo, s3
	global_load_dword v6, v6, s[10:11]
	s_mov_b32 s3, exec_lo
	s_waitcnt vmcnt(0)
	v_mov_b32_e32 v7, v6
	v_cmpx_nlg_f32_e64 0x7f800000, |v2|
	s_cbranch_execz .LBB9_5
; %bb.4:
	v_mov_b32_e32 v7, 0
	v_mov_b32_e32 v8, 1.0
	global_store_dword v7, v8, s[8:9]
	global_load_dword v7, v7, s[10:11]
.LBB9_5:
	s_or_b32 exec_lo, exec_lo, s3
	s_waitcnt vmcnt(0)
	v_mov_b32_e32 v8, v7
	s_mov_b32 s3, exec_lo
	v_cmpx_nlg_f32_e64 0x7f800000, |v3|
	s_cbranch_execz .LBB9_7
; %bb.6:
	v_mov_b32_e32 v8, 0
	v_mov_b32_e32 v9, 1.0
	global_store_dword v8, v9, s[8:9]
	global_load_dword v8, v8, s[10:11]
.LBB9_7:
	s_or_b32 exec_lo, exec_lo, s3
	s_waitcnt vmcnt(0)
	v_mov_b32_e32 v9, v8
	s_mov_b32 s3, exec_lo
	v_cmpx_nlg_f32_e64 0x7f800000, |v4|
	s_cbranch_execz .LBB9_9
; %bb.8:
	v_mov_b32_e32 v9, 0
	v_mov_b32_e32 v10, 1.0
	global_store_dword v9, v10, s[8:9]
	global_load_dword v9, v9, s[10:11]
.LBB9_9:
	s_or_b32 exec_lo, exec_lo, s3
	v_mul_f32_e32 v10, v3, v8
	v_cmp_eq_f32_e32 vcc_lo, 1.0, v8
	v_mul_f32_e32 v11, v2, v7
	v_mul_f32_e32 v12, v1, v6
	s_waitcnt vmcnt(0)
	v_mul_f32_e32 v13, v4, v9
	s_add_u32 s6, s12, s0
	v_cndmask_b32_e32 v3, v10, v3, vcc_lo
	v_cmp_eq_f32_e32 vcc_lo, 1.0, v7
	s_addc_u32 s7, s13, s1
	s_mov_b32 s0, 0
	v_cndmask_b32_e32 v2, v11, v2, vcc_lo
	v_cmp_eq_f32_e32 vcc_lo, 1.0, v6
	v_cndmask_b32_e32 v1, v12, v1, vcc_lo
	v_cmp_eq_f32_e32 vcc_lo, 1.0, v9
	v_cndmask_b32_e32 v4, v13, v4, vcc_lo
	global_store_dwordx4 v5, v[1:4], s[6:7]
.LBB9_10:
	s_and_b32 vcc_lo, exec_lo, s0
	s_cbranch_vccz .LBB9_37
; %bb.11:
	v_cmp_gt_i32_e32 vcc_lo, s4, v0
	v_mov_b32_e32 v6, 0
	v_or_b32_e32 v1, s2, v0
	v_or_b32_e32 v3, 0x100, v0
	v_mov_b32_e32 v10, 0
	v_mov_b32_e32 v4, v0
	s_and_saveexec_b32 s1, vcc_lo
	s_cbranch_execz .LBB9_13
; %bb.12:
	v_mov_b32_e32 v2, 0
	v_lshlrev_b64 v[4:5], 2, v[1:2]
	v_add_co_u32 v4, s0, s14, v4
	v_add_co_ci_u32_e64 v5, null, s15, v5, s0
	global_load_dword v10, v[4:5], off
	v_or_b32_e32 v4, 0x100, v0
.LBB9_13:
	s_or_b32 exec_lo, exec_lo, s1
	s_mov_b32 s1, exec_lo
	v_cmpx_gt_i32_e64 s4, v4
	s_cbranch_execz .LBB9_15
; %bb.14:
	v_add_nc_u32_e32 v5, s2, v4
	v_mov_b32_e32 v6, 0
	v_add_nc_u32_e32 v4, 0x100, v4
	v_lshlrev_b64 v[5:6], 2, v[5:6]
	v_add_co_u32 v5, s0, s14, v5
	v_add_co_ci_u32_e64 v6, null, s15, v6, s0
	global_load_dword v6, v[5:6], off
.LBB9_15:
	s_or_b32 exec_lo, exec_lo, s1
	v_mov_b32_e32 v2, 0
	v_mov_b32_e32 v9, 0
	s_mov_b32 s1, exec_lo
	v_cmpx_gt_i32_e64 s4, v4
	s_cbranch_execz .LBB9_17
; %bb.16:
	v_add_nc_u32_e32 v7, s2, v4
	v_mov_b32_e32 v8, 0
	v_add_nc_u32_e32 v4, 0x100, v4
	v_lshlrev_b64 v[7:8], 2, v[7:8]
	v_add_co_u32 v7, s0, s14, v7
	v_add_co_ci_u32_e64 v8, null, s15, v8, s0
	global_load_dword v9, v[7:8], off
.LBB9_17:
	s_or_b32 exec_lo, exec_lo, s1
	s_mov_b32 s1, exec_lo
	v_cmpx_gt_i32_e64 s4, v4
	s_cbranch_execz .LBB9_19
; %bb.18:
	v_add_nc_u32_e32 v4, s2, v4
	v_mov_b32_e32 v5, 0
	v_lshlrev_b64 v[4:5], 2, v[4:5]
	v_add_co_u32 v4, s0, s14, v4
	v_add_co_ci_u32_e64 v5, null, s15, v5, s0
	global_load_dword v2, v[4:5], off
.LBB9_19:
	s_or_b32 exec_lo, exec_lo, s1
	v_mov_b32_e32 v8, 0
	v_mov_b32_e32 v7, v8
	;; [unrolled: 1-line block ×4, first 2 shown]
	s_and_saveexec_b32 s1, vcc_lo
	s_cbranch_execz .LBB9_23
; %bb.20:
	s_mov_b32 s0, exec_lo
	s_waitcnt vmcnt(0)
	v_cmpx_nlg_f32_e64 0x7f800000, |v10|
	s_cbranch_execz .LBB9_22
; %bb.21:
	v_mov_b32_e32 v4, 0
	v_mov_b32_e32 v5, 1.0
	global_store_dword v4, v5, s[8:9]
.LBB9_22:
	s_or_b32 exec_lo, exec_lo, s0
	v_mov_b32_e32 v7, 0
	global_load_dword v4, v7, s[10:11]
	v_mov_b32_e32 v5, v7
	s_waitcnt vmcnt(0)
	v_mul_f32_e32 v8, v10, v4
	v_cmp_eq_f32_e64 s0, 1.0, v4
	v_mov_b32_e32 v4, v7
	v_cndmask_b32_e64 v8, v8, v10, s0
.LBB9_23:
	s_or_b32 exec_lo, exec_lo, s1
	s_mov_b32 s1, exec_lo
	v_cmpx_gt_i32_e64 s4, v3
	s_cbranch_execz .LBB9_27
; %bb.24:
	s_mov_b32 s0, exec_lo
	s_waitcnt vmcnt(0)
	v_cmpx_nlg_f32_e64 0x7f800000, |v6|
	s_cbranch_execz .LBB9_26
; %bb.25:
	v_mov_b32_e32 v7, 0
	v_mov_b32_e32 v10, 1.0
	global_store_dword v7, v10, s[8:9]
.LBB9_26:
	s_or_b32 exec_lo, exec_lo, s0
	v_mov_b32_e32 v7, 0
	global_load_dword v7, v7, s[10:11]
	s_waitcnt vmcnt(0)
	v_mul_f32_e32 v10, v6, v7
	v_cmp_eq_f32_e64 s0, 1.0, v7
	v_cndmask_b32_e64 v7, v10, v6, s0
.LBB9_27:
	s_or_b32 exec_lo, exec_lo, s1
	s_waitcnt vmcnt(0)
	v_or_b32_e32 v6, 0x200, v0
	s_mov_b32 s1, exec_lo
	v_cmpx_gt_i32_e64 s4, v6
	s_cbranch_execz .LBB9_31
; %bb.28:
	s_mov_b32 s0, exec_lo
	v_cmpx_nlg_f32_e64 0x7f800000, |v9|
	s_cbranch_execz .LBB9_30
; %bb.29:
	v_mov_b32_e32 v5, 0
	v_mov_b32_e32 v6, 1.0
	global_store_dword v5, v6, s[8:9]
.LBB9_30:
	s_or_b32 exec_lo, exec_lo, s0
	v_mov_b32_e32 v5, 0
	global_load_dword v5, v5, s[10:11]
	s_waitcnt vmcnt(0)
	v_mul_f32_e32 v6, v9, v5
	v_cmp_eq_f32_e64 s0, 1.0, v5
	v_cndmask_b32_e64 v5, v6, v9, s0
.LBB9_31:
	s_or_b32 exec_lo, exec_lo, s1
	v_or_b32_e32 v6, 0x300, v0
	s_mov_b32 s1, exec_lo
	v_cmpx_gt_i32_e64 s4, v6
	s_cbranch_execnz .LBB9_38
; %bb.32:
	s_or_b32 exec_lo, exec_lo, s1
	s_and_saveexec_b32 s0, vcc_lo
	s_xor_b32 s0, exec_lo, s0
	s_cbranch_execnz .LBB9_41
.LBB9_33:
	s_or_b32 exec_lo, exec_lo, s0
	s_mov_b32 s0, exec_lo
	v_cmpx_gt_i32_e64 s4, v0
	s_cbranch_execnz .LBB9_42
.LBB9_34:
	s_or_b32 exec_lo, exec_lo, s0
	s_mov_b32 s0, exec_lo
	v_cmpx_gt_i32_e64 s4, v0
	s_cbranch_execnz .LBB9_43
.LBB9_35:
	s_or_b32 exec_lo, exec_lo, s0
	s_mov_b32 s0, exec_lo
	v_cmpx_gt_i32_e64 s4, v0
	s_cbranch_execz .LBB9_37
.LBB9_36:
	v_add_nc_u32_e32 v0, s2, v0
	v_mov_b32_e32 v1, 0
	v_lshlrev_b64 v[0:1], 2, v[0:1]
	v_add_co_u32 v0, vcc_lo, s12, v0
	v_add_co_ci_u32_e64 v1, null, s13, v1, vcc_lo
	global_store_dword v[0:1], v4, off
.LBB9_37:
	s_endpgm
.LBB9_38:
	s_mov_b32 s0, exec_lo
	v_cmpx_nlg_f32_e64 0x7f800000, |v2|
	s_cbranch_execz .LBB9_40
; %bb.39:
	v_mov_b32_e32 v4, 0
	v_mov_b32_e32 v6, 1.0
	global_store_dword v4, v6, s[8:9]
.LBB9_40:
	s_or_b32 exec_lo, exec_lo, s0
	v_mov_b32_e32 v4, 0
	global_load_dword v4, v4, s[10:11]
	s_waitcnt vmcnt(0)
	v_mul_f32_e32 v6, v2, v4
	v_cmp_eq_f32_e64 s0, 1.0, v4
	v_cndmask_b32_e64 v4, v6, v2, s0
	s_or_b32 exec_lo, exec_lo, s1
	s_and_saveexec_b32 s0, vcc_lo
	s_xor_b32 s0, exec_lo, s0
	s_cbranch_execz .LBB9_33
.LBB9_41:
	v_mov_b32_e32 v2, 0
	v_lshlrev_b64 v[0:1], 2, v[1:2]
	v_add_co_u32 v9, vcc_lo, s12, v0
	v_add_co_ci_u32_e64 v10, null, s13, v1, vcc_lo
	v_mov_b32_e32 v0, v3
	global_store_dword v[9:10], v8, off
	s_or_b32 exec_lo, exec_lo, s0
	s_mov_b32 s0, exec_lo
	v_cmpx_gt_i32_e64 s4, v0
	s_cbranch_execz .LBB9_34
.LBB9_42:
	v_add_nc_u32_e32 v1, s2, v0
	v_mov_b32_e32 v2, 0
	v_add_nc_u32_e32 v0, 0x100, v0
	v_lshlrev_b64 v[1:2], 2, v[1:2]
	v_add_co_u32 v1, vcc_lo, s12, v1
	v_add_co_ci_u32_e64 v2, null, s13, v2, vcc_lo
	global_store_dword v[1:2], v7, off
	s_or_b32 exec_lo, exec_lo, s0
	s_mov_b32 s0, exec_lo
	v_cmpx_gt_i32_e64 s4, v0
	s_cbranch_execz .LBB9_35
.LBB9_43:
	v_add_nc_u32_e32 v1, s2, v0
	v_mov_b32_e32 v2, 0
	v_add_nc_u32_e32 v0, 0x100, v0
	v_lshlrev_b64 v[1:2], 2, v[1:2]
	v_add_co_u32 v1, vcc_lo, s12, v1
	v_add_co_ci_u32_e64 v2, null, s13, v2, vcc_lo
	global_store_dword v[1:2], v5, off
	s_or_b32 exec_lo, exec_lo, s0
	s_mov_b32 s0, exec_lo
	v_cmpx_gt_i32_e64 s4, v0
	s_cbranch_execnz .LBB9_36
	s_branch .LBB9_37
	.section	.rodata,"a",@progbits
	.p2align	6, 0x0
	.amdhsa_kernel _ZN2at6native29vectorized_elementwise_kernelILi16EZZZNS0_12_GLOBAL__N_139_amp_non_finite_check_and_unscale_cuda_ERNS_6TensorES4_RKS3_ENKUlvE_clEvENKUlvE0_clEvEUlfE_St5arrayIPcLm2EEEEviT0_T1_
		.amdhsa_group_segment_fixed_size 0
		.amdhsa_private_segment_fixed_size 0
		.amdhsa_kernarg_size 40
		.amdhsa_user_sgpr_count 6
		.amdhsa_user_sgpr_private_segment_buffer 1
		.amdhsa_user_sgpr_dispatch_ptr 0
		.amdhsa_user_sgpr_queue_ptr 0
		.amdhsa_user_sgpr_kernarg_segment_ptr 1
		.amdhsa_user_sgpr_dispatch_id 0
		.amdhsa_user_sgpr_flat_scratch_init 0
		.amdhsa_user_sgpr_private_segment_size 0
		.amdhsa_wavefront_size32 1
		.amdhsa_uses_dynamic_stack 0
		.amdhsa_system_sgpr_private_segment_wavefront_offset 0
		.amdhsa_system_sgpr_workgroup_id_x 1
		.amdhsa_system_sgpr_workgroup_id_y 0
		.amdhsa_system_sgpr_workgroup_id_z 0
		.amdhsa_system_sgpr_workgroup_info 0
		.amdhsa_system_vgpr_workitem_id 0
		.amdhsa_next_free_vgpr 14
		.amdhsa_next_free_sgpr 16
		.amdhsa_reserve_vcc 1
		.amdhsa_reserve_flat_scratch 0
		.amdhsa_float_round_mode_32 0
		.amdhsa_float_round_mode_16_64 0
		.amdhsa_float_denorm_mode_32 3
		.amdhsa_float_denorm_mode_16_64 3
		.amdhsa_dx10_clamp 1
		.amdhsa_ieee_mode 1
		.amdhsa_fp16_overflow 0
		.amdhsa_workgroup_processor_mode 1
		.amdhsa_memory_ordered 1
		.amdhsa_forward_progress 1
		.amdhsa_shared_vgpr_count 0
		.amdhsa_exception_fp_ieee_invalid_op 0
		.amdhsa_exception_fp_denorm_src 0
		.amdhsa_exception_fp_ieee_div_zero 0
		.amdhsa_exception_fp_ieee_overflow 0
		.amdhsa_exception_fp_ieee_underflow 0
		.amdhsa_exception_fp_ieee_inexact 0
		.amdhsa_exception_int_div_zero 0
	.end_amdhsa_kernel
	.section	.text._ZN2at6native29vectorized_elementwise_kernelILi16EZZZNS0_12_GLOBAL__N_139_amp_non_finite_check_and_unscale_cuda_ERNS_6TensorES4_RKS3_ENKUlvE_clEvENKUlvE0_clEvEUlfE_St5arrayIPcLm2EEEEviT0_T1_,"axG",@progbits,_ZN2at6native29vectorized_elementwise_kernelILi16EZZZNS0_12_GLOBAL__N_139_amp_non_finite_check_and_unscale_cuda_ERNS_6TensorES4_RKS3_ENKUlvE_clEvENKUlvE0_clEvEUlfE_St5arrayIPcLm2EEEEviT0_T1_,comdat
.Lfunc_end9:
	.size	_ZN2at6native29vectorized_elementwise_kernelILi16EZZZNS0_12_GLOBAL__N_139_amp_non_finite_check_and_unscale_cuda_ERNS_6TensorES4_RKS3_ENKUlvE_clEvENKUlvE0_clEvEUlfE_St5arrayIPcLm2EEEEviT0_T1_, .Lfunc_end9-_ZN2at6native29vectorized_elementwise_kernelILi16EZZZNS0_12_GLOBAL__N_139_amp_non_finite_check_and_unscale_cuda_ERNS_6TensorES4_RKS3_ENKUlvE_clEvENKUlvE0_clEvEUlfE_St5arrayIPcLm2EEEEviT0_T1_
                                        ; -- End function
	.set _ZN2at6native29vectorized_elementwise_kernelILi16EZZZNS0_12_GLOBAL__N_139_amp_non_finite_check_and_unscale_cuda_ERNS_6TensorES4_RKS3_ENKUlvE_clEvENKUlvE0_clEvEUlfE_St5arrayIPcLm2EEEEviT0_T1_.num_vgpr, 14
	.set _ZN2at6native29vectorized_elementwise_kernelILi16EZZZNS0_12_GLOBAL__N_139_amp_non_finite_check_and_unscale_cuda_ERNS_6TensorES4_RKS3_ENKUlvE_clEvENKUlvE0_clEvEUlfE_St5arrayIPcLm2EEEEviT0_T1_.num_agpr, 0
	.set _ZN2at6native29vectorized_elementwise_kernelILi16EZZZNS0_12_GLOBAL__N_139_amp_non_finite_check_and_unscale_cuda_ERNS_6TensorES4_RKS3_ENKUlvE_clEvENKUlvE0_clEvEUlfE_St5arrayIPcLm2EEEEviT0_T1_.numbered_sgpr, 16
	.set _ZN2at6native29vectorized_elementwise_kernelILi16EZZZNS0_12_GLOBAL__N_139_amp_non_finite_check_and_unscale_cuda_ERNS_6TensorES4_RKS3_ENKUlvE_clEvENKUlvE0_clEvEUlfE_St5arrayIPcLm2EEEEviT0_T1_.num_named_barrier, 0
	.set _ZN2at6native29vectorized_elementwise_kernelILi16EZZZNS0_12_GLOBAL__N_139_amp_non_finite_check_and_unscale_cuda_ERNS_6TensorES4_RKS3_ENKUlvE_clEvENKUlvE0_clEvEUlfE_St5arrayIPcLm2EEEEviT0_T1_.private_seg_size, 0
	.set _ZN2at6native29vectorized_elementwise_kernelILi16EZZZNS0_12_GLOBAL__N_139_amp_non_finite_check_and_unscale_cuda_ERNS_6TensorES4_RKS3_ENKUlvE_clEvENKUlvE0_clEvEUlfE_St5arrayIPcLm2EEEEviT0_T1_.uses_vcc, 1
	.set _ZN2at6native29vectorized_elementwise_kernelILi16EZZZNS0_12_GLOBAL__N_139_amp_non_finite_check_and_unscale_cuda_ERNS_6TensorES4_RKS3_ENKUlvE_clEvENKUlvE0_clEvEUlfE_St5arrayIPcLm2EEEEviT0_T1_.uses_flat_scratch, 0
	.set _ZN2at6native29vectorized_elementwise_kernelILi16EZZZNS0_12_GLOBAL__N_139_amp_non_finite_check_and_unscale_cuda_ERNS_6TensorES4_RKS3_ENKUlvE_clEvENKUlvE0_clEvEUlfE_St5arrayIPcLm2EEEEviT0_T1_.has_dyn_sized_stack, 0
	.set _ZN2at6native29vectorized_elementwise_kernelILi16EZZZNS0_12_GLOBAL__N_139_amp_non_finite_check_and_unscale_cuda_ERNS_6TensorES4_RKS3_ENKUlvE_clEvENKUlvE0_clEvEUlfE_St5arrayIPcLm2EEEEviT0_T1_.has_recursion, 0
	.set _ZN2at6native29vectorized_elementwise_kernelILi16EZZZNS0_12_GLOBAL__N_139_amp_non_finite_check_and_unscale_cuda_ERNS_6TensorES4_RKS3_ENKUlvE_clEvENKUlvE0_clEvEUlfE_St5arrayIPcLm2EEEEviT0_T1_.has_indirect_call, 0
	.section	.AMDGPU.csdata,"",@progbits
; Kernel info:
; codeLenInByte = 1420
; TotalNumSgprs: 18
; NumVgprs: 14
; ScratchSize: 0
; MemoryBound: 0
; FloatMode: 240
; IeeeMode: 1
; LDSByteSize: 0 bytes/workgroup (compile time only)
; SGPRBlocks: 0
; VGPRBlocks: 1
; NumSGPRsForWavesPerEU: 18
; NumVGPRsForWavesPerEU: 14
; Occupancy: 16
; WaveLimiterHint : 0
; COMPUTE_PGM_RSRC2:SCRATCH_EN: 0
; COMPUTE_PGM_RSRC2:USER_SGPR: 6
; COMPUTE_PGM_RSRC2:TRAP_HANDLER: 0
; COMPUTE_PGM_RSRC2:TGID_X_EN: 1
; COMPUTE_PGM_RSRC2:TGID_Y_EN: 0
; COMPUTE_PGM_RSRC2:TGID_Z_EN: 0
; COMPUTE_PGM_RSRC2:TIDIG_COMP_CNT: 0
	.section	.text._ZN2at6native29vectorized_elementwise_kernelILi8EZZZNS0_12_GLOBAL__N_139_amp_non_finite_check_and_unscale_cuda_ERNS_6TensorES4_RKS3_ENKUlvE_clEvENKUlvE0_clEvEUlfE_St5arrayIPcLm2EEEEviT0_T1_,"axG",@progbits,_ZN2at6native29vectorized_elementwise_kernelILi8EZZZNS0_12_GLOBAL__N_139_amp_non_finite_check_and_unscale_cuda_ERNS_6TensorES4_RKS3_ENKUlvE_clEvENKUlvE0_clEvEUlfE_St5arrayIPcLm2EEEEviT0_T1_,comdat
	.globl	_ZN2at6native29vectorized_elementwise_kernelILi8EZZZNS0_12_GLOBAL__N_139_amp_non_finite_check_and_unscale_cuda_ERNS_6TensorES4_RKS3_ENKUlvE_clEvENKUlvE0_clEvEUlfE_St5arrayIPcLm2EEEEviT0_T1_ ; -- Begin function _ZN2at6native29vectorized_elementwise_kernelILi8EZZZNS0_12_GLOBAL__N_139_amp_non_finite_check_and_unscale_cuda_ERNS_6TensorES4_RKS3_ENKUlvE_clEvENKUlvE0_clEvEUlfE_St5arrayIPcLm2EEEEviT0_T1_
	.p2align	8
	.type	_ZN2at6native29vectorized_elementwise_kernelILi8EZZZNS0_12_GLOBAL__N_139_amp_non_finite_check_and_unscale_cuda_ERNS_6TensorES4_RKS3_ENKUlvE_clEvENKUlvE0_clEvEUlfE_St5arrayIPcLm2EEEEviT0_T1_,@function
_ZN2at6native29vectorized_elementwise_kernelILi8EZZZNS0_12_GLOBAL__N_139_amp_non_finite_check_and_unscale_cuda_ERNS_6TensorES4_RKS3_ENKUlvE_clEvENKUlvE0_clEvEUlfE_St5arrayIPcLm2EEEEviT0_T1_: ; @_ZN2at6native29vectorized_elementwise_kernelILi8EZZZNS0_12_GLOBAL__N_139_amp_non_finite_check_and_unscale_cuda_ERNS_6TensorES4_RKS3_ENKUlvE_clEvENKUlvE0_clEvEUlfE_St5arrayIPcLm2EEEEviT0_T1_
; %bb.0:
	s_clause 0x1
	s_load_dword s0, s[4:5], 0x0
	s_load_dwordx8 s[8:15], s[4:5], 0x8
	s_lshl_b32 s2, s6, 10
	s_waitcnt lgkmcnt(0)
	s_sub_i32 s4, s0, s2
	s_mov_b32 s0, -1
	s_cmpk_gt_i32 s4, 0x3ff
	s_cbranch_scc0 .LBB10_10
; %bb.1:
	s_ashr_i32 s3, s2, 31
	v_lshlrev_b32_e32 v5, 4, v0
	s_lshl_b64 s[0:1], s[2:3], 2
	v_mov_b32_e32 v6, 0
	s_add_u32 s6, s14, s0
	s_addc_u32 s7, s15, s1
	s_mov_b32 s3, exec_lo
	global_load_dwordx4 v[1:4], v5, s[6:7]
	s_waitcnt vmcnt(0)
	v_cmpx_nlg_f32_e64 0x7f800000, |v1|
	s_cbranch_execz .LBB10_3
; %bb.2:
	v_mov_b32_e32 v7, 1.0
	global_store_dword v6, v7, s[8:9]
.LBB10_3:
	s_or_b32 exec_lo, exec_lo, s3
	global_load_dword v6, v6, s[10:11]
	s_mov_b32 s3, exec_lo
	s_waitcnt vmcnt(0)
	v_mov_b32_e32 v7, v6
	v_cmpx_nlg_f32_e64 0x7f800000, |v2|
	s_cbranch_execz .LBB10_5
; %bb.4:
	v_mov_b32_e32 v7, 0
	v_mov_b32_e32 v8, 1.0
	global_store_dword v7, v8, s[8:9]
	global_load_dword v7, v7, s[10:11]
.LBB10_5:
	s_or_b32 exec_lo, exec_lo, s3
	s_waitcnt vmcnt(0)
	v_mov_b32_e32 v8, v7
	s_mov_b32 s3, exec_lo
	v_cmpx_nlg_f32_e64 0x7f800000, |v3|
	s_cbranch_execz .LBB10_7
; %bb.6:
	v_mov_b32_e32 v8, 0
	v_mov_b32_e32 v9, 1.0
	global_store_dword v8, v9, s[8:9]
	global_load_dword v8, v8, s[10:11]
.LBB10_7:
	s_or_b32 exec_lo, exec_lo, s3
	s_waitcnt vmcnt(0)
	v_mov_b32_e32 v9, v8
	s_mov_b32 s3, exec_lo
	v_cmpx_nlg_f32_e64 0x7f800000, |v4|
	s_cbranch_execz .LBB10_9
; %bb.8:
	v_mov_b32_e32 v9, 0
	v_mov_b32_e32 v10, 1.0
	global_store_dword v9, v10, s[8:9]
	global_load_dword v9, v9, s[10:11]
.LBB10_9:
	s_or_b32 exec_lo, exec_lo, s3
	v_mul_f32_e32 v10, v3, v8
	v_cmp_eq_f32_e32 vcc_lo, 1.0, v8
	v_mul_f32_e32 v11, v2, v7
	v_mul_f32_e32 v12, v1, v6
	s_waitcnt vmcnt(0)
	v_mul_f32_e32 v13, v4, v9
	s_add_u32 s6, s12, s0
	v_cndmask_b32_e32 v3, v10, v3, vcc_lo
	v_cmp_eq_f32_e32 vcc_lo, 1.0, v7
	s_addc_u32 s7, s13, s1
	s_mov_b32 s0, 0
	v_cndmask_b32_e32 v2, v11, v2, vcc_lo
	v_cmp_eq_f32_e32 vcc_lo, 1.0, v6
	v_cndmask_b32_e32 v1, v12, v1, vcc_lo
	v_cmp_eq_f32_e32 vcc_lo, 1.0, v9
	v_cndmask_b32_e32 v4, v13, v4, vcc_lo
	global_store_dwordx4 v5, v[1:4], s[6:7]
.LBB10_10:
	s_and_b32 vcc_lo, exec_lo, s0
	s_cbranch_vccz .LBB10_37
; %bb.11:
	v_cmp_gt_i32_e32 vcc_lo, s4, v0
	v_mov_b32_e32 v6, 0
	v_or_b32_e32 v1, s2, v0
	v_or_b32_e32 v3, 0x100, v0
	v_mov_b32_e32 v10, 0
	v_mov_b32_e32 v4, v0
	s_and_saveexec_b32 s1, vcc_lo
	s_cbranch_execz .LBB10_13
; %bb.12:
	v_mov_b32_e32 v2, 0
	v_lshlrev_b64 v[4:5], 2, v[1:2]
	v_add_co_u32 v4, s0, s14, v4
	v_add_co_ci_u32_e64 v5, null, s15, v5, s0
	global_load_dword v10, v[4:5], off
	v_or_b32_e32 v4, 0x100, v0
.LBB10_13:
	s_or_b32 exec_lo, exec_lo, s1
	s_mov_b32 s1, exec_lo
	v_cmpx_gt_i32_e64 s4, v4
	s_cbranch_execz .LBB10_15
; %bb.14:
	v_add_nc_u32_e32 v5, s2, v4
	v_mov_b32_e32 v6, 0
	v_add_nc_u32_e32 v4, 0x100, v4
	v_lshlrev_b64 v[5:6], 2, v[5:6]
	v_add_co_u32 v5, s0, s14, v5
	v_add_co_ci_u32_e64 v6, null, s15, v6, s0
	global_load_dword v6, v[5:6], off
.LBB10_15:
	s_or_b32 exec_lo, exec_lo, s1
	v_mov_b32_e32 v2, 0
	v_mov_b32_e32 v9, 0
	s_mov_b32 s1, exec_lo
	v_cmpx_gt_i32_e64 s4, v4
	s_cbranch_execz .LBB10_17
; %bb.16:
	v_add_nc_u32_e32 v7, s2, v4
	v_mov_b32_e32 v8, 0
	v_add_nc_u32_e32 v4, 0x100, v4
	v_lshlrev_b64 v[7:8], 2, v[7:8]
	v_add_co_u32 v7, s0, s14, v7
	v_add_co_ci_u32_e64 v8, null, s15, v8, s0
	global_load_dword v9, v[7:8], off
.LBB10_17:
	s_or_b32 exec_lo, exec_lo, s1
	s_mov_b32 s1, exec_lo
	v_cmpx_gt_i32_e64 s4, v4
	s_cbranch_execz .LBB10_19
; %bb.18:
	v_add_nc_u32_e32 v4, s2, v4
	v_mov_b32_e32 v5, 0
	v_lshlrev_b64 v[4:5], 2, v[4:5]
	v_add_co_u32 v4, s0, s14, v4
	v_add_co_ci_u32_e64 v5, null, s15, v5, s0
	global_load_dword v2, v[4:5], off
.LBB10_19:
	s_or_b32 exec_lo, exec_lo, s1
	v_mov_b32_e32 v8, 0
	v_mov_b32_e32 v7, v8
	;; [unrolled: 1-line block ×4, first 2 shown]
	s_and_saveexec_b32 s1, vcc_lo
	s_cbranch_execz .LBB10_23
; %bb.20:
	s_mov_b32 s0, exec_lo
	s_waitcnt vmcnt(0)
	v_cmpx_nlg_f32_e64 0x7f800000, |v10|
	s_cbranch_execz .LBB10_22
; %bb.21:
	v_mov_b32_e32 v4, 0
	v_mov_b32_e32 v5, 1.0
	global_store_dword v4, v5, s[8:9]
.LBB10_22:
	s_or_b32 exec_lo, exec_lo, s0
	v_mov_b32_e32 v7, 0
	global_load_dword v4, v7, s[10:11]
	v_mov_b32_e32 v5, v7
	s_waitcnt vmcnt(0)
	v_mul_f32_e32 v8, v10, v4
	v_cmp_eq_f32_e64 s0, 1.0, v4
	v_mov_b32_e32 v4, v7
	v_cndmask_b32_e64 v8, v8, v10, s0
.LBB10_23:
	s_or_b32 exec_lo, exec_lo, s1
	s_mov_b32 s1, exec_lo
	v_cmpx_gt_i32_e64 s4, v3
	s_cbranch_execz .LBB10_27
; %bb.24:
	s_mov_b32 s0, exec_lo
	s_waitcnt vmcnt(0)
	v_cmpx_nlg_f32_e64 0x7f800000, |v6|
	s_cbranch_execz .LBB10_26
; %bb.25:
	v_mov_b32_e32 v7, 0
	v_mov_b32_e32 v10, 1.0
	global_store_dword v7, v10, s[8:9]
.LBB10_26:
	s_or_b32 exec_lo, exec_lo, s0
	v_mov_b32_e32 v7, 0
	global_load_dword v7, v7, s[10:11]
	s_waitcnt vmcnt(0)
	v_mul_f32_e32 v10, v6, v7
	v_cmp_eq_f32_e64 s0, 1.0, v7
	v_cndmask_b32_e64 v7, v10, v6, s0
.LBB10_27:
	s_or_b32 exec_lo, exec_lo, s1
	s_waitcnt vmcnt(0)
	v_or_b32_e32 v6, 0x200, v0
	s_mov_b32 s1, exec_lo
	v_cmpx_gt_i32_e64 s4, v6
	s_cbranch_execz .LBB10_31
; %bb.28:
	s_mov_b32 s0, exec_lo
	v_cmpx_nlg_f32_e64 0x7f800000, |v9|
	s_cbranch_execz .LBB10_30
; %bb.29:
	v_mov_b32_e32 v5, 0
	v_mov_b32_e32 v6, 1.0
	global_store_dword v5, v6, s[8:9]
.LBB10_30:
	s_or_b32 exec_lo, exec_lo, s0
	v_mov_b32_e32 v5, 0
	global_load_dword v5, v5, s[10:11]
	s_waitcnt vmcnt(0)
	v_mul_f32_e32 v6, v9, v5
	v_cmp_eq_f32_e64 s0, 1.0, v5
	v_cndmask_b32_e64 v5, v6, v9, s0
.LBB10_31:
	s_or_b32 exec_lo, exec_lo, s1
	v_or_b32_e32 v6, 0x300, v0
	s_mov_b32 s1, exec_lo
	v_cmpx_gt_i32_e64 s4, v6
	s_cbranch_execnz .LBB10_38
; %bb.32:
	s_or_b32 exec_lo, exec_lo, s1
	s_and_saveexec_b32 s0, vcc_lo
	s_xor_b32 s0, exec_lo, s0
	s_cbranch_execnz .LBB10_41
.LBB10_33:
	s_or_b32 exec_lo, exec_lo, s0
	s_mov_b32 s0, exec_lo
	v_cmpx_gt_i32_e64 s4, v0
	s_cbranch_execnz .LBB10_42
.LBB10_34:
	s_or_b32 exec_lo, exec_lo, s0
	s_mov_b32 s0, exec_lo
	v_cmpx_gt_i32_e64 s4, v0
	s_cbranch_execnz .LBB10_43
.LBB10_35:
	s_or_b32 exec_lo, exec_lo, s0
	s_mov_b32 s0, exec_lo
	v_cmpx_gt_i32_e64 s4, v0
	s_cbranch_execz .LBB10_37
.LBB10_36:
	v_add_nc_u32_e32 v0, s2, v0
	v_mov_b32_e32 v1, 0
	v_lshlrev_b64 v[0:1], 2, v[0:1]
	v_add_co_u32 v0, vcc_lo, s12, v0
	v_add_co_ci_u32_e64 v1, null, s13, v1, vcc_lo
	global_store_dword v[0:1], v4, off
.LBB10_37:
	s_endpgm
.LBB10_38:
	s_mov_b32 s0, exec_lo
	v_cmpx_nlg_f32_e64 0x7f800000, |v2|
	s_cbranch_execz .LBB10_40
; %bb.39:
	v_mov_b32_e32 v4, 0
	v_mov_b32_e32 v6, 1.0
	global_store_dword v4, v6, s[8:9]
.LBB10_40:
	s_or_b32 exec_lo, exec_lo, s0
	v_mov_b32_e32 v4, 0
	global_load_dword v4, v4, s[10:11]
	s_waitcnt vmcnt(0)
	v_mul_f32_e32 v6, v2, v4
	v_cmp_eq_f32_e64 s0, 1.0, v4
	v_cndmask_b32_e64 v4, v6, v2, s0
	s_or_b32 exec_lo, exec_lo, s1
	s_and_saveexec_b32 s0, vcc_lo
	s_xor_b32 s0, exec_lo, s0
	s_cbranch_execz .LBB10_33
.LBB10_41:
	v_mov_b32_e32 v2, 0
	v_lshlrev_b64 v[0:1], 2, v[1:2]
	v_add_co_u32 v9, vcc_lo, s12, v0
	v_add_co_ci_u32_e64 v10, null, s13, v1, vcc_lo
	v_mov_b32_e32 v0, v3
	global_store_dword v[9:10], v8, off
	s_or_b32 exec_lo, exec_lo, s0
	s_mov_b32 s0, exec_lo
	v_cmpx_gt_i32_e64 s4, v0
	s_cbranch_execz .LBB10_34
.LBB10_42:
	v_add_nc_u32_e32 v1, s2, v0
	v_mov_b32_e32 v2, 0
	v_add_nc_u32_e32 v0, 0x100, v0
	v_lshlrev_b64 v[1:2], 2, v[1:2]
	v_add_co_u32 v1, vcc_lo, s12, v1
	v_add_co_ci_u32_e64 v2, null, s13, v2, vcc_lo
	global_store_dword v[1:2], v7, off
	s_or_b32 exec_lo, exec_lo, s0
	s_mov_b32 s0, exec_lo
	v_cmpx_gt_i32_e64 s4, v0
	s_cbranch_execz .LBB10_35
.LBB10_43:
	v_add_nc_u32_e32 v1, s2, v0
	v_mov_b32_e32 v2, 0
	v_add_nc_u32_e32 v0, 0x100, v0
	v_lshlrev_b64 v[1:2], 2, v[1:2]
	v_add_co_u32 v1, vcc_lo, s12, v1
	v_add_co_ci_u32_e64 v2, null, s13, v2, vcc_lo
	global_store_dword v[1:2], v5, off
	s_or_b32 exec_lo, exec_lo, s0
	s_mov_b32 s0, exec_lo
	v_cmpx_gt_i32_e64 s4, v0
	s_cbranch_execnz .LBB10_36
	s_branch .LBB10_37
	.section	.rodata,"a",@progbits
	.p2align	6, 0x0
	.amdhsa_kernel _ZN2at6native29vectorized_elementwise_kernelILi8EZZZNS0_12_GLOBAL__N_139_amp_non_finite_check_and_unscale_cuda_ERNS_6TensorES4_RKS3_ENKUlvE_clEvENKUlvE0_clEvEUlfE_St5arrayIPcLm2EEEEviT0_T1_
		.amdhsa_group_segment_fixed_size 0
		.amdhsa_private_segment_fixed_size 0
		.amdhsa_kernarg_size 40
		.amdhsa_user_sgpr_count 6
		.amdhsa_user_sgpr_private_segment_buffer 1
		.amdhsa_user_sgpr_dispatch_ptr 0
		.amdhsa_user_sgpr_queue_ptr 0
		.amdhsa_user_sgpr_kernarg_segment_ptr 1
		.amdhsa_user_sgpr_dispatch_id 0
		.amdhsa_user_sgpr_flat_scratch_init 0
		.amdhsa_user_sgpr_private_segment_size 0
		.amdhsa_wavefront_size32 1
		.amdhsa_uses_dynamic_stack 0
		.amdhsa_system_sgpr_private_segment_wavefront_offset 0
		.amdhsa_system_sgpr_workgroup_id_x 1
		.amdhsa_system_sgpr_workgroup_id_y 0
		.amdhsa_system_sgpr_workgroup_id_z 0
		.amdhsa_system_sgpr_workgroup_info 0
		.amdhsa_system_vgpr_workitem_id 0
		.amdhsa_next_free_vgpr 14
		.amdhsa_next_free_sgpr 16
		.amdhsa_reserve_vcc 1
		.amdhsa_reserve_flat_scratch 0
		.amdhsa_float_round_mode_32 0
		.amdhsa_float_round_mode_16_64 0
		.amdhsa_float_denorm_mode_32 3
		.amdhsa_float_denorm_mode_16_64 3
		.amdhsa_dx10_clamp 1
		.amdhsa_ieee_mode 1
		.amdhsa_fp16_overflow 0
		.amdhsa_workgroup_processor_mode 1
		.amdhsa_memory_ordered 1
		.amdhsa_forward_progress 1
		.amdhsa_shared_vgpr_count 0
		.amdhsa_exception_fp_ieee_invalid_op 0
		.amdhsa_exception_fp_denorm_src 0
		.amdhsa_exception_fp_ieee_div_zero 0
		.amdhsa_exception_fp_ieee_overflow 0
		.amdhsa_exception_fp_ieee_underflow 0
		.amdhsa_exception_fp_ieee_inexact 0
		.amdhsa_exception_int_div_zero 0
	.end_amdhsa_kernel
	.section	.text._ZN2at6native29vectorized_elementwise_kernelILi8EZZZNS0_12_GLOBAL__N_139_amp_non_finite_check_and_unscale_cuda_ERNS_6TensorES4_RKS3_ENKUlvE_clEvENKUlvE0_clEvEUlfE_St5arrayIPcLm2EEEEviT0_T1_,"axG",@progbits,_ZN2at6native29vectorized_elementwise_kernelILi8EZZZNS0_12_GLOBAL__N_139_amp_non_finite_check_and_unscale_cuda_ERNS_6TensorES4_RKS3_ENKUlvE_clEvENKUlvE0_clEvEUlfE_St5arrayIPcLm2EEEEviT0_T1_,comdat
.Lfunc_end10:
	.size	_ZN2at6native29vectorized_elementwise_kernelILi8EZZZNS0_12_GLOBAL__N_139_amp_non_finite_check_and_unscale_cuda_ERNS_6TensorES4_RKS3_ENKUlvE_clEvENKUlvE0_clEvEUlfE_St5arrayIPcLm2EEEEviT0_T1_, .Lfunc_end10-_ZN2at6native29vectorized_elementwise_kernelILi8EZZZNS0_12_GLOBAL__N_139_amp_non_finite_check_and_unscale_cuda_ERNS_6TensorES4_RKS3_ENKUlvE_clEvENKUlvE0_clEvEUlfE_St5arrayIPcLm2EEEEviT0_T1_
                                        ; -- End function
	.set _ZN2at6native29vectorized_elementwise_kernelILi8EZZZNS0_12_GLOBAL__N_139_amp_non_finite_check_and_unscale_cuda_ERNS_6TensorES4_RKS3_ENKUlvE_clEvENKUlvE0_clEvEUlfE_St5arrayIPcLm2EEEEviT0_T1_.num_vgpr, 14
	.set _ZN2at6native29vectorized_elementwise_kernelILi8EZZZNS0_12_GLOBAL__N_139_amp_non_finite_check_and_unscale_cuda_ERNS_6TensorES4_RKS3_ENKUlvE_clEvENKUlvE0_clEvEUlfE_St5arrayIPcLm2EEEEviT0_T1_.num_agpr, 0
	.set _ZN2at6native29vectorized_elementwise_kernelILi8EZZZNS0_12_GLOBAL__N_139_amp_non_finite_check_and_unscale_cuda_ERNS_6TensorES4_RKS3_ENKUlvE_clEvENKUlvE0_clEvEUlfE_St5arrayIPcLm2EEEEviT0_T1_.numbered_sgpr, 16
	.set _ZN2at6native29vectorized_elementwise_kernelILi8EZZZNS0_12_GLOBAL__N_139_amp_non_finite_check_and_unscale_cuda_ERNS_6TensorES4_RKS3_ENKUlvE_clEvENKUlvE0_clEvEUlfE_St5arrayIPcLm2EEEEviT0_T1_.num_named_barrier, 0
	.set _ZN2at6native29vectorized_elementwise_kernelILi8EZZZNS0_12_GLOBAL__N_139_amp_non_finite_check_and_unscale_cuda_ERNS_6TensorES4_RKS3_ENKUlvE_clEvENKUlvE0_clEvEUlfE_St5arrayIPcLm2EEEEviT0_T1_.private_seg_size, 0
	.set _ZN2at6native29vectorized_elementwise_kernelILi8EZZZNS0_12_GLOBAL__N_139_amp_non_finite_check_and_unscale_cuda_ERNS_6TensorES4_RKS3_ENKUlvE_clEvENKUlvE0_clEvEUlfE_St5arrayIPcLm2EEEEviT0_T1_.uses_vcc, 1
	.set _ZN2at6native29vectorized_elementwise_kernelILi8EZZZNS0_12_GLOBAL__N_139_amp_non_finite_check_and_unscale_cuda_ERNS_6TensorES4_RKS3_ENKUlvE_clEvENKUlvE0_clEvEUlfE_St5arrayIPcLm2EEEEviT0_T1_.uses_flat_scratch, 0
	.set _ZN2at6native29vectorized_elementwise_kernelILi8EZZZNS0_12_GLOBAL__N_139_amp_non_finite_check_and_unscale_cuda_ERNS_6TensorES4_RKS3_ENKUlvE_clEvENKUlvE0_clEvEUlfE_St5arrayIPcLm2EEEEviT0_T1_.has_dyn_sized_stack, 0
	.set _ZN2at6native29vectorized_elementwise_kernelILi8EZZZNS0_12_GLOBAL__N_139_amp_non_finite_check_and_unscale_cuda_ERNS_6TensorES4_RKS3_ENKUlvE_clEvENKUlvE0_clEvEUlfE_St5arrayIPcLm2EEEEviT0_T1_.has_recursion, 0
	.set _ZN2at6native29vectorized_elementwise_kernelILi8EZZZNS0_12_GLOBAL__N_139_amp_non_finite_check_and_unscale_cuda_ERNS_6TensorES4_RKS3_ENKUlvE_clEvENKUlvE0_clEvEUlfE_St5arrayIPcLm2EEEEviT0_T1_.has_indirect_call, 0
	.section	.AMDGPU.csdata,"",@progbits
; Kernel info:
; codeLenInByte = 1420
; TotalNumSgprs: 18
; NumVgprs: 14
; ScratchSize: 0
; MemoryBound: 0
; FloatMode: 240
; IeeeMode: 1
; LDSByteSize: 0 bytes/workgroup (compile time only)
; SGPRBlocks: 0
; VGPRBlocks: 1
; NumSGPRsForWavesPerEU: 18
; NumVGPRsForWavesPerEU: 14
; Occupancy: 16
; WaveLimiterHint : 0
; COMPUTE_PGM_RSRC2:SCRATCH_EN: 0
; COMPUTE_PGM_RSRC2:USER_SGPR: 6
; COMPUTE_PGM_RSRC2:TRAP_HANDLER: 0
; COMPUTE_PGM_RSRC2:TGID_X_EN: 1
; COMPUTE_PGM_RSRC2:TGID_Y_EN: 0
; COMPUTE_PGM_RSRC2:TGID_Z_EN: 0
; COMPUTE_PGM_RSRC2:TIDIG_COMP_CNT: 0
	.section	.text._ZN2at6native29vectorized_elementwise_kernelILi4EZZZNS0_12_GLOBAL__N_139_amp_non_finite_check_and_unscale_cuda_ERNS_6TensorES4_RKS3_ENKUlvE_clEvENKUlvE0_clEvEUlfE_St5arrayIPcLm2EEEEviT0_T1_,"axG",@progbits,_ZN2at6native29vectorized_elementwise_kernelILi4EZZZNS0_12_GLOBAL__N_139_amp_non_finite_check_and_unscale_cuda_ERNS_6TensorES4_RKS3_ENKUlvE_clEvENKUlvE0_clEvEUlfE_St5arrayIPcLm2EEEEviT0_T1_,comdat
	.globl	_ZN2at6native29vectorized_elementwise_kernelILi4EZZZNS0_12_GLOBAL__N_139_amp_non_finite_check_and_unscale_cuda_ERNS_6TensorES4_RKS3_ENKUlvE_clEvENKUlvE0_clEvEUlfE_St5arrayIPcLm2EEEEviT0_T1_ ; -- Begin function _ZN2at6native29vectorized_elementwise_kernelILi4EZZZNS0_12_GLOBAL__N_139_amp_non_finite_check_and_unscale_cuda_ERNS_6TensorES4_RKS3_ENKUlvE_clEvENKUlvE0_clEvEUlfE_St5arrayIPcLm2EEEEviT0_T1_
	.p2align	8
	.type	_ZN2at6native29vectorized_elementwise_kernelILi4EZZZNS0_12_GLOBAL__N_139_amp_non_finite_check_and_unscale_cuda_ERNS_6TensorES4_RKS3_ENKUlvE_clEvENKUlvE0_clEvEUlfE_St5arrayIPcLm2EEEEviT0_T1_,@function
_ZN2at6native29vectorized_elementwise_kernelILi4EZZZNS0_12_GLOBAL__N_139_amp_non_finite_check_and_unscale_cuda_ERNS_6TensorES4_RKS3_ENKUlvE_clEvENKUlvE0_clEvEUlfE_St5arrayIPcLm2EEEEviT0_T1_: ; @_ZN2at6native29vectorized_elementwise_kernelILi4EZZZNS0_12_GLOBAL__N_139_amp_non_finite_check_and_unscale_cuda_ERNS_6TensorES4_RKS3_ENKUlvE_clEvENKUlvE0_clEvEUlfE_St5arrayIPcLm2EEEEviT0_T1_
; %bb.0:
	s_clause 0x1
	s_load_dword s0, s[4:5], 0x0
	s_load_dwordx8 s[8:15], s[4:5], 0x8
	s_lshl_b32 s2, s6, 10
	s_waitcnt lgkmcnt(0)
	s_sub_i32 s4, s0, s2
	s_mov_b32 s0, -1
	s_cmpk_gt_i32 s4, 0x3ff
	s_cbranch_scc0 .LBB11_10
; %bb.1:
	s_ashr_i32 s3, s2, 31
	v_lshlrev_b32_e32 v5, 4, v0
	s_lshl_b64 s[0:1], s[2:3], 2
	v_mov_b32_e32 v6, 0
	s_add_u32 s6, s14, s0
	s_addc_u32 s7, s15, s1
	s_mov_b32 s3, exec_lo
	global_load_dwordx4 v[1:4], v5, s[6:7]
	s_waitcnt vmcnt(0)
	v_cmpx_nlg_f32_e64 0x7f800000, |v1|
	s_cbranch_execz .LBB11_3
; %bb.2:
	v_mov_b32_e32 v7, 1.0
	global_store_dword v6, v7, s[8:9]
.LBB11_3:
	s_or_b32 exec_lo, exec_lo, s3
	global_load_dword v6, v6, s[10:11]
	s_mov_b32 s3, exec_lo
	s_waitcnt vmcnt(0)
	v_mov_b32_e32 v7, v6
	v_cmpx_nlg_f32_e64 0x7f800000, |v2|
	s_cbranch_execz .LBB11_5
; %bb.4:
	v_mov_b32_e32 v7, 0
	v_mov_b32_e32 v8, 1.0
	global_store_dword v7, v8, s[8:9]
	global_load_dword v7, v7, s[10:11]
.LBB11_5:
	s_or_b32 exec_lo, exec_lo, s3
	s_waitcnt vmcnt(0)
	v_mov_b32_e32 v8, v7
	s_mov_b32 s3, exec_lo
	v_cmpx_nlg_f32_e64 0x7f800000, |v3|
	s_cbranch_execz .LBB11_7
; %bb.6:
	v_mov_b32_e32 v8, 0
	v_mov_b32_e32 v9, 1.0
	global_store_dword v8, v9, s[8:9]
	global_load_dword v8, v8, s[10:11]
.LBB11_7:
	s_or_b32 exec_lo, exec_lo, s3
	s_waitcnt vmcnt(0)
	v_mov_b32_e32 v9, v8
	s_mov_b32 s3, exec_lo
	v_cmpx_nlg_f32_e64 0x7f800000, |v4|
	s_cbranch_execz .LBB11_9
; %bb.8:
	v_mov_b32_e32 v9, 0
	v_mov_b32_e32 v10, 1.0
	global_store_dword v9, v10, s[8:9]
	global_load_dword v9, v9, s[10:11]
.LBB11_9:
	s_or_b32 exec_lo, exec_lo, s3
	v_mul_f32_e32 v10, v3, v8
	v_cmp_eq_f32_e32 vcc_lo, 1.0, v8
	v_mul_f32_e32 v11, v2, v7
	v_mul_f32_e32 v12, v1, v6
	s_waitcnt vmcnt(0)
	v_mul_f32_e32 v13, v4, v9
	s_add_u32 s6, s12, s0
	v_cndmask_b32_e32 v3, v10, v3, vcc_lo
	v_cmp_eq_f32_e32 vcc_lo, 1.0, v7
	s_addc_u32 s7, s13, s1
	s_mov_b32 s0, 0
	v_cndmask_b32_e32 v2, v11, v2, vcc_lo
	v_cmp_eq_f32_e32 vcc_lo, 1.0, v6
	v_cndmask_b32_e32 v1, v12, v1, vcc_lo
	v_cmp_eq_f32_e32 vcc_lo, 1.0, v9
	v_cndmask_b32_e32 v4, v13, v4, vcc_lo
	global_store_dwordx4 v5, v[1:4], s[6:7]
.LBB11_10:
	s_and_b32 vcc_lo, exec_lo, s0
	s_cbranch_vccz .LBB11_37
; %bb.11:
	v_cmp_gt_i32_e32 vcc_lo, s4, v0
	v_mov_b32_e32 v6, 0
	v_or_b32_e32 v1, s2, v0
	v_or_b32_e32 v3, 0x100, v0
	v_mov_b32_e32 v10, 0
	v_mov_b32_e32 v4, v0
	s_and_saveexec_b32 s1, vcc_lo
	s_cbranch_execz .LBB11_13
; %bb.12:
	v_mov_b32_e32 v2, 0
	v_lshlrev_b64 v[4:5], 2, v[1:2]
	v_add_co_u32 v4, s0, s14, v4
	v_add_co_ci_u32_e64 v5, null, s15, v5, s0
	global_load_dword v10, v[4:5], off
	v_or_b32_e32 v4, 0x100, v0
.LBB11_13:
	s_or_b32 exec_lo, exec_lo, s1
	s_mov_b32 s1, exec_lo
	v_cmpx_gt_i32_e64 s4, v4
	s_cbranch_execz .LBB11_15
; %bb.14:
	v_add_nc_u32_e32 v5, s2, v4
	v_mov_b32_e32 v6, 0
	v_add_nc_u32_e32 v4, 0x100, v4
	v_lshlrev_b64 v[5:6], 2, v[5:6]
	v_add_co_u32 v5, s0, s14, v5
	v_add_co_ci_u32_e64 v6, null, s15, v6, s0
	global_load_dword v6, v[5:6], off
.LBB11_15:
	s_or_b32 exec_lo, exec_lo, s1
	v_mov_b32_e32 v2, 0
	v_mov_b32_e32 v9, 0
	s_mov_b32 s1, exec_lo
	v_cmpx_gt_i32_e64 s4, v4
	s_cbranch_execz .LBB11_17
; %bb.16:
	v_add_nc_u32_e32 v7, s2, v4
	v_mov_b32_e32 v8, 0
	v_add_nc_u32_e32 v4, 0x100, v4
	v_lshlrev_b64 v[7:8], 2, v[7:8]
	v_add_co_u32 v7, s0, s14, v7
	v_add_co_ci_u32_e64 v8, null, s15, v8, s0
	global_load_dword v9, v[7:8], off
.LBB11_17:
	s_or_b32 exec_lo, exec_lo, s1
	s_mov_b32 s1, exec_lo
	v_cmpx_gt_i32_e64 s4, v4
	s_cbranch_execz .LBB11_19
; %bb.18:
	v_add_nc_u32_e32 v4, s2, v4
	v_mov_b32_e32 v5, 0
	v_lshlrev_b64 v[4:5], 2, v[4:5]
	v_add_co_u32 v4, s0, s14, v4
	v_add_co_ci_u32_e64 v5, null, s15, v5, s0
	global_load_dword v2, v[4:5], off
.LBB11_19:
	s_or_b32 exec_lo, exec_lo, s1
	v_mov_b32_e32 v8, 0
	v_mov_b32_e32 v7, v8
	;; [unrolled: 1-line block ×4, first 2 shown]
	s_and_saveexec_b32 s1, vcc_lo
	s_cbranch_execz .LBB11_23
; %bb.20:
	s_mov_b32 s0, exec_lo
	s_waitcnt vmcnt(0)
	v_cmpx_nlg_f32_e64 0x7f800000, |v10|
	s_cbranch_execz .LBB11_22
; %bb.21:
	v_mov_b32_e32 v4, 0
	v_mov_b32_e32 v5, 1.0
	global_store_dword v4, v5, s[8:9]
.LBB11_22:
	s_or_b32 exec_lo, exec_lo, s0
	v_mov_b32_e32 v7, 0
	global_load_dword v4, v7, s[10:11]
	v_mov_b32_e32 v5, v7
	s_waitcnt vmcnt(0)
	v_mul_f32_e32 v8, v10, v4
	v_cmp_eq_f32_e64 s0, 1.0, v4
	v_mov_b32_e32 v4, v7
	v_cndmask_b32_e64 v8, v8, v10, s0
.LBB11_23:
	s_or_b32 exec_lo, exec_lo, s1
	s_mov_b32 s1, exec_lo
	v_cmpx_gt_i32_e64 s4, v3
	s_cbranch_execz .LBB11_27
; %bb.24:
	s_mov_b32 s0, exec_lo
	s_waitcnt vmcnt(0)
	v_cmpx_nlg_f32_e64 0x7f800000, |v6|
	s_cbranch_execz .LBB11_26
; %bb.25:
	v_mov_b32_e32 v7, 0
	v_mov_b32_e32 v10, 1.0
	global_store_dword v7, v10, s[8:9]
.LBB11_26:
	s_or_b32 exec_lo, exec_lo, s0
	v_mov_b32_e32 v7, 0
	global_load_dword v7, v7, s[10:11]
	s_waitcnt vmcnt(0)
	v_mul_f32_e32 v10, v6, v7
	v_cmp_eq_f32_e64 s0, 1.0, v7
	v_cndmask_b32_e64 v7, v10, v6, s0
.LBB11_27:
	s_or_b32 exec_lo, exec_lo, s1
	s_waitcnt vmcnt(0)
	v_or_b32_e32 v6, 0x200, v0
	s_mov_b32 s1, exec_lo
	v_cmpx_gt_i32_e64 s4, v6
	s_cbranch_execz .LBB11_31
; %bb.28:
	s_mov_b32 s0, exec_lo
	v_cmpx_nlg_f32_e64 0x7f800000, |v9|
	s_cbranch_execz .LBB11_30
; %bb.29:
	v_mov_b32_e32 v5, 0
	v_mov_b32_e32 v6, 1.0
	global_store_dword v5, v6, s[8:9]
.LBB11_30:
	s_or_b32 exec_lo, exec_lo, s0
	v_mov_b32_e32 v5, 0
	global_load_dword v5, v5, s[10:11]
	s_waitcnt vmcnt(0)
	v_mul_f32_e32 v6, v9, v5
	v_cmp_eq_f32_e64 s0, 1.0, v5
	v_cndmask_b32_e64 v5, v6, v9, s0
.LBB11_31:
	s_or_b32 exec_lo, exec_lo, s1
	v_or_b32_e32 v6, 0x300, v0
	s_mov_b32 s1, exec_lo
	v_cmpx_gt_i32_e64 s4, v6
	s_cbranch_execnz .LBB11_38
; %bb.32:
	s_or_b32 exec_lo, exec_lo, s1
	s_and_saveexec_b32 s0, vcc_lo
	s_xor_b32 s0, exec_lo, s0
	s_cbranch_execnz .LBB11_41
.LBB11_33:
	s_or_b32 exec_lo, exec_lo, s0
	s_mov_b32 s0, exec_lo
	v_cmpx_gt_i32_e64 s4, v0
	s_cbranch_execnz .LBB11_42
.LBB11_34:
	s_or_b32 exec_lo, exec_lo, s0
	s_mov_b32 s0, exec_lo
	v_cmpx_gt_i32_e64 s4, v0
	s_cbranch_execnz .LBB11_43
.LBB11_35:
	s_or_b32 exec_lo, exec_lo, s0
	s_mov_b32 s0, exec_lo
	v_cmpx_gt_i32_e64 s4, v0
	s_cbranch_execz .LBB11_37
.LBB11_36:
	v_add_nc_u32_e32 v0, s2, v0
	v_mov_b32_e32 v1, 0
	v_lshlrev_b64 v[0:1], 2, v[0:1]
	v_add_co_u32 v0, vcc_lo, s12, v0
	v_add_co_ci_u32_e64 v1, null, s13, v1, vcc_lo
	global_store_dword v[0:1], v4, off
.LBB11_37:
	s_endpgm
.LBB11_38:
	s_mov_b32 s0, exec_lo
	v_cmpx_nlg_f32_e64 0x7f800000, |v2|
	s_cbranch_execz .LBB11_40
; %bb.39:
	v_mov_b32_e32 v4, 0
	v_mov_b32_e32 v6, 1.0
	global_store_dword v4, v6, s[8:9]
.LBB11_40:
	s_or_b32 exec_lo, exec_lo, s0
	v_mov_b32_e32 v4, 0
	global_load_dword v4, v4, s[10:11]
	s_waitcnt vmcnt(0)
	v_mul_f32_e32 v6, v2, v4
	v_cmp_eq_f32_e64 s0, 1.0, v4
	v_cndmask_b32_e64 v4, v6, v2, s0
	s_or_b32 exec_lo, exec_lo, s1
	s_and_saveexec_b32 s0, vcc_lo
	s_xor_b32 s0, exec_lo, s0
	s_cbranch_execz .LBB11_33
.LBB11_41:
	v_mov_b32_e32 v2, 0
	v_lshlrev_b64 v[0:1], 2, v[1:2]
	v_add_co_u32 v9, vcc_lo, s12, v0
	v_add_co_ci_u32_e64 v10, null, s13, v1, vcc_lo
	v_mov_b32_e32 v0, v3
	global_store_dword v[9:10], v8, off
	s_or_b32 exec_lo, exec_lo, s0
	s_mov_b32 s0, exec_lo
	v_cmpx_gt_i32_e64 s4, v0
	s_cbranch_execz .LBB11_34
.LBB11_42:
	v_add_nc_u32_e32 v1, s2, v0
	v_mov_b32_e32 v2, 0
	v_add_nc_u32_e32 v0, 0x100, v0
	v_lshlrev_b64 v[1:2], 2, v[1:2]
	v_add_co_u32 v1, vcc_lo, s12, v1
	v_add_co_ci_u32_e64 v2, null, s13, v2, vcc_lo
	global_store_dword v[1:2], v7, off
	s_or_b32 exec_lo, exec_lo, s0
	s_mov_b32 s0, exec_lo
	v_cmpx_gt_i32_e64 s4, v0
	s_cbranch_execz .LBB11_35
.LBB11_43:
	v_add_nc_u32_e32 v1, s2, v0
	v_mov_b32_e32 v2, 0
	v_add_nc_u32_e32 v0, 0x100, v0
	v_lshlrev_b64 v[1:2], 2, v[1:2]
	v_add_co_u32 v1, vcc_lo, s12, v1
	v_add_co_ci_u32_e64 v2, null, s13, v2, vcc_lo
	global_store_dword v[1:2], v5, off
	s_or_b32 exec_lo, exec_lo, s0
	s_mov_b32 s0, exec_lo
	v_cmpx_gt_i32_e64 s4, v0
	s_cbranch_execnz .LBB11_36
	s_branch .LBB11_37
	.section	.rodata,"a",@progbits
	.p2align	6, 0x0
	.amdhsa_kernel _ZN2at6native29vectorized_elementwise_kernelILi4EZZZNS0_12_GLOBAL__N_139_amp_non_finite_check_and_unscale_cuda_ERNS_6TensorES4_RKS3_ENKUlvE_clEvENKUlvE0_clEvEUlfE_St5arrayIPcLm2EEEEviT0_T1_
		.amdhsa_group_segment_fixed_size 0
		.amdhsa_private_segment_fixed_size 0
		.amdhsa_kernarg_size 40
		.amdhsa_user_sgpr_count 6
		.amdhsa_user_sgpr_private_segment_buffer 1
		.amdhsa_user_sgpr_dispatch_ptr 0
		.amdhsa_user_sgpr_queue_ptr 0
		.amdhsa_user_sgpr_kernarg_segment_ptr 1
		.amdhsa_user_sgpr_dispatch_id 0
		.amdhsa_user_sgpr_flat_scratch_init 0
		.amdhsa_user_sgpr_private_segment_size 0
		.amdhsa_wavefront_size32 1
		.amdhsa_uses_dynamic_stack 0
		.amdhsa_system_sgpr_private_segment_wavefront_offset 0
		.amdhsa_system_sgpr_workgroup_id_x 1
		.amdhsa_system_sgpr_workgroup_id_y 0
		.amdhsa_system_sgpr_workgroup_id_z 0
		.amdhsa_system_sgpr_workgroup_info 0
		.amdhsa_system_vgpr_workitem_id 0
		.amdhsa_next_free_vgpr 14
		.amdhsa_next_free_sgpr 16
		.amdhsa_reserve_vcc 1
		.amdhsa_reserve_flat_scratch 0
		.amdhsa_float_round_mode_32 0
		.amdhsa_float_round_mode_16_64 0
		.amdhsa_float_denorm_mode_32 3
		.amdhsa_float_denorm_mode_16_64 3
		.amdhsa_dx10_clamp 1
		.amdhsa_ieee_mode 1
		.amdhsa_fp16_overflow 0
		.amdhsa_workgroup_processor_mode 1
		.amdhsa_memory_ordered 1
		.amdhsa_forward_progress 1
		.amdhsa_shared_vgpr_count 0
		.amdhsa_exception_fp_ieee_invalid_op 0
		.amdhsa_exception_fp_denorm_src 0
		.amdhsa_exception_fp_ieee_div_zero 0
		.amdhsa_exception_fp_ieee_overflow 0
		.amdhsa_exception_fp_ieee_underflow 0
		.amdhsa_exception_fp_ieee_inexact 0
		.amdhsa_exception_int_div_zero 0
	.end_amdhsa_kernel
	.section	.text._ZN2at6native29vectorized_elementwise_kernelILi4EZZZNS0_12_GLOBAL__N_139_amp_non_finite_check_and_unscale_cuda_ERNS_6TensorES4_RKS3_ENKUlvE_clEvENKUlvE0_clEvEUlfE_St5arrayIPcLm2EEEEviT0_T1_,"axG",@progbits,_ZN2at6native29vectorized_elementwise_kernelILi4EZZZNS0_12_GLOBAL__N_139_amp_non_finite_check_and_unscale_cuda_ERNS_6TensorES4_RKS3_ENKUlvE_clEvENKUlvE0_clEvEUlfE_St5arrayIPcLm2EEEEviT0_T1_,comdat
.Lfunc_end11:
	.size	_ZN2at6native29vectorized_elementwise_kernelILi4EZZZNS0_12_GLOBAL__N_139_amp_non_finite_check_and_unscale_cuda_ERNS_6TensorES4_RKS3_ENKUlvE_clEvENKUlvE0_clEvEUlfE_St5arrayIPcLm2EEEEviT0_T1_, .Lfunc_end11-_ZN2at6native29vectorized_elementwise_kernelILi4EZZZNS0_12_GLOBAL__N_139_amp_non_finite_check_and_unscale_cuda_ERNS_6TensorES4_RKS3_ENKUlvE_clEvENKUlvE0_clEvEUlfE_St5arrayIPcLm2EEEEviT0_T1_
                                        ; -- End function
	.set _ZN2at6native29vectorized_elementwise_kernelILi4EZZZNS0_12_GLOBAL__N_139_amp_non_finite_check_and_unscale_cuda_ERNS_6TensorES4_RKS3_ENKUlvE_clEvENKUlvE0_clEvEUlfE_St5arrayIPcLm2EEEEviT0_T1_.num_vgpr, 14
	.set _ZN2at6native29vectorized_elementwise_kernelILi4EZZZNS0_12_GLOBAL__N_139_amp_non_finite_check_and_unscale_cuda_ERNS_6TensorES4_RKS3_ENKUlvE_clEvENKUlvE0_clEvEUlfE_St5arrayIPcLm2EEEEviT0_T1_.num_agpr, 0
	.set _ZN2at6native29vectorized_elementwise_kernelILi4EZZZNS0_12_GLOBAL__N_139_amp_non_finite_check_and_unscale_cuda_ERNS_6TensorES4_RKS3_ENKUlvE_clEvENKUlvE0_clEvEUlfE_St5arrayIPcLm2EEEEviT0_T1_.numbered_sgpr, 16
	.set _ZN2at6native29vectorized_elementwise_kernelILi4EZZZNS0_12_GLOBAL__N_139_amp_non_finite_check_and_unscale_cuda_ERNS_6TensorES4_RKS3_ENKUlvE_clEvENKUlvE0_clEvEUlfE_St5arrayIPcLm2EEEEviT0_T1_.num_named_barrier, 0
	.set _ZN2at6native29vectorized_elementwise_kernelILi4EZZZNS0_12_GLOBAL__N_139_amp_non_finite_check_and_unscale_cuda_ERNS_6TensorES4_RKS3_ENKUlvE_clEvENKUlvE0_clEvEUlfE_St5arrayIPcLm2EEEEviT0_T1_.private_seg_size, 0
	.set _ZN2at6native29vectorized_elementwise_kernelILi4EZZZNS0_12_GLOBAL__N_139_amp_non_finite_check_and_unscale_cuda_ERNS_6TensorES4_RKS3_ENKUlvE_clEvENKUlvE0_clEvEUlfE_St5arrayIPcLm2EEEEviT0_T1_.uses_vcc, 1
	.set _ZN2at6native29vectorized_elementwise_kernelILi4EZZZNS0_12_GLOBAL__N_139_amp_non_finite_check_and_unscale_cuda_ERNS_6TensorES4_RKS3_ENKUlvE_clEvENKUlvE0_clEvEUlfE_St5arrayIPcLm2EEEEviT0_T1_.uses_flat_scratch, 0
	.set _ZN2at6native29vectorized_elementwise_kernelILi4EZZZNS0_12_GLOBAL__N_139_amp_non_finite_check_and_unscale_cuda_ERNS_6TensorES4_RKS3_ENKUlvE_clEvENKUlvE0_clEvEUlfE_St5arrayIPcLm2EEEEviT0_T1_.has_dyn_sized_stack, 0
	.set _ZN2at6native29vectorized_elementwise_kernelILi4EZZZNS0_12_GLOBAL__N_139_amp_non_finite_check_and_unscale_cuda_ERNS_6TensorES4_RKS3_ENKUlvE_clEvENKUlvE0_clEvEUlfE_St5arrayIPcLm2EEEEviT0_T1_.has_recursion, 0
	.set _ZN2at6native29vectorized_elementwise_kernelILi4EZZZNS0_12_GLOBAL__N_139_amp_non_finite_check_and_unscale_cuda_ERNS_6TensorES4_RKS3_ENKUlvE_clEvENKUlvE0_clEvEUlfE_St5arrayIPcLm2EEEEviT0_T1_.has_indirect_call, 0
	.section	.AMDGPU.csdata,"",@progbits
; Kernel info:
; codeLenInByte = 1420
; TotalNumSgprs: 18
; NumVgprs: 14
; ScratchSize: 0
; MemoryBound: 0
; FloatMode: 240
; IeeeMode: 1
; LDSByteSize: 0 bytes/workgroup (compile time only)
; SGPRBlocks: 0
; VGPRBlocks: 1
; NumSGPRsForWavesPerEU: 18
; NumVGPRsForWavesPerEU: 14
; Occupancy: 16
; WaveLimiterHint : 0
; COMPUTE_PGM_RSRC2:SCRATCH_EN: 0
; COMPUTE_PGM_RSRC2:USER_SGPR: 6
; COMPUTE_PGM_RSRC2:TRAP_HANDLER: 0
; COMPUTE_PGM_RSRC2:TGID_X_EN: 1
; COMPUTE_PGM_RSRC2:TGID_Y_EN: 0
; COMPUTE_PGM_RSRC2:TGID_Z_EN: 0
; COMPUTE_PGM_RSRC2:TIDIG_COMP_CNT: 0
	.section	.text._ZN2at6native29vectorized_elementwise_kernelILi2EZZZNS0_12_GLOBAL__N_139_amp_non_finite_check_and_unscale_cuda_ERNS_6TensorES4_RKS3_ENKUlvE_clEvENKUlvE0_clEvEUlfE_St5arrayIPcLm2EEEEviT0_T1_,"axG",@progbits,_ZN2at6native29vectorized_elementwise_kernelILi2EZZZNS0_12_GLOBAL__N_139_amp_non_finite_check_and_unscale_cuda_ERNS_6TensorES4_RKS3_ENKUlvE_clEvENKUlvE0_clEvEUlfE_St5arrayIPcLm2EEEEviT0_T1_,comdat
	.globl	_ZN2at6native29vectorized_elementwise_kernelILi2EZZZNS0_12_GLOBAL__N_139_amp_non_finite_check_and_unscale_cuda_ERNS_6TensorES4_RKS3_ENKUlvE_clEvENKUlvE0_clEvEUlfE_St5arrayIPcLm2EEEEviT0_T1_ ; -- Begin function _ZN2at6native29vectorized_elementwise_kernelILi2EZZZNS0_12_GLOBAL__N_139_amp_non_finite_check_and_unscale_cuda_ERNS_6TensorES4_RKS3_ENKUlvE_clEvENKUlvE0_clEvEUlfE_St5arrayIPcLm2EEEEviT0_T1_
	.p2align	8
	.type	_ZN2at6native29vectorized_elementwise_kernelILi2EZZZNS0_12_GLOBAL__N_139_amp_non_finite_check_and_unscale_cuda_ERNS_6TensorES4_RKS3_ENKUlvE_clEvENKUlvE0_clEvEUlfE_St5arrayIPcLm2EEEEviT0_T1_,@function
_ZN2at6native29vectorized_elementwise_kernelILi2EZZZNS0_12_GLOBAL__N_139_amp_non_finite_check_and_unscale_cuda_ERNS_6TensorES4_RKS3_ENKUlvE_clEvENKUlvE0_clEvEUlfE_St5arrayIPcLm2EEEEviT0_T1_: ; @_ZN2at6native29vectorized_elementwise_kernelILi2EZZZNS0_12_GLOBAL__N_139_amp_non_finite_check_and_unscale_cuda_ERNS_6TensorES4_RKS3_ENKUlvE_clEvENKUlvE0_clEvEUlfE_St5arrayIPcLm2EEEEviT0_T1_
; %bb.0:
	s_clause 0x1
	s_load_dword s0, s[4:5], 0x0
	s_load_dwordx8 s[8:15], s[4:5], 0x8
	s_lshl_b32 s2, s6, 10
	s_waitcnt lgkmcnt(0)
	s_sub_i32 s4, s0, s2
	s_mov_b32 s0, -1
	s_cmpk_gt_i32 s4, 0x3ff
	s_cbranch_scc0 .LBB12_10
; %bb.1:
	s_ashr_i32 s3, s2, 31
	v_lshlrev_b32_e32 v5, 3, v0
	s_lshl_b64 s[0:1], s[2:3], 2
	v_mov_b32_e32 v6, 0
	s_add_u32 s6, s14, s0
	s_addc_u32 s7, s15, s1
	v_add_co_u32 v1, s3, s6, v5
	v_add_co_ci_u32_e64 v2, null, s7, 0, s3
	s_mov_b32 s3, exec_lo
	v_add_co_u32 v1, vcc_lo, 0x800, v1
	v_add_co_ci_u32_e64 v2, null, 0, v2, vcc_lo
	s_clause 0x1
	global_load_dwordx2 v[3:4], v5, s[6:7]
	global_load_dwordx2 v[1:2], v[1:2], off
	s_waitcnt vmcnt(1)
	v_cmpx_nlg_f32_e64 0x7f800000, |v3|
	s_cbranch_execz .LBB12_3
; %bb.2:
	v_mov_b32_e32 v7, 1.0
	global_store_dword v6, v7, s[8:9]
.LBB12_3:
	s_or_b32 exec_lo, exec_lo, s3
	global_load_dword v6, v6, s[10:11]
	s_mov_b32 s3, exec_lo
	s_waitcnt vmcnt(0)
	v_mov_b32_e32 v7, v6
	v_cmpx_nlg_f32_e64 0x7f800000, |v4|
	s_cbranch_execz .LBB12_5
; %bb.4:
	v_mov_b32_e32 v7, 0
	v_mov_b32_e32 v8, 1.0
	global_store_dword v7, v8, s[8:9]
	global_load_dword v7, v7, s[10:11]
.LBB12_5:
	s_or_b32 exec_lo, exec_lo, s3
	s_waitcnt vmcnt(0)
	v_mov_b32_e32 v8, v7
	s_mov_b32 s3, exec_lo
	v_cmpx_nlg_f32_e64 0x7f800000, |v1|
	s_cbranch_execz .LBB12_7
; %bb.6:
	v_mov_b32_e32 v8, 0
	v_mov_b32_e32 v9, 1.0
	global_store_dword v8, v9, s[8:9]
	global_load_dword v8, v8, s[10:11]
.LBB12_7:
	s_or_b32 exec_lo, exec_lo, s3
	s_waitcnt vmcnt(0)
	v_mov_b32_e32 v9, v8
	s_mov_b32 s3, exec_lo
	v_cmpx_nlg_f32_e64 0x7f800000, |v2|
	s_cbranch_execz .LBB12_9
; %bb.8:
	v_mov_b32_e32 v9, 0
	v_mov_b32_e32 v10, 1.0
	global_store_dword v9, v10, s[8:9]
	global_load_dword v9, v9, s[10:11]
.LBB12_9:
	s_or_b32 exec_lo, exec_lo, s3
	v_mul_f32_e32 v10, v3, v6
	v_cmp_eq_f32_e32 vcc_lo, 1.0, v6
	v_mul_f32_e32 v11, v4, v7
	v_mul_f32_e32 v12, v1, v8
	s_add_u32 s0, s12, s0
	s_waitcnt vmcnt(0)
	v_mul_f32_e32 v6, v2, v9
	v_cndmask_b32_e32 v3, v10, v3, vcc_lo
	v_cmp_eq_f32_e32 vcc_lo, 1.0, v7
	s_addc_u32 s1, s13, s1
	v_add_co_u32 v7, s3, s0, v5
	v_cndmask_b32_e32 v4, v11, v4, vcc_lo
	v_cmp_eq_f32_e32 vcc_lo, 1.0, v8
	v_add_co_ci_u32_e64 v8, null, s1, 0, s3
	global_store_dwordx2 v5, v[3:4], s[0:1]
	v_cndmask_b32_e32 v1, v12, v1, vcc_lo
	v_cmp_eq_f32_e32 vcc_lo, 1.0, v9
	s_mov_b32 s0, 0
	v_cndmask_b32_e32 v2, v6, v2, vcc_lo
	v_add_co_u32 v6, vcc_lo, 0x800, v7
	v_add_co_ci_u32_e64 v7, null, 0, v8, vcc_lo
	global_store_dwordx2 v[6:7], v[1:2], off
.LBB12_10:
	s_and_b32 vcc_lo, exec_lo, s0
	s_cbranch_vccz .LBB12_37
; %bb.11:
	v_cmp_gt_i32_e32 vcc_lo, s4, v0
	v_mov_b32_e32 v6, 0
	v_or_b32_e32 v1, s2, v0
	v_or_b32_e32 v3, 0x100, v0
	v_mov_b32_e32 v10, 0
	v_mov_b32_e32 v4, v0
	s_and_saveexec_b32 s1, vcc_lo
	s_cbranch_execz .LBB12_13
; %bb.12:
	v_mov_b32_e32 v2, 0
	v_lshlrev_b64 v[4:5], 2, v[1:2]
	v_add_co_u32 v4, s0, s14, v4
	v_add_co_ci_u32_e64 v5, null, s15, v5, s0
	global_load_dword v10, v[4:5], off
	v_or_b32_e32 v4, 0x100, v0
.LBB12_13:
	s_or_b32 exec_lo, exec_lo, s1
	s_mov_b32 s1, exec_lo
	v_cmpx_gt_i32_e64 s4, v4
	s_cbranch_execz .LBB12_15
; %bb.14:
	v_add_nc_u32_e32 v5, s2, v4
	v_mov_b32_e32 v6, 0
	v_add_nc_u32_e32 v4, 0x100, v4
	v_lshlrev_b64 v[5:6], 2, v[5:6]
	v_add_co_u32 v5, s0, s14, v5
	v_add_co_ci_u32_e64 v6, null, s15, v6, s0
	global_load_dword v6, v[5:6], off
.LBB12_15:
	s_or_b32 exec_lo, exec_lo, s1
	v_mov_b32_e32 v2, 0
	v_mov_b32_e32 v9, 0
	s_mov_b32 s1, exec_lo
	v_cmpx_gt_i32_e64 s4, v4
	s_cbranch_execz .LBB12_17
; %bb.16:
	v_add_nc_u32_e32 v7, s2, v4
	v_mov_b32_e32 v8, 0
	v_add_nc_u32_e32 v4, 0x100, v4
	v_lshlrev_b64 v[7:8], 2, v[7:8]
	v_add_co_u32 v7, s0, s14, v7
	v_add_co_ci_u32_e64 v8, null, s15, v8, s0
	global_load_dword v9, v[7:8], off
.LBB12_17:
	s_or_b32 exec_lo, exec_lo, s1
	s_mov_b32 s1, exec_lo
	v_cmpx_gt_i32_e64 s4, v4
	s_cbranch_execz .LBB12_19
; %bb.18:
	v_add_nc_u32_e32 v4, s2, v4
	v_mov_b32_e32 v5, 0
	v_lshlrev_b64 v[4:5], 2, v[4:5]
	v_add_co_u32 v4, s0, s14, v4
	v_add_co_ci_u32_e64 v5, null, s15, v5, s0
	global_load_dword v2, v[4:5], off
.LBB12_19:
	s_or_b32 exec_lo, exec_lo, s1
	v_mov_b32_e32 v8, 0
	v_mov_b32_e32 v7, v8
	;; [unrolled: 1-line block ×4, first 2 shown]
	s_and_saveexec_b32 s1, vcc_lo
	s_cbranch_execz .LBB12_23
; %bb.20:
	s_mov_b32 s0, exec_lo
	s_waitcnt vmcnt(0)
	v_cmpx_nlg_f32_e64 0x7f800000, |v10|
	s_cbranch_execz .LBB12_22
; %bb.21:
	v_mov_b32_e32 v4, 0
	v_mov_b32_e32 v5, 1.0
	global_store_dword v4, v5, s[8:9]
.LBB12_22:
	s_or_b32 exec_lo, exec_lo, s0
	v_mov_b32_e32 v7, 0
	global_load_dword v4, v7, s[10:11]
	v_mov_b32_e32 v5, v7
	s_waitcnt vmcnt(0)
	v_mul_f32_e32 v8, v10, v4
	v_cmp_eq_f32_e64 s0, 1.0, v4
	v_mov_b32_e32 v4, v7
	v_cndmask_b32_e64 v8, v8, v10, s0
.LBB12_23:
	s_or_b32 exec_lo, exec_lo, s1
	s_mov_b32 s1, exec_lo
	v_cmpx_gt_i32_e64 s4, v3
	s_cbranch_execz .LBB12_27
; %bb.24:
	s_mov_b32 s0, exec_lo
	s_waitcnt vmcnt(0)
	v_cmpx_nlg_f32_e64 0x7f800000, |v6|
	s_cbranch_execz .LBB12_26
; %bb.25:
	v_mov_b32_e32 v7, 0
	v_mov_b32_e32 v10, 1.0
	global_store_dword v7, v10, s[8:9]
.LBB12_26:
	s_or_b32 exec_lo, exec_lo, s0
	v_mov_b32_e32 v7, 0
	global_load_dword v7, v7, s[10:11]
	s_waitcnt vmcnt(0)
	v_mul_f32_e32 v10, v6, v7
	v_cmp_eq_f32_e64 s0, 1.0, v7
	v_cndmask_b32_e64 v7, v10, v6, s0
.LBB12_27:
	s_or_b32 exec_lo, exec_lo, s1
	s_waitcnt vmcnt(0)
	v_or_b32_e32 v6, 0x200, v0
	s_mov_b32 s1, exec_lo
	v_cmpx_gt_i32_e64 s4, v6
	s_cbranch_execz .LBB12_31
; %bb.28:
	s_mov_b32 s0, exec_lo
	v_cmpx_nlg_f32_e64 0x7f800000, |v9|
	s_cbranch_execz .LBB12_30
; %bb.29:
	v_mov_b32_e32 v5, 0
	v_mov_b32_e32 v6, 1.0
	global_store_dword v5, v6, s[8:9]
.LBB12_30:
	s_or_b32 exec_lo, exec_lo, s0
	v_mov_b32_e32 v5, 0
	global_load_dword v5, v5, s[10:11]
	s_waitcnt vmcnt(0)
	v_mul_f32_e32 v6, v9, v5
	v_cmp_eq_f32_e64 s0, 1.0, v5
	v_cndmask_b32_e64 v5, v6, v9, s0
.LBB12_31:
	s_or_b32 exec_lo, exec_lo, s1
	v_or_b32_e32 v6, 0x300, v0
	s_mov_b32 s1, exec_lo
	v_cmpx_gt_i32_e64 s4, v6
	s_cbranch_execnz .LBB12_38
; %bb.32:
	s_or_b32 exec_lo, exec_lo, s1
	s_and_saveexec_b32 s0, vcc_lo
	s_xor_b32 s0, exec_lo, s0
	s_cbranch_execnz .LBB12_41
.LBB12_33:
	s_or_b32 exec_lo, exec_lo, s0
	s_mov_b32 s0, exec_lo
	v_cmpx_gt_i32_e64 s4, v0
	s_cbranch_execnz .LBB12_42
.LBB12_34:
	s_or_b32 exec_lo, exec_lo, s0
	s_mov_b32 s0, exec_lo
	v_cmpx_gt_i32_e64 s4, v0
	s_cbranch_execnz .LBB12_43
.LBB12_35:
	s_or_b32 exec_lo, exec_lo, s0
	s_mov_b32 s0, exec_lo
	v_cmpx_gt_i32_e64 s4, v0
	s_cbranch_execz .LBB12_37
.LBB12_36:
	v_add_nc_u32_e32 v0, s2, v0
	v_mov_b32_e32 v1, 0
	v_lshlrev_b64 v[0:1], 2, v[0:1]
	v_add_co_u32 v0, vcc_lo, s12, v0
	v_add_co_ci_u32_e64 v1, null, s13, v1, vcc_lo
	global_store_dword v[0:1], v4, off
.LBB12_37:
	s_endpgm
.LBB12_38:
	s_mov_b32 s0, exec_lo
	v_cmpx_nlg_f32_e64 0x7f800000, |v2|
	s_cbranch_execz .LBB12_40
; %bb.39:
	v_mov_b32_e32 v4, 0
	v_mov_b32_e32 v6, 1.0
	global_store_dword v4, v6, s[8:9]
.LBB12_40:
	s_or_b32 exec_lo, exec_lo, s0
	v_mov_b32_e32 v4, 0
	global_load_dword v4, v4, s[10:11]
	s_waitcnt vmcnt(0)
	v_mul_f32_e32 v6, v2, v4
	v_cmp_eq_f32_e64 s0, 1.0, v4
	v_cndmask_b32_e64 v4, v6, v2, s0
	s_or_b32 exec_lo, exec_lo, s1
	s_and_saveexec_b32 s0, vcc_lo
	s_xor_b32 s0, exec_lo, s0
	s_cbranch_execz .LBB12_33
.LBB12_41:
	v_mov_b32_e32 v2, 0
	v_lshlrev_b64 v[0:1], 2, v[1:2]
	v_add_co_u32 v9, vcc_lo, s12, v0
	v_add_co_ci_u32_e64 v10, null, s13, v1, vcc_lo
	v_mov_b32_e32 v0, v3
	global_store_dword v[9:10], v8, off
	s_or_b32 exec_lo, exec_lo, s0
	s_mov_b32 s0, exec_lo
	v_cmpx_gt_i32_e64 s4, v0
	s_cbranch_execz .LBB12_34
.LBB12_42:
	v_add_nc_u32_e32 v1, s2, v0
	v_mov_b32_e32 v2, 0
	v_add_nc_u32_e32 v0, 0x100, v0
	v_lshlrev_b64 v[1:2], 2, v[1:2]
	v_add_co_u32 v1, vcc_lo, s12, v1
	v_add_co_ci_u32_e64 v2, null, s13, v2, vcc_lo
	global_store_dword v[1:2], v7, off
	s_or_b32 exec_lo, exec_lo, s0
	s_mov_b32 s0, exec_lo
	v_cmpx_gt_i32_e64 s4, v0
	s_cbranch_execz .LBB12_35
.LBB12_43:
	v_add_nc_u32_e32 v1, s2, v0
	v_mov_b32_e32 v2, 0
	v_add_nc_u32_e32 v0, 0x100, v0
	v_lshlrev_b64 v[1:2], 2, v[1:2]
	v_add_co_u32 v1, vcc_lo, s12, v1
	v_add_co_ci_u32_e64 v2, null, s13, v2, vcc_lo
	global_store_dword v[1:2], v5, off
	s_or_b32 exec_lo, exec_lo, s0
	s_mov_b32 s0, exec_lo
	v_cmpx_gt_i32_e64 s4, v0
	s_cbranch_execnz .LBB12_36
	s_branch .LBB12_37
	.section	.rodata,"a",@progbits
	.p2align	6, 0x0
	.amdhsa_kernel _ZN2at6native29vectorized_elementwise_kernelILi2EZZZNS0_12_GLOBAL__N_139_amp_non_finite_check_and_unscale_cuda_ERNS_6TensorES4_RKS3_ENKUlvE_clEvENKUlvE0_clEvEUlfE_St5arrayIPcLm2EEEEviT0_T1_
		.amdhsa_group_segment_fixed_size 0
		.amdhsa_private_segment_fixed_size 0
		.amdhsa_kernarg_size 40
		.amdhsa_user_sgpr_count 6
		.amdhsa_user_sgpr_private_segment_buffer 1
		.amdhsa_user_sgpr_dispatch_ptr 0
		.amdhsa_user_sgpr_queue_ptr 0
		.amdhsa_user_sgpr_kernarg_segment_ptr 1
		.amdhsa_user_sgpr_dispatch_id 0
		.amdhsa_user_sgpr_flat_scratch_init 0
		.amdhsa_user_sgpr_private_segment_size 0
		.amdhsa_wavefront_size32 1
		.amdhsa_uses_dynamic_stack 0
		.amdhsa_system_sgpr_private_segment_wavefront_offset 0
		.amdhsa_system_sgpr_workgroup_id_x 1
		.amdhsa_system_sgpr_workgroup_id_y 0
		.amdhsa_system_sgpr_workgroup_id_z 0
		.amdhsa_system_sgpr_workgroup_info 0
		.amdhsa_system_vgpr_workitem_id 0
		.amdhsa_next_free_vgpr 13
		.amdhsa_next_free_sgpr 16
		.amdhsa_reserve_vcc 1
		.amdhsa_reserve_flat_scratch 0
		.amdhsa_float_round_mode_32 0
		.amdhsa_float_round_mode_16_64 0
		.amdhsa_float_denorm_mode_32 3
		.amdhsa_float_denorm_mode_16_64 3
		.amdhsa_dx10_clamp 1
		.amdhsa_ieee_mode 1
		.amdhsa_fp16_overflow 0
		.amdhsa_workgroup_processor_mode 1
		.amdhsa_memory_ordered 1
		.amdhsa_forward_progress 1
		.amdhsa_shared_vgpr_count 0
		.amdhsa_exception_fp_ieee_invalid_op 0
		.amdhsa_exception_fp_denorm_src 0
		.amdhsa_exception_fp_ieee_div_zero 0
		.amdhsa_exception_fp_ieee_overflow 0
		.amdhsa_exception_fp_ieee_underflow 0
		.amdhsa_exception_fp_ieee_inexact 0
		.amdhsa_exception_int_div_zero 0
	.end_amdhsa_kernel
	.section	.text._ZN2at6native29vectorized_elementwise_kernelILi2EZZZNS0_12_GLOBAL__N_139_amp_non_finite_check_and_unscale_cuda_ERNS_6TensorES4_RKS3_ENKUlvE_clEvENKUlvE0_clEvEUlfE_St5arrayIPcLm2EEEEviT0_T1_,"axG",@progbits,_ZN2at6native29vectorized_elementwise_kernelILi2EZZZNS0_12_GLOBAL__N_139_amp_non_finite_check_and_unscale_cuda_ERNS_6TensorES4_RKS3_ENKUlvE_clEvENKUlvE0_clEvEUlfE_St5arrayIPcLm2EEEEviT0_T1_,comdat
.Lfunc_end12:
	.size	_ZN2at6native29vectorized_elementwise_kernelILi2EZZZNS0_12_GLOBAL__N_139_amp_non_finite_check_and_unscale_cuda_ERNS_6TensorES4_RKS3_ENKUlvE_clEvENKUlvE0_clEvEUlfE_St5arrayIPcLm2EEEEviT0_T1_, .Lfunc_end12-_ZN2at6native29vectorized_elementwise_kernelILi2EZZZNS0_12_GLOBAL__N_139_amp_non_finite_check_and_unscale_cuda_ERNS_6TensorES4_RKS3_ENKUlvE_clEvENKUlvE0_clEvEUlfE_St5arrayIPcLm2EEEEviT0_T1_
                                        ; -- End function
	.set _ZN2at6native29vectorized_elementwise_kernelILi2EZZZNS0_12_GLOBAL__N_139_amp_non_finite_check_and_unscale_cuda_ERNS_6TensorES4_RKS3_ENKUlvE_clEvENKUlvE0_clEvEUlfE_St5arrayIPcLm2EEEEviT0_T1_.num_vgpr, 13
	.set _ZN2at6native29vectorized_elementwise_kernelILi2EZZZNS0_12_GLOBAL__N_139_amp_non_finite_check_and_unscale_cuda_ERNS_6TensorES4_RKS3_ENKUlvE_clEvENKUlvE0_clEvEUlfE_St5arrayIPcLm2EEEEviT0_T1_.num_agpr, 0
	.set _ZN2at6native29vectorized_elementwise_kernelILi2EZZZNS0_12_GLOBAL__N_139_amp_non_finite_check_and_unscale_cuda_ERNS_6TensorES4_RKS3_ENKUlvE_clEvENKUlvE0_clEvEUlfE_St5arrayIPcLm2EEEEviT0_T1_.numbered_sgpr, 16
	.set _ZN2at6native29vectorized_elementwise_kernelILi2EZZZNS0_12_GLOBAL__N_139_amp_non_finite_check_and_unscale_cuda_ERNS_6TensorES4_RKS3_ENKUlvE_clEvENKUlvE0_clEvEUlfE_St5arrayIPcLm2EEEEviT0_T1_.num_named_barrier, 0
	.set _ZN2at6native29vectorized_elementwise_kernelILi2EZZZNS0_12_GLOBAL__N_139_amp_non_finite_check_and_unscale_cuda_ERNS_6TensorES4_RKS3_ENKUlvE_clEvENKUlvE0_clEvEUlfE_St5arrayIPcLm2EEEEviT0_T1_.private_seg_size, 0
	.set _ZN2at6native29vectorized_elementwise_kernelILi2EZZZNS0_12_GLOBAL__N_139_amp_non_finite_check_and_unscale_cuda_ERNS_6TensorES4_RKS3_ENKUlvE_clEvENKUlvE0_clEvEUlfE_St5arrayIPcLm2EEEEviT0_T1_.uses_vcc, 1
	.set _ZN2at6native29vectorized_elementwise_kernelILi2EZZZNS0_12_GLOBAL__N_139_amp_non_finite_check_and_unscale_cuda_ERNS_6TensorES4_RKS3_ENKUlvE_clEvENKUlvE0_clEvEUlfE_St5arrayIPcLm2EEEEviT0_T1_.uses_flat_scratch, 0
	.set _ZN2at6native29vectorized_elementwise_kernelILi2EZZZNS0_12_GLOBAL__N_139_amp_non_finite_check_and_unscale_cuda_ERNS_6TensorES4_RKS3_ENKUlvE_clEvENKUlvE0_clEvEUlfE_St5arrayIPcLm2EEEEviT0_T1_.has_dyn_sized_stack, 0
	.set _ZN2at6native29vectorized_elementwise_kernelILi2EZZZNS0_12_GLOBAL__N_139_amp_non_finite_check_and_unscale_cuda_ERNS_6TensorES4_RKS3_ENKUlvE_clEvENKUlvE0_clEvEUlfE_St5arrayIPcLm2EEEEviT0_T1_.has_recursion, 0
	.set _ZN2at6native29vectorized_elementwise_kernelILi2EZZZNS0_12_GLOBAL__N_139_amp_non_finite_check_and_unscale_cuda_ERNS_6TensorES4_RKS3_ENKUlvE_clEvENKUlvE0_clEvEUlfE_St5arrayIPcLm2EEEEviT0_T1_.has_indirect_call, 0
	.section	.AMDGPU.csdata,"",@progbits
; Kernel info:
; codeLenInByte = 1512
; TotalNumSgprs: 18
; NumVgprs: 13
; ScratchSize: 0
; MemoryBound: 0
; FloatMode: 240
; IeeeMode: 1
; LDSByteSize: 0 bytes/workgroup (compile time only)
; SGPRBlocks: 0
; VGPRBlocks: 1
; NumSGPRsForWavesPerEU: 18
; NumVGPRsForWavesPerEU: 13
; Occupancy: 16
; WaveLimiterHint : 1
; COMPUTE_PGM_RSRC2:SCRATCH_EN: 0
; COMPUTE_PGM_RSRC2:USER_SGPR: 6
; COMPUTE_PGM_RSRC2:TRAP_HANDLER: 0
; COMPUTE_PGM_RSRC2:TGID_X_EN: 1
; COMPUTE_PGM_RSRC2:TGID_Y_EN: 0
; COMPUTE_PGM_RSRC2:TGID_Z_EN: 0
; COMPUTE_PGM_RSRC2:TIDIG_COMP_CNT: 0
	.section	.text._ZN2at6native27unrolled_elementwise_kernelIZZZNS0_12_GLOBAL__N_139_amp_non_finite_check_and_unscale_cuda_ERNS_6TensorES4_RKS3_ENKUlvE_clEvENKUlvE0_clEvEUlfE_St5arrayIPcLm2EELi4E23TrivialOffsetCalculatorILi1EjESE_NS0_6memory15LoadWithoutCastENSF_16StoreWithoutCastEEEviT_T0_T2_T3_T4_T5_,"axG",@progbits,_ZN2at6native27unrolled_elementwise_kernelIZZZNS0_12_GLOBAL__N_139_amp_non_finite_check_and_unscale_cuda_ERNS_6TensorES4_RKS3_ENKUlvE_clEvENKUlvE0_clEvEUlfE_St5arrayIPcLm2EELi4E23TrivialOffsetCalculatorILi1EjESE_NS0_6memory15LoadWithoutCastENSF_16StoreWithoutCastEEEviT_T0_T2_T3_T4_T5_,comdat
	.globl	_ZN2at6native27unrolled_elementwise_kernelIZZZNS0_12_GLOBAL__N_139_amp_non_finite_check_and_unscale_cuda_ERNS_6TensorES4_RKS3_ENKUlvE_clEvENKUlvE0_clEvEUlfE_St5arrayIPcLm2EELi4E23TrivialOffsetCalculatorILi1EjESE_NS0_6memory15LoadWithoutCastENSF_16StoreWithoutCastEEEviT_T0_T2_T3_T4_T5_ ; -- Begin function _ZN2at6native27unrolled_elementwise_kernelIZZZNS0_12_GLOBAL__N_139_amp_non_finite_check_and_unscale_cuda_ERNS_6TensorES4_RKS3_ENKUlvE_clEvENKUlvE0_clEvEUlfE_St5arrayIPcLm2EELi4E23TrivialOffsetCalculatorILi1EjESE_NS0_6memory15LoadWithoutCastENSF_16StoreWithoutCastEEEviT_T0_T2_T3_T4_T5_
	.p2align	8
	.type	_ZN2at6native27unrolled_elementwise_kernelIZZZNS0_12_GLOBAL__N_139_amp_non_finite_check_and_unscale_cuda_ERNS_6TensorES4_RKS3_ENKUlvE_clEvENKUlvE0_clEvEUlfE_St5arrayIPcLm2EELi4E23TrivialOffsetCalculatorILi1EjESE_NS0_6memory15LoadWithoutCastENSF_16StoreWithoutCastEEEviT_T0_T2_T3_T4_T5_,@function
_ZN2at6native27unrolled_elementwise_kernelIZZZNS0_12_GLOBAL__N_139_amp_non_finite_check_and_unscale_cuda_ERNS_6TensorES4_RKS3_ENKUlvE_clEvENKUlvE0_clEvEUlfE_St5arrayIPcLm2EELi4E23TrivialOffsetCalculatorILi1EjESE_NS0_6memory15LoadWithoutCastENSF_16StoreWithoutCastEEEviT_T0_T2_T3_T4_T5_: ; @_ZN2at6native27unrolled_elementwise_kernelIZZZNS0_12_GLOBAL__N_139_amp_non_finite_check_and_unscale_cuda_ERNS_6TensorES4_RKS3_ENKUlvE_clEvENKUlvE0_clEvEUlfE_St5arrayIPcLm2EELi4E23TrivialOffsetCalculatorILi1EjESE_NS0_6memory15LoadWithoutCastENSF_16StoreWithoutCastEEEviT_T0_T2_T3_T4_T5_
; %bb.0:
	s_clause 0x1
	s_load_dword s0, s[4:5], 0x0
	s_load_dwordx8 s[8:15], s[4:5], 0x8
	s_lshl_b32 s1, s6, 10
	v_mov_b32_e32 v6, 0
	v_mov_b32_e32 v10, 0
	v_or_b32_e32 v1, s1, v0
	v_or_b32_e32 v3, 0x100, v0
	v_mov_b32_e32 v4, v0
	s_waitcnt lgkmcnt(0)
	s_sub_i32 s2, s0, s1
	v_cmp_gt_i32_e32 vcc_lo, s2, v0
	s_and_saveexec_b32 s3, vcc_lo
	s_cbranch_execz .LBB13_2
; %bb.1:
	v_mov_b32_e32 v2, 0
	v_lshlrev_b64 v[4:5], 2, v[1:2]
	v_add_co_u32 v4, s0, s14, v4
	v_add_co_ci_u32_e64 v5, null, s15, v5, s0
	global_load_dword v10, v[4:5], off
	v_or_b32_e32 v4, 0x100, v0
.LBB13_2:
	s_or_b32 exec_lo, exec_lo, s3
	s_mov_b32 s3, exec_lo
	v_cmpx_gt_i32_e64 s2, v4
	s_cbranch_execz .LBB13_4
; %bb.3:
	v_add_nc_u32_e32 v5, s1, v4
	v_mov_b32_e32 v6, 0
	v_add_nc_u32_e32 v4, 0x100, v4
	v_lshlrev_b64 v[5:6], 2, v[5:6]
	v_add_co_u32 v5, s0, s14, v5
	v_add_co_ci_u32_e64 v6, null, s15, v6, s0
	global_load_dword v6, v[5:6], off
.LBB13_4:
	s_or_b32 exec_lo, exec_lo, s3
	v_mov_b32_e32 v2, 0
	v_mov_b32_e32 v9, 0
	s_mov_b32 s3, exec_lo
	v_cmpx_gt_i32_e64 s2, v4
	s_cbranch_execz .LBB13_6
; %bb.5:
	v_add_nc_u32_e32 v7, s1, v4
	v_mov_b32_e32 v8, 0
	v_add_nc_u32_e32 v4, 0x100, v4
	v_lshlrev_b64 v[7:8], 2, v[7:8]
	v_add_co_u32 v7, s0, s14, v7
	v_add_co_ci_u32_e64 v8, null, s15, v8, s0
	global_load_dword v9, v[7:8], off
.LBB13_6:
	s_or_b32 exec_lo, exec_lo, s3
	s_mov_b32 s3, exec_lo
	v_cmpx_gt_i32_e64 s2, v4
	s_cbranch_execz .LBB13_8
; %bb.7:
	v_add_nc_u32_e32 v4, s1, v4
	v_mov_b32_e32 v5, 0
	v_lshlrev_b64 v[4:5], 2, v[4:5]
	v_add_co_u32 v4, s0, s14, v4
	v_add_co_ci_u32_e64 v5, null, s15, v5, s0
	global_load_dword v2, v[4:5], off
.LBB13_8:
	s_or_b32 exec_lo, exec_lo, s3
	v_mov_b32_e32 v8, 0
	v_mov_b32_e32 v7, v8
	;; [unrolled: 1-line block ×4, first 2 shown]
	s_and_saveexec_b32 s3, vcc_lo
	s_cbranch_execz .LBB13_12
; %bb.9:
	s_mov_b32 s0, exec_lo
	s_waitcnt vmcnt(0)
	v_cmpx_nlg_f32_e64 0x7f800000, |v10|
	s_cbranch_execz .LBB13_11
; %bb.10:
	v_mov_b32_e32 v4, 0
	v_mov_b32_e32 v5, 1.0
	global_store_dword v4, v5, s[8:9]
.LBB13_11:
	s_or_b32 exec_lo, exec_lo, s0
	v_mov_b32_e32 v7, 0
	global_load_dword v4, v7, s[10:11]
	v_mov_b32_e32 v5, v7
	s_waitcnt vmcnt(0)
	v_mul_f32_e32 v8, v10, v4
	v_cmp_eq_f32_e64 s0, 1.0, v4
	v_mov_b32_e32 v4, v7
	v_cndmask_b32_e64 v8, v8, v10, s0
.LBB13_12:
	s_or_b32 exec_lo, exec_lo, s3
	s_mov_b32 s3, exec_lo
	v_cmpx_gt_i32_e64 s2, v3
	s_cbranch_execz .LBB13_16
; %bb.13:
	s_mov_b32 s0, exec_lo
	s_waitcnt vmcnt(0)
	v_cmpx_nlg_f32_e64 0x7f800000, |v6|
	s_cbranch_execz .LBB13_15
; %bb.14:
	v_mov_b32_e32 v7, 0
	v_mov_b32_e32 v10, 1.0
	global_store_dword v7, v10, s[8:9]
.LBB13_15:
	s_or_b32 exec_lo, exec_lo, s0
	v_mov_b32_e32 v7, 0
	global_load_dword v7, v7, s[10:11]
	s_waitcnt vmcnt(0)
	v_mul_f32_e32 v10, v6, v7
	v_cmp_eq_f32_e64 s0, 1.0, v7
	v_cndmask_b32_e64 v7, v10, v6, s0
.LBB13_16:
	s_or_b32 exec_lo, exec_lo, s3
	s_waitcnt vmcnt(0)
	v_or_b32_e32 v6, 0x200, v0
	s_mov_b32 s3, exec_lo
	v_cmpx_gt_i32_e64 s2, v6
	s_cbranch_execz .LBB13_20
; %bb.17:
	s_mov_b32 s0, exec_lo
	v_cmpx_nlg_f32_e64 0x7f800000, |v9|
	s_cbranch_execz .LBB13_19
; %bb.18:
	v_mov_b32_e32 v5, 0
	v_mov_b32_e32 v6, 1.0
	global_store_dword v5, v6, s[8:9]
.LBB13_19:
	s_or_b32 exec_lo, exec_lo, s0
	v_mov_b32_e32 v5, 0
	global_load_dword v5, v5, s[10:11]
	s_waitcnt vmcnt(0)
	v_mul_f32_e32 v6, v9, v5
	v_cmp_eq_f32_e64 s0, 1.0, v5
	v_cndmask_b32_e64 v5, v6, v9, s0
.LBB13_20:
	s_or_b32 exec_lo, exec_lo, s3
	v_or_b32_e32 v6, 0x300, v0
	s_mov_b32 s3, exec_lo
	v_cmpx_gt_i32_e64 s2, v6
	s_cbranch_execnz .LBB13_26
; %bb.21:
	s_or_b32 exec_lo, exec_lo, s3
	s_and_saveexec_b32 s0, vcc_lo
	s_xor_b32 s0, exec_lo, s0
	s_cbranch_execnz .LBB13_29
.LBB13_22:
	s_or_b32 exec_lo, exec_lo, s0
	s_mov_b32 s0, exec_lo
	v_cmpx_gt_i32_e64 s2, v0
	s_cbranch_execnz .LBB13_30
.LBB13_23:
	s_or_b32 exec_lo, exec_lo, s0
	s_mov_b32 s0, exec_lo
	v_cmpx_gt_i32_e64 s2, v0
	s_cbranch_execnz .LBB13_31
.LBB13_24:
	s_or_b32 exec_lo, exec_lo, s0
	s_mov_b32 s0, exec_lo
	v_cmpx_gt_i32_e64 s2, v0
	s_cbranch_execnz .LBB13_32
.LBB13_25:
	s_endpgm
.LBB13_26:
	s_mov_b32 s0, exec_lo
	v_cmpx_nlg_f32_e64 0x7f800000, |v2|
	s_cbranch_execz .LBB13_28
; %bb.27:
	v_mov_b32_e32 v4, 0
	v_mov_b32_e32 v6, 1.0
	global_store_dword v4, v6, s[8:9]
.LBB13_28:
	s_or_b32 exec_lo, exec_lo, s0
	v_mov_b32_e32 v4, 0
	global_load_dword v4, v4, s[10:11]
	s_waitcnt vmcnt(0)
	v_mul_f32_e32 v6, v2, v4
	v_cmp_eq_f32_e64 s0, 1.0, v4
	v_cndmask_b32_e64 v4, v6, v2, s0
	s_or_b32 exec_lo, exec_lo, s3
	s_and_saveexec_b32 s0, vcc_lo
	s_xor_b32 s0, exec_lo, s0
	s_cbranch_execz .LBB13_22
.LBB13_29:
	v_mov_b32_e32 v2, 0
	v_lshlrev_b64 v[0:1], 2, v[1:2]
	v_add_co_u32 v9, vcc_lo, s12, v0
	v_add_co_ci_u32_e64 v10, null, s13, v1, vcc_lo
	v_mov_b32_e32 v0, v3
	global_store_dword v[9:10], v8, off
	s_or_b32 exec_lo, exec_lo, s0
	s_mov_b32 s0, exec_lo
	v_cmpx_gt_i32_e64 s2, v0
	s_cbranch_execz .LBB13_23
.LBB13_30:
	v_add_nc_u32_e32 v1, s1, v0
	v_mov_b32_e32 v2, 0
	v_add_nc_u32_e32 v0, 0x100, v0
	v_lshlrev_b64 v[1:2], 2, v[1:2]
	v_add_co_u32 v1, vcc_lo, s12, v1
	v_add_co_ci_u32_e64 v2, null, s13, v2, vcc_lo
	global_store_dword v[1:2], v7, off
	s_or_b32 exec_lo, exec_lo, s0
	s_mov_b32 s0, exec_lo
	v_cmpx_gt_i32_e64 s2, v0
	s_cbranch_execz .LBB13_24
.LBB13_31:
	v_add_nc_u32_e32 v1, s1, v0
	v_mov_b32_e32 v2, 0
	v_add_nc_u32_e32 v0, 0x100, v0
	v_lshlrev_b64 v[1:2], 2, v[1:2]
	v_add_co_u32 v1, vcc_lo, s12, v1
	v_add_co_ci_u32_e64 v2, null, s13, v2, vcc_lo
	global_store_dword v[1:2], v5, off
	s_or_b32 exec_lo, exec_lo, s0
	s_mov_b32 s0, exec_lo
	v_cmpx_gt_i32_e64 s2, v0
	s_cbranch_execz .LBB13_25
.LBB13_32:
	v_add_nc_u32_e32 v0, s1, v0
	v_mov_b32_e32 v1, 0
	v_lshlrev_b64 v[0:1], 2, v[0:1]
	v_add_co_u32 v0, vcc_lo, s12, v0
	v_add_co_ci_u32_e64 v1, null, s13, v1, vcc_lo
	global_store_dword v[0:1], v4, off
	s_endpgm
	.section	.rodata,"a",@progbits
	.p2align	6, 0x0
	.amdhsa_kernel _ZN2at6native27unrolled_elementwise_kernelIZZZNS0_12_GLOBAL__N_139_amp_non_finite_check_and_unscale_cuda_ERNS_6TensorES4_RKS3_ENKUlvE_clEvENKUlvE0_clEvEUlfE_St5arrayIPcLm2EELi4E23TrivialOffsetCalculatorILi1EjESE_NS0_6memory15LoadWithoutCastENSF_16StoreWithoutCastEEEviT_T0_T2_T3_T4_T5_
		.amdhsa_group_segment_fixed_size 0
		.amdhsa_private_segment_fixed_size 0
		.amdhsa_kernarg_size 44
		.amdhsa_user_sgpr_count 6
		.amdhsa_user_sgpr_private_segment_buffer 1
		.amdhsa_user_sgpr_dispatch_ptr 0
		.amdhsa_user_sgpr_queue_ptr 0
		.amdhsa_user_sgpr_kernarg_segment_ptr 1
		.amdhsa_user_sgpr_dispatch_id 0
		.amdhsa_user_sgpr_flat_scratch_init 0
		.amdhsa_user_sgpr_private_segment_size 0
		.amdhsa_wavefront_size32 1
		.amdhsa_uses_dynamic_stack 0
		.amdhsa_system_sgpr_private_segment_wavefront_offset 0
		.amdhsa_system_sgpr_workgroup_id_x 1
		.amdhsa_system_sgpr_workgroup_id_y 0
		.amdhsa_system_sgpr_workgroup_id_z 0
		.amdhsa_system_sgpr_workgroup_info 0
		.amdhsa_system_vgpr_workitem_id 0
		.amdhsa_next_free_vgpr 11
		.amdhsa_next_free_sgpr 16
		.amdhsa_reserve_vcc 1
		.amdhsa_reserve_flat_scratch 0
		.amdhsa_float_round_mode_32 0
		.amdhsa_float_round_mode_16_64 0
		.amdhsa_float_denorm_mode_32 3
		.amdhsa_float_denorm_mode_16_64 3
		.amdhsa_dx10_clamp 1
		.amdhsa_ieee_mode 1
		.amdhsa_fp16_overflow 0
		.amdhsa_workgroup_processor_mode 1
		.amdhsa_memory_ordered 1
		.amdhsa_forward_progress 1
		.amdhsa_shared_vgpr_count 0
		.amdhsa_exception_fp_ieee_invalid_op 0
		.amdhsa_exception_fp_denorm_src 0
		.amdhsa_exception_fp_ieee_div_zero 0
		.amdhsa_exception_fp_ieee_overflow 0
		.amdhsa_exception_fp_ieee_underflow 0
		.amdhsa_exception_fp_ieee_inexact 0
		.amdhsa_exception_int_div_zero 0
	.end_amdhsa_kernel
	.section	.text._ZN2at6native27unrolled_elementwise_kernelIZZZNS0_12_GLOBAL__N_139_amp_non_finite_check_and_unscale_cuda_ERNS_6TensorES4_RKS3_ENKUlvE_clEvENKUlvE0_clEvEUlfE_St5arrayIPcLm2EELi4E23TrivialOffsetCalculatorILi1EjESE_NS0_6memory15LoadWithoutCastENSF_16StoreWithoutCastEEEviT_T0_T2_T3_T4_T5_,"axG",@progbits,_ZN2at6native27unrolled_elementwise_kernelIZZZNS0_12_GLOBAL__N_139_amp_non_finite_check_and_unscale_cuda_ERNS_6TensorES4_RKS3_ENKUlvE_clEvENKUlvE0_clEvEUlfE_St5arrayIPcLm2EELi4E23TrivialOffsetCalculatorILi1EjESE_NS0_6memory15LoadWithoutCastENSF_16StoreWithoutCastEEEviT_T0_T2_T3_T4_T5_,comdat
.Lfunc_end13:
	.size	_ZN2at6native27unrolled_elementwise_kernelIZZZNS0_12_GLOBAL__N_139_amp_non_finite_check_and_unscale_cuda_ERNS_6TensorES4_RKS3_ENKUlvE_clEvENKUlvE0_clEvEUlfE_St5arrayIPcLm2EELi4E23TrivialOffsetCalculatorILi1EjESE_NS0_6memory15LoadWithoutCastENSF_16StoreWithoutCastEEEviT_T0_T2_T3_T4_T5_, .Lfunc_end13-_ZN2at6native27unrolled_elementwise_kernelIZZZNS0_12_GLOBAL__N_139_amp_non_finite_check_and_unscale_cuda_ERNS_6TensorES4_RKS3_ENKUlvE_clEvENKUlvE0_clEvEUlfE_St5arrayIPcLm2EELi4E23TrivialOffsetCalculatorILi1EjESE_NS0_6memory15LoadWithoutCastENSF_16StoreWithoutCastEEEviT_T0_T2_T3_T4_T5_
                                        ; -- End function
	.set _ZN2at6native27unrolled_elementwise_kernelIZZZNS0_12_GLOBAL__N_139_amp_non_finite_check_and_unscale_cuda_ERNS_6TensorES4_RKS3_ENKUlvE_clEvENKUlvE0_clEvEUlfE_St5arrayIPcLm2EELi4E23TrivialOffsetCalculatorILi1EjESE_NS0_6memory15LoadWithoutCastENSF_16StoreWithoutCastEEEviT_T0_T2_T3_T4_T5_.num_vgpr, 11
	.set _ZN2at6native27unrolled_elementwise_kernelIZZZNS0_12_GLOBAL__N_139_amp_non_finite_check_and_unscale_cuda_ERNS_6TensorES4_RKS3_ENKUlvE_clEvENKUlvE0_clEvEUlfE_St5arrayIPcLm2EELi4E23TrivialOffsetCalculatorILi1EjESE_NS0_6memory15LoadWithoutCastENSF_16StoreWithoutCastEEEviT_T0_T2_T3_T4_T5_.num_agpr, 0
	.set _ZN2at6native27unrolled_elementwise_kernelIZZZNS0_12_GLOBAL__N_139_amp_non_finite_check_and_unscale_cuda_ERNS_6TensorES4_RKS3_ENKUlvE_clEvENKUlvE0_clEvEUlfE_St5arrayIPcLm2EELi4E23TrivialOffsetCalculatorILi1EjESE_NS0_6memory15LoadWithoutCastENSF_16StoreWithoutCastEEEviT_T0_T2_T3_T4_T5_.numbered_sgpr, 16
	.set _ZN2at6native27unrolled_elementwise_kernelIZZZNS0_12_GLOBAL__N_139_amp_non_finite_check_and_unscale_cuda_ERNS_6TensorES4_RKS3_ENKUlvE_clEvENKUlvE0_clEvEUlfE_St5arrayIPcLm2EELi4E23TrivialOffsetCalculatorILi1EjESE_NS0_6memory15LoadWithoutCastENSF_16StoreWithoutCastEEEviT_T0_T2_T3_T4_T5_.num_named_barrier, 0
	.set _ZN2at6native27unrolled_elementwise_kernelIZZZNS0_12_GLOBAL__N_139_amp_non_finite_check_and_unscale_cuda_ERNS_6TensorES4_RKS3_ENKUlvE_clEvENKUlvE0_clEvEUlfE_St5arrayIPcLm2EELi4E23TrivialOffsetCalculatorILi1EjESE_NS0_6memory15LoadWithoutCastENSF_16StoreWithoutCastEEEviT_T0_T2_T3_T4_T5_.private_seg_size, 0
	.set _ZN2at6native27unrolled_elementwise_kernelIZZZNS0_12_GLOBAL__N_139_amp_non_finite_check_and_unscale_cuda_ERNS_6TensorES4_RKS3_ENKUlvE_clEvENKUlvE0_clEvEUlfE_St5arrayIPcLm2EELi4E23TrivialOffsetCalculatorILi1EjESE_NS0_6memory15LoadWithoutCastENSF_16StoreWithoutCastEEEviT_T0_T2_T3_T4_T5_.uses_vcc, 1
	.set _ZN2at6native27unrolled_elementwise_kernelIZZZNS0_12_GLOBAL__N_139_amp_non_finite_check_and_unscale_cuda_ERNS_6TensorES4_RKS3_ENKUlvE_clEvENKUlvE0_clEvEUlfE_St5arrayIPcLm2EELi4E23TrivialOffsetCalculatorILi1EjESE_NS0_6memory15LoadWithoutCastENSF_16StoreWithoutCastEEEviT_T0_T2_T3_T4_T5_.uses_flat_scratch, 0
	.set _ZN2at6native27unrolled_elementwise_kernelIZZZNS0_12_GLOBAL__N_139_amp_non_finite_check_and_unscale_cuda_ERNS_6TensorES4_RKS3_ENKUlvE_clEvENKUlvE0_clEvEUlfE_St5arrayIPcLm2EELi4E23TrivialOffsetCalculatorILi1EjESE_NS0_6memory15LoadWithoutCastENSF_16StoreWithoutCastEEEviT_T0_T2_T3_T4_T5_.has_dyn_sized_stack, 0
	.set _ZN2at6native27unrolled_elementwise_kernelIZZZNS0_12_GLOBAL__N_139_amp_non_finite_check_and_unscale_cuda_ERNS_6TensorES4_RKS3_ENKUlvE_clEvENKUlvE0_clEvEUlfE_St5arrayIPcLm2EELi4E23TrivialOffsetCalculatorILi1EjESE_NS0_6memory15LoadWithoutCastENSF_16StoreWithoutCastEEEviT_T0_T2_T3_T4_T5_.has_recursion, 0
	.set _ZN2at6native27unrolled_elementwise_kernelIZZZNS0_12_GLOBAL__N_139_amp_non_finite_check_and_unscale_cuda_ERNS_6TensorES4_RKS3_ENKUlvE_clEvENKUlvE0_clEvEUlfE_St5arrayIPcLm2EELi4E23TrivialOffsetCalculatorILi1EjESE_NS0_6memory15LoadWithoutCastENSF_16StoreWithoutCastEEEviT_T0_T2_T3_T4_T5_.has_indirect_call, 0
	.section	.AMDGPU.csdata,"",@progbits
; Kernel info:
; codeLenInByte = 1080
; TotalNumSgprs: 18
; NumVgprs: 11
; ScratchSize: 0
; MemoryBound: 0
; FloatMode: 240
; IeeeMode: 1
; LDSByteSize: 0 bytes/workgroup (compile time only)
; SGPRBlocks: 0
; VGPRBlocks: 1
; NumSGPRsForWavesPerEU: 18
; NumVGPRsForWavesPerEU: 11
; Occupancy: 16
; WaveLimiterHint : 0
; COMPUTE_PGM_RSRC2:SCRATCH_EN: 0
; COMPUTE_PGM_RSRC2:USER_SGPR: 6
; COMPUTE_PGM_RSRC2:TRAP_HANDLER: 0
; COMPUTE_PGM_RSRC2:TGID_X_EN: 1
; COMPUTE_PGM_RSRC2:TGID_Y_EN: 0
; COMPUTE_PGM_RSRC2:TGID_Z_EN: 0
; COMPUTE_PGM_RSRC2:TIDIG_COMP_CNT: 0
	.section	.text._ZN2at6native32elementwise_kernel_manual_unrollILi128ELi4EZNS0_22gpu_kernel_impl_nocastIZZZNS0_12_GLOBAL__N_139_amp_non_finite_check_and_unscale_cuda_ERNS_6TensorES5_RKS4_ENKUlvE_clEvENKUlvE0_clEvEUlfE_EEvRNS_18TensorIteratorBaseERKT_EUlibE_EEviT1_,"axG",@progbits,_ZN2at6native32elementwise_kernel_manual_unrollILi128ELi4EZNS0_22gpu_kernel_impl_nocastIZZZNS0_12_GLOBAL__N_139_amp_non_finite_check_and_unscale_cuda_ERNS_6TensorES5_RKS4_ENKUlvE_clEvENKUlvE0_clEvEUlfE_EEvRNS_18TensorIteratorBaseERKT_EUlibE_EEviT1_,comdat
	.globl	_ZN2at6native32elementwise_kernel_manual_unrollILi128ELi4EZNS0_22gpu_kernel_impl_nocastIZZZNS0_12_GLOBAL__N_139_amp_non_finite_check_and_unscale_cuda_ERNS_6TensorES5_RKS4_ENKUlvE_clEvENKUlvE0_clEvEUlfE_EEvRNS_18TensorIteratorBaseERKT_EUlibE_EEviT1_ ; -- Begin function _ZN2at6native32elementwise_kernel_manual_unrollILi128ELi4EZNS0_22gpu_kernel_impl_nocastIZZZNS0_12_GLOBAL__N_139_amp_non_finite_check_and_unscale_cuda_ERNS_6TensorES5_RKS4_ENKUlvE_clEvENKUlvE0_clEvEUlfE_EEvRNS_18TensorIteratorBaseERKT_EUlibE_EEviT1_
	.p2align	8
	.type	_ZN2at6native32elementwise_kernel_manual_unrollILi128ELi4EZNS0_22gpu_kernel_impl_nocastIZZZNS0_12_GLOBAL__N_139_amp_non_finite_check_and_unscale_cuda_ERNS_6TensorES5_RKS4_ENKUlvE_clEvENKUlvE0_clEvEUlfE_EEvRNS_18TensorIteratorBaseERKT_EUlibE_EEviT1_,@function
_ZN2at6native32elementwise_kernel_manual_unrollILi128ELi4EZNS0_22gpu_kernel_impl_nocastIZZZNS0_12_GLOBAL__N_139_amp_non_finite_check_and_unscale_cuda_ERNS_6TensorES5_RKS4_ENKUlvE_clEvENKUlvE0_clEvEUlfE_EEvRNS_18TensorIteratorBaseERKT_EUlibE_EEviT1_: ; @_ZN2at6native32elementwise_kernel_manual_unrollILi128ELi4EZNS0_22gpu_kernel_impl_nocastIZZZNS0_12_GLOBAL__N_139_amp_non_finite_check_and_unscale_cuda_ERNS_6TensorES5_RKS4_ENKUlvE_clEvENKUlvE0_clEvEUlfE_EEvRNS_18TensorIteratorBaseERKT_EUlibE_EEviT1_
; %bb.0:
	s_clause 0x1
	s_load_dword s26, s[4:5], 0x8
	s_load_dword s31, s[4:5], 0x0
	v_lshl_or_b32 v7, s6, 9, v0
	s_add_u32 s16, s4, 8
	s_addc_u32 s17, s5, 0
	s_mov_b32 s0, exec_lo
	v_or_b32_e32 v13, 0x180, v7
	s_waitcnt lgkmcnt(0)
	s_add_i32 s27, s26, -1
	s_cmp_gt_u32 s27, 1
	s_cselect_b32 s28, -1, 0
	v_cmpx_le_i32_e64 s31, v13
	s_xor_b32 s29, exec_lo, s0
	s_cbranch_execz .LBB14_7
; %bb.1:
	s_clause 0x3
	s_load_dwordx4 s[12:15], s[16:17], 0x4
	s_load_dwordx2 s[18:19], s[16:17], 0x14
	s_load_dwordx4 s[8:11], s[16:17], 0xc4
	s_load_dwordx8 s[0:7], s[16:17], 0x148
	s_cmp_lg_u32 s26, 0
	s_mov_b32 s35, exec_lo
	s_cselect_b32 s34, -1, 0
	s_add_u32 s20, s16, 0xc4
	s_addc_u32 s21, s17, 0
	s_min_u32 s33, s27, 15
	s_cmp_gt_u32 s26, 1
	s_cselect_b32 s30, -1, 0
	v_cmpx_gt_i32_e64 s31, v7
	s_cbranch_execz .LBB14_14
; %bb.2:
	s_andn2_b32 vcc_lo, exec_lo, s28
	s_cbranch_vccnz .LBB14_21
; %bb.3:
	s_andn2_b32 vcc_lo, exec_lo, s34
	s_cbranch_vccnz .LBB14_81
; %bb.4:
	s_add_i32 s37, s33, 1
	s_cmp_eq_u32 s27, 2
	s_cbranch_scc1 .LBB14_83
; %bb.5:
	v_mov_b32_e32 v2, 0
	v_mov_b32_e32 v0, 0
	;; [unrolled: 1-line block ×3, first 2 shown]
	s_and_b32 s36, s37, 28
	s_mov_b32 s38, 0
	s_mov_b64 s[22:23], s[16:17]
	s_mov_b64 s[24:25], s[20:21]
.LBB14_6:                               ; =>This Inner Loop Header: Depth=1
	s_clause 0x1
	s_load_dwordx8 s[40:47], s[22:23], 0x4
	s_load_dwordx4 s[56:59], s[22:23], 0x24
	s_load_dwordx8 s[48:55], s[24:25], 0x0
	s_add_u32 s22, s22, 48
	s_addc_u32 s23, s23, 0
	s_add_i32 s38, s38, 4
	s_add_u32 s24, s24, 32
	s_addc_u32 s25, s25, 0
	s_cmp_lg_u32 s36, s38
	s_waitcnt lgkmcnt(0)
	v_mul_hi_u32 v3, s41, v1
	v_add_nc_u32_e32 v3, v1, v3
	v_lshrrev_b32_e32 v3, s42, v3
	v_mul_hi_u32 v4, s44, v3
	v_mul_lo_u32 v6, v3, s40
	v_add_nc_u32_e32 v4, v3, v4
	v_sub_nc_u32_e32 v1, v1, v6
	v_lshrrev_b32_e32 v4, s45, v4
	v_mul_lo_u32 v6, v1, s48
	v_mul_lo_u32 v9, v1, s49
	v_mul_hi_u32 v5, s47, v4
	v_add_nc_u32_e32 v5, v4, v5
	v_lshrrev_b32_e32 v5, s56, v5
	v_mul_hi_u32 v8, s58, v5
	v_mul_lo_u32 v10, v5, s46
	v_add_nc_u32_e32 v1, v5, v8
	v_mul_lo_u32 v8, v4, s43
	v_sub_nc_u32_e32 v4, v4, v10
	v_lshrrev_b32_e32 v1, s59, v1
	v_mul_lo_u32 v10, v4, s52
	v_mul_lo_u32 v4, v4, s53
	v_sub_nc_u32_e32 v3, v3, v8
	v_mul_lo_u32 v11, v1, s57
	v_mul_lo_u32 v8, v3, s50
	;; [unrolled: 1-line block ×3, first 2 shown]
	v_sub_nc_u32_e32 v5, v5, v11
	v_add3_u32 v0, v6, v0, v8
	v_mul_lo_u32 v11, v5, s54
	v_mul_lo_u32 v5, v5, s55
	v_add3_u32 v2, v9, v2, v3
	v_add3_u32 v0, v10, v0, v11
	;; [unrolled: 1-line block ×3, first 2 shown]
	s_cbranch_scc1 .LBB14_6
	s_branch .LBB14_84
.LBB14_7:
	s_andn2_saveexec_b32 s0, s29
	s_cbranch_execz .LBB14_113
.LBB14_8:
	v_cndmask_b32_e64 v10, 0, 1, s28
	s_andn2_b32 vcc_lo, exec_lo, s28
	s_cbranch_vccnz .LBB14_20
; %bb.9:
	s_cmp_lg_u32 s26, 0
	s_mov_b32 s4, 0
	s_cbranch_scc0 .LBB14_23
; %bb.10:
	s_min_u32 s6, s27, 15
	s_add_i32 s6, s6, 1
	s_cmp_eq_u32 s27, 2
	s_cbranch_scc1 .LBB14_24
; %bb.11:
	v_mov_b32_e32 v2, 0
	v_mov_b32_e32 v0, 0
	;; [unrolled: 1-line block ×3, first 2 shown]
	s_and_b32 s5, s6, 28
	s_add_u32 s0, s16, 0xc4
	s_addc_u32 s1, s17, 0
	s_mov_b32 s7, 0
	s_mov_b64 s[2:3], s[16:17]
.LBB14_12:                              ; =>This Inner Loop Header: Depth=1
	s_clause 0x1
	s_load_dwordx8 s[8:15], s[2:3], 0x4
	s_load_dwordx4 s[20:23], s[2:3], 0x24
	s_load_dwordx8 s[36:43], s[0:1], 0x0
	s_add_u32 s2, s2, 48
	s_addc_u32 s3, s3, 0
	s_add_i32 s7, s7, 4
	s_add_u32 s0, s0, 32
	s_addc_u32 s1, s1, 0
	s_cmp_lg_u32 s5, s7
	s_waitcnt lgkmcnt(0)
	v_mul_hi_u32 v3, s9, v1
	v_add_nc_u32_e32 v3, v1, v3
	v_lshrrev_b32_e32 v3, s10, v3
	v_mul_hi_u32 v4, s12, v3
	v_mul_lo_u32 v6, v3, s8
	v_add_nc_u32_e32 v4, v3, v4
	v_sub_nc_u32_e32 v1, v1, v6
	v_lshrrev_b32_e32 v4, s13, v4
	v_mul_lo_u32 v6, v1, s36
	v_mul_lo_u32 v9, v1, s37
	v_mul_hi_u32 v5, s15, v4
	v_add_nc_u32_e32 v5, v4, v5
	v_lshrrev_b32_e32 v5, s20, v5
	v_mul_hi_u32 v8, s22, v5
	v_mul_lo_u32 v11, v5, s14
	v_add_nc_u32_e32 v1, v5, v8
	v_mul_lo_u32 v8, v4, s11
	v_sub_nc_u32_e32 v4, v4, v11
	v_lshrrev_b32_e32 v1, s23, v1
	v_mul_lo_u32 v11, v4, s40
	v_mul_lo_u32 v4, v4, s41
	v_sub_nc_u32_e32 v3, v3, v8
	v_mul_lo_u32 v12, v1, s21
	v_mul_lo_u32 v8, v3, s38
	;; [unrolled: 1-line block ×3, first 2 shown]
	v_sub_nc_u32_e32 v5, v5, v12
	v_add3_u32 v0, v6, v0, v8
	v_mul_lo_u32 v12, v5, s42
	v_mul_lo_u32 v5, v5, s43
	v_add3_u32 v2, v9, v2, v3
	v_add3_u32 v0, v11, v0, v12
	;; [unrolled: 1-line block ×3, first 2 shown]
	s_cbranch_scc1 .LBB14_12
; %bb.13:
	s_and_b32 s6, s6, 3
	s_cmp_eq_u32 s6, 0
	s_cbranch_scc0 .LBB14_25
	s_branch .LBB14_27
.LBB14_14:
	s_or_b32 exec_lo, exec_lo, s35
	s_mov_b32 s35, exec_lo
	v_cmpx_gt_i32_e64 s31, v7
	s_cbranch_execz .LBB14_93
.LBB14_15:
	s_andn2_b32 vcc_lo, exec_lo, s28
	s_cbranch_vccnz .LBB14_22
; %bb.16:
	s_andn2_b32 vcc_lo, exec_lo, s34
	s_cbranch_vccnz .LBB14_82
; %bb.17:
	s_add_i32 s37, s33, 1
	s_cmp_eq_u32 s27, 2
	s_cbranch_scc1 .LBB14_101
; %bb.18:
	v_mov_b32_e32 v2, 0
	v_mov_b32_e32 v0, 0
	;; [unrolled: 1-line block ×3, first 2 shown]
	s_and_b32 s36, s37, 28
	s_mov_b32 s38, 0
	s_mov_b64 s[22:23], s[16:17]
	s_mov_b64 s[24:25], s[20:21]
.LBB14_19:                              ; =>This Inner Loop Header: Depth=1
	s_clause 0x1
	s_load_dwordx8 s[40:47], s[22:23], 0x4
	s_load_dwordx4 s[56:59], s[22:23], 0x24
	s_load_dwordx8 s[48:55], s[24:25], 0x0
	s_add_u32 s22, s22, 48
	s_addc_u32 s23, s23, 0
	s_add_i32 s38, s38, 4
	s_add_u32 s24, s24, 32
	s_addc_u32 s25, s25, 0
	s_cmp_eq_u32 s36, s38
	s_waitcnt lgkmcnt(0)
	v_mul_hi_u32 v3, s41, v1
	v_add_nc_u32_e32 v3, v1, v3
	v_lshrrev_b32_e32 v3, s42, v3
	v_mul_hi_u32 v4, s44, v3
	v_mul_lo_u32 v6, v3, s40
	v_add_nc_u32_e32 v4, v3, v4
	v_sub_nc_u32_e32 v1, v1, v6
	v_lshrrev_b32_e32 v4, s45, v4
	v_mul_lo_u32 v6, v1, s48
	v_mul_lo_u32 v9, v1, s49
	v_mul_hi_u32 v5, s47, v4
	v_add_nc_u32_e32 v5, v4, v5
	v_lshrrev_b32_e32 v5, s56, v5
	v_mul_hi_u32 v8, s58, v5
	v_mul_lo_u32 v10, v5, s46
	v_add_nc_u32_e32 v1, v5, v8
	v_mul_lo_u32 v8, v4, s43
	v_sub_nc_u32_e32 v4, v4, v10
	v_lshrrev_b32_e32 v1, s59, v1
	v_mul_lo_u32 v10, v4, s52
	v_mul_lo_u32 v4, v4, s53
	v_sub_nc_u32_e32 v3, v3, v8
	v_mul_lo_u32 v11, v1, s57
	v_mul_lo_u32 v8, v3, s50
	;; [unrolled: 1-line block ×3, first 2 shown]
	v_sub_nc_u32_e32 v5, v5, v11
	v_add3_u32 v0, v6, v0, v8
	v_mul_lo_u32 v11, v5, s54
	v_mul_lo_u32 v5, v5, s55
	v_add3_u32 v2, v9, v2, v3
	v_add3_u32 v0, v10, v0, v11
	;; [unrolled: 1-line block ×3, first 2 shown]
	s_cbranch_scc0 .LBB14_19
	s_branch .LBB14_102
.LBB14_20:
	s_mov_b32 s4, -1
                                        ; implicit-def: $vgpr0
                                        ; implicit-def: $vgpr2
	s_branch .LBB14_27
.LBB14_21:
                                        ; implicit-def: $vgpr0
                                        ; implicit-def: $vgpr2
	s_branch .LBB14_88
.LBB14_22:
                                        ; implicit-def: $vgpr0
                                        ; implicit-def: $vgpr2
	s_branch .LBB14_106
.LBB14_23:
	v_mov_b32_e32 v0, 0
	v_mov_b32_e32 v2, 0
	s_branch .LBB14_27
.LBB14_24:
	v_mov_b32_e32 v0, 0
	v_mov_b32_e32 v2, 0
	;; [unrolled: 1-line block ×3, first 2 shown]
	s_mov_b32 s5, 0
	s_and_b32 s6, s6, 3
	s_cmp_eq_u32 s6, 0
	s_cbranch_scc1 .LBB14_27
.LBB14_25:
	s_lshl_b32 s0, s5, 3
	s_mul_i32 s2, s5, 12
	s_add_u32 s0, s16, s0
	s_addc_u32 s1, s17, 0
	s_add_u32 s0, s0, 0xc4
	s_addc_u32 s1, s1, 0
	;; [unrolled: 2-line block ×3, first 2 shown]
	.p2align	6
.LBB14_26:                              ; =>This Inner Loop Header: Depth=1
	s_clause 0x1
	s_load_dwordx2 s[8:9], s[2:3], 0x4
	s_load_dword s5, s[2:3], 0xc
	s_load_dwordx2 s[10:11], s[0:1], 0x0
	s_add_u32 s2, s2, 12
	s_addc_u32 s3, s3, 0
	s_add_u32 s0, s0, 8
	s_addc_u32 s1, s1, 0
	s_add_i32 s6, s6, -1
	s_cmp_lg_u32 s6, 0
	s_waitcnt lgkmcnt(0)
	v_mul_hi_u32 v3, s9, v1
	v_add_nc_u32_e32 v3, v1, v3
	v_lshrrev_b32_e32 v4, s5, v3
	v_mul_lo_u32 v3, v4, s8
	v_sub_nc_u32_e32 v3, v1, v3
	v_mad_u64_u32 v[0:1], null, v3, s10, v[0:1]
	v_mad_u64_u32 v[2:3], null, v3, s11, v[2:3]
	v_mov_b32_e32 v1, v4
	s_cbranch_scc1 .LBB14_26
.LBB14_27:
	s_andn2_b32 vcc_lo, exec_lo, s4
	s_cbranch_vccnz .LBB14_30
; %bb.28:
	s_clause 0x1
	s_load_dwordx4 s[0:3], s[16:17], 0x4
	s_load_dwordx2 s[4:5], s[16:17], 0xc4
	s_cmp_lt_u32 s26, 2
	s_waitcnt lgkmcnt(0)
	v_mul_hi_u32 v0, s1, v7
	v_add_nc_u32_e32 v0, v7, v0
	v_lshrrev_b32_e32 v1, s2, v0
	v_mul_lo_u32 v0, v1, s0
	v_sub_nc_u32_e32 v2, v7, v0
	v_mul_lo_u32 v0, v2, s4
	v_mul_lo_u32 v2, v2, s5
	s_cbranch_scc1 .LBB14_30
; %bb.29:
	s_clause 0x1
	s_load_dwordx4 s[0:3], s[16:17], 0x10
	s_load_dwordx2 s[4:5], s[16:17], 0xcc
	s_waitcnt lgkmcnt(0)
	v_mul_hi_u32 v3, s1, v1
	v_add_nc_u32_e32 v3, v1, v3
	v_lshrrev_b32_e32 v3, s2, v3
	v_mul_lo_u32 v3, v3, s0
	v_sub_nc_u32_e32 v3, v1, v3
	v_mad_u64_u32 v[0:1], null, v3, s4, v[0:1]
	v_mad_u64_u32 v[2:3], null, v3, s5, v[2:3]
.LBB14_30:
	v_cmp_ne_u32_e32 vcc_lo, 1, v10
	v_add_nc_u32_e32 v1, 0x80, v7
	s_cbranch_vccnz .LBB14_36
; %bb.31:
	s_cmp_lg_u32 s26, 0
	s_mov_b32 s4, 0
	s_cbranch_scc0 .LBB14_37
; %bb.32:
	s_min_u32 s6, s27, 15
	s_add_i32 s6, s6, 1
	s_cmp_eq_u32 s27, 2
	s_cbranch_scc1 .LBB14_38
; %bb.33:
	v_mov_b32_e32 v5, 0
	v_mov_b32_e32 v3, 0
	;; [unrolled: 1-line block ×3, first 2 shown]
	s_and_b32 s5, s6, 28
	s_add_u32 s0, s16, 0xc4
	s_addc_u32 s1, s17, 0
	s_mov_b32 s7, 0
	s_mov_b64 s[2:3], s[16:17]
.LBB14_34:                              ; =>This Inner Loop Header: Depth=1
	s_clause 0x1
	s_load_dwordx8 s[8:15], s[2:3], 0x4
	s_load_dwordx4 s[20:23], s[2:3], 0x24
	s_load_dwordx8 s[36:43], s[0:1], 0x0
	s_add_u32 s2, s2, 48
	s_addc_u32 s3, s3, 0
	s_add_i32 s7, s7, 4
	s_add_u32 s0, s0, 32
	s_addc_u32 s1, s1, 0
	s_cmp_lg_u32 s5, s7
	s_waitcnt lgkmcnt(0)
	v_mul_hi_u32 v6, s9, v4
	v_add_nc_u32_e32 v6, v4, v6
	v_lshrrev_b32_e32 v6, s10, v6
	v_mul_hi_u32 v8, s12, v6
	v_mul_lo_u32 v11, v6, s8
	v_add_nc_u32_e32 v8, v6, v8
	v_sub_nc_u32_e32 v4, v4, v11
	v_lshrrev_b32_e32 v8, s13, v8
	v_mul_lo_u32 v11, v4, s36
	v_mul_lo_u32 v14, v4, s37
	v_mul_hi_u32 v9, s15, v8
	v_add_nc_u32_e32 v9, v8, v9
	v_lshrrev_b32_e32 v9, s20, v9
	v_mul_hi_u32 v12, s22, v9
	v_mul_lo_u32 v15, v9, s14
	v_add_nc_u32_e32 v4, v9, v12
	v_mul_lo_u32 v12, v8, s11
	v_sub_nc_u32_e32 v8, v8, v15
	v_lshrrev_b32_e32 v4, s23, v4
	v_mul_lo_u32 v15, v8, s40
	v_mul_lo_u32 v8, v8, s41
	v_sub_nc_u32_e32 v6, v6, v12
	v_mul_lo_u32 v16, v4, s21
	v_mul_lo_u32 v12, v6, s38
	;; [unrolled: 1-line block ×3, first 2 shown]
	v_sub_nc_u32_e32 v9, v9, v16
	v_add3_u32 v3, v11, v3, v12
	v_mul_lo_u32 v16, v9, s42
	v_mul_lo_u32 v9, v9, s43
	v_add3_u32 v5, v14, v5, v6
	v_add3_u32 v3, v15, v3, v16
	;; [unrolled: 1-line block ×3, first 2 shown]
	s_cbranch_scc1 .LBB14_34
; %bb.35:
	s_and_b32 s6, s6, 3
	s_cmp_eq_u32 s6, 0
	s_cbranch_scc0 .LBB14_39
	s_branch .LBB14_41
.LBB14_36:
	s_mov_b32 s4, -1
                                        ; implicit-def: $vgpr3
                                        ; implicit-def: $vgpr5
	s_branch .LBB14_41
.LBB14_37:
	v_mov_b32_e32 v3, 0
	v_mov_b32_e32 v5, 0
	s_branch .LBB14_41
.LBB14_38:
	v_mov_b32_e32 v3, 0
	v_mov_b32_e32 v5, 0
	;; [unrolled: 1-line block ×3, first 2 shown]
	s_mov_b32 s5, 0
	s_and_b32 s6, s6, 3
	s_cmp_eq_u32 s6, 0
	s_cbranch_scc1 .LBB14_41
.LBB14_39:
	s_lshl_b32 s0, s5, 3
	s_mul_i32 s2, s5, 12
	s_add_u32 s0, s16, s0
	s_addc_u32 s1, s17, 0
	s_add_u32 s0, s0, 0xc4
	s_addc_u32 s1, s1, 0
	;; [unrolled: 2-line block ×3, first 2 shown]
	.p2align	6
.LBB14_40:                              ; =>This Inner Loop Header: Depth=1
	s_clause 0x1
	s_load_dwordx2 s[8:9], s[2:3], 0x4
	s_load_dword s5, s[2:3], 0xc
	s_load_dwordx2 s[10:11], s[0:1], 0x0
	s_add_u32 s2, s2, 12
	s_addc_u32 s3, s3, 0
	s_add_u32 s0, s0, 8
	s_addc_u32 s1, s1, 0
	s_add_i32 s6, s6, -1
	s_cmp_lg_u32 s6, 0
	s_waitcnt lgkmcnt(0)
	v_mul_hi_u32 v6, s9, v4
	v_add_nc_u32_e32 v6, v4, v6
	v_lshrrev_b32_e32 v8, s5, v6
	v_mul_lo_u32 v6, v8, s8
	v_sub_nc_u32_e32 v6, v4, v6
	v_mad_u64_u32 v[3:4], null, v6, s10, v[3:4]
	v_mad_u64_u32 v[5:6], null, v6, s11, v[5:6]
	v_mov_b32_e32 v4, v8
	s_cbranch_scc1 .LBB14_40
.LBB14_41:
	s_andn2_b32 vcc_lo, exec_lo, s4
	s_cbranch_vccnz .LBB14_44
; %bb.42:
	s_clause 0x1
	s_load_dwordx4 s[0:3], s[16:17], 0x4
	s_load_dwordx2 s[4:5], s[16:17], 0xc4
	s_cmp_lt_u32 s26, 2
	s_waitcnt lgkmcnt(0)
	v_mul_hi_u32 v3, s1, v1
	v_add_nc_u32_e32 v3, v1, v3
	v_lshrrev_b32_e32 v4, s2, v3
	v_mul_lo_u32 v3, v4, s0
	v_sub_nc_u32_e32 v1, v1, v3
	v_mul_lo_u32 v3, v1, s4
	v_mul_lo_u32 v5, v1, s5
	s_cbranch_scc1 .LBB14_44
; %bb.43:
	s_clause 0x1
	s_load_dwordx4 s[0:3], s[16:17], 0x10
	s_load_dwordx2 s[4:5], s[16:17], 0xcc
	s_waitcnt lgkmcnt(0)
	v_mul_hi_u32 v1, s1, v4
	v_add_nc_u32_e32 v1, v4, v1
	v_lshrrev_b32_e32 v1, s2, v1
	v_mul_lo_u32 v1, v1, s0
	v_sub_nc_u32_e32 v1, v4, v1
	v_mad_u64_u32 v[3:4], null, v1, s4, v[3:4]
	v_mad_u64_u32 v[5:6], null, v1, s5, v[5:6]
.LBB14_44:
	v_cmp_ne_u32_e32 vcc_lo, 1, v10
	v_add_nc_u32_e32 v1, 0x100, v7
	s_cbranch_vccnz .LBB14_50
; %bb.45:
	s_cmp_lg_u32 s26, 0
	s_mov_b32 s4, 0
	s_cbranch_scc0 .LBB14_51
; %bb.46:
	s_min_u32 s6, s27, 15
	s_add_i32 s6, s6, 1
	s_cmp_eq_u32 s27, 2
	s_cbranch_scc1 .LBB14_52
; %bb.47:
	v_mov_b32_e32 v8, 0
	v_mov_b32_e32 v6, 0
	;; [unrolled: 1-line block ×3, first 2 shown]
	s_and_b32 s5, s6, 28
	s_add_u32 s0, s16, 0xc4
	s_addc_u32 s1, s17, 0
	s_mov_b32 s7, 0
	s_mov_b64 s[2:3], s[16:17]
.LBB14_48:                              ; =>This Inner Loop Header: Depth=1
	s_clause 0x1
	s_load_dwordx8 s[8:15], s[2:3], 0x4
	s_load_dwordx4 s[20:23], s[2:3], 0x24
	s_load_dwordx8 s[36:43], s[0:1], 0x0
	s_add_u32 s2, s2, 48
	s_addc_u32 s3, s3, 0
	s_add_i32 s7, s7, 4
	s_add_u32 s0, s0, 32
	s_addc_u32 s1, s1, 0
	s_cmp_lg_u32 s5, s7
	s_waitcnt lgkmcnt(0)
	v_mul_hi_u32 v7, s9, v4
	v_add_nc_u32_e32 v7, v4, v7
	v_lshrrev_b32_e32 v7, s10, v7
	v_mul_hi_u32 v9, s12, v7
	v_mul_lo_u32 v12, v7, s8
	v_add_nc_u32_e32 v9, v7, v9
	v_sub_nc_u32_e32 v4, v4, v12
	v_lshrrev_b32_e32 v9, s13, v9
	v_mul_lo_u32 v12, v4, s36
	v_mul_lo_u32 v15, v4, s37
	v_mul_hi_u32 v11, s15, v9
	v_add_nc_u32_e32 v11, v9, v11
	v_lshrrev_b32_e32 v11, s20, v11
	v_mul_hi_u32 v14, s22, v11
	v_mul_lo_u32 v16, v11, s14
	v_add_nc_u32_e32 v4, v11, v14
	v_mul_lo_u32 v14, v9, s11
	v_sub_nc_u32_e32 v9, v9, v16
	v_lshrrev_b32_e32 v4, s23, v4
	v_mul_lo_u32 v16, v9, s40
	v_mul_lo_u32 v9, v9, s41
	v_sub_nc_u32_e32 v7, v7, v14
	v_mul_lo_u32 v17, v4, s21
	v_mul_lo_u32 v14, v7, s38
	;; [unrolled: 1-line block ×3, first 2 shown]
	v_sub_nc_u32_e32 v11, v11, v17
	v_add3_u32 v6, v12, v6, v14
	v_mul_lo_u32 v17, v11, s42
	v_mul_lo_u32 v11, v11, s43
	v_add3_u32 v7, v15, v8, v7
	v_add3_u32 v6, v16, v6, v17
	;; [unrolled: 1-line block ×3, first 2 shown]
	s_cbranch_scc1 .LBB14_48
; %bb.49:
	s_and_b32 s6, s6, 3
	s_cmp_eq_u32 s6, 0
	s_cbranch_scc0 .LBB14_53
	s_branch .LBB14_55
.LBB14_50:
	s_mov_b32 s4, -1
                                        ; implicit-def: $vgpr6
                                        ; implicit-def: $vgpr8
	s_branch .LBB14_55
.LBB14_51:
	v_mov_b32_e32 v6, 0
	v_mov_b32_e32 v8, 0
	s_branch .LBB14_55
.LBB14_52:
	v_mov_b32_e32 v6, 0
	v_mov_b32_e32 v8, 0
	;; [unrolled: 1-line block ×3, first 2 shown]
	s_mov_b32 s5, 0
	s_and_b32 s6, s6, 3
	s_cmp_eq_u32 s6, 0
	s_cbranch_scc1 .LBB14_55
.LBB14_53:
	s_lshl_b32 s0, s5, 3
	s_mul_i32 s2, s5, 12
	s_add_u32 s0, s16, s0
	s_addc_u32 s1, s17, 0
	s_add_u32 s0, s0, 0xc4
	s_addc_u32 s1, s1, 0
	;; [unrolled: 2-line block ×3, first 2 shown]
	.p2align	6
.LBB14_54:                              ; =>This Inner Loop Header: Depth=1
	s_clause 0x1
	s_load_dwordx2 s[8:9], s[2:3], 0x4
	s_load_dword s5, s[2:3], 0xc
	s_load_dwordx2 s[10:11], s[0:1], 0x0
	s_add_u32 s2, s2, 12
	s_addc_u32 s3, s3, 0
	s_add_u32 s0, s0, 8
	s_addc_u32 s1, s1, 0
	s_add_i32 s6, s6, -1
	s_cmp_lg_u32 s6, 0
	s_waitcnt lgkmcnt(0)
	v_mul_hi_u32 v7, s9, v4
	v_add_nc_u32_e32 v7, v4, v7
	v_lshrrev_b32_e32 v11, s5, v7
	v_mul_lo_u32 v7, v11, s8
	v_sub_nc_u32_e32 v4, v4, v7
	v_mad_u64_u32 v[6:7], null, v4, s10, v[6:7]
	v_mad_u64_u32 v[8:9], null, v4, s11, v[8:9]
	v_mov_b32_e32 v4, v11
	s_cbranch_scc1 .LBB14_54
.LBB14_55:
	s_andn2_b32 vcc_lo, exec_lo, s4
	s_cbranch_vccnz .LBB14_58
; %bb.56:
	s_clause 0x1
	s_load_dwordx4 s[0:3], s[16:17], 0x4
	s_load_dwordx2 s[4:5], s[16:17], 0xc4
	s_cmp_lt_u32 s26, 2
	s_waitcnt lgkmcnt(0)
	v_mul_hi_u32 v4, s1, v1
	v_add_nc_u32_e32 v4, v1, v4
	v_lshrrev_b32_e32 v4, s2, v4
	v_mul_lo_u32 v6, v4, s0
	v_sub_nc_u32_e32 v1, v1, v6
	v_mul_lo_u32 v6, v1, s4
	v_mul_lo_u32 v8, v1, s5
	s_cbranch_scc1 .LBB14_58
; %bb.57:
	s_clause 0x1
	s_load_dwordx4 s[0:3], s[16:17], 0x10
	s_load_dwordx2 s[4:5], s[16:17], 0xcc
	s_waitcnt lgkmcnt(0)
	v_mul_hi_u32 v1, s1, v4
	v_add_nc_u32_e32 v1, v4, v1
	v_lshrrev_b32_e32 v1, s2, v1
	v_mul_lo_u32 v1, v1, s0
	v_sub_nc_u32_e32 v1, v4, v1
	v_mad_u64_u32 v[6:7], null, v1, s4, v[6:7]
	v_mad_u64_u32 v[8:9], null, v1, s5, v[8:9]
.LBB14_58:
	v_cmp_ne_u32_e32 vcc_lo, 1, v10
	s_cbranch_vccnz .LBB14_64
; %bb.59:
	s_cmp_lg_u32 s26, 0
	s_mov_b32 s4, 0
	s_cbranch_scc0 .LBB14_65
; %bb.60:
	s_min_u32 s6, s27, 15
	s_add_i32 s6, s6, 1
	s_cmp_eq_u32 s27, 2
	s_cbranch_scc1 .LBB14_66
; %bb.61:
	v_mov_b32_e32 v11, 0
	v_mov_b32_e32 v9, 0
	;; [unrolled: 1-line block ×3, first 2 shown]
	s_and_b32 s5, s6, 28
	s_add_u32 s0, s16, 0xc4
	s_addc_u32 s1, s17, 0
	s_mov_b32 s7, 0
	s_mov_b64 s[2:3], s[16:17]
.LBB14_62:                              ; =>This Inner Loop Header: Depth=1
	s_clause 0x1
	s_load_dwordx8 s[8:15], s[2:3], 0x4
	s_load_dwordx4 s[20:23], s[2:3], 0x24
	s_load_dwordx8 s[36:43], s[0:1], 0x0
	s_add_u32 s2, s2, 48
	s_addc_u32 s3, s3, 0
	s_add_i32 s7, s7, 4
	s_add_u32 s0, s0, 32
	s_addc_u32 s1, s1, 0
	s_cmp_lg_u32 s5, s7
	s_waitcnt lgkmcnt(0)
	v_mul_hi_u32 v4, s9, v1
	v_add_nc_u32_e32 v4, v1, v4
	v_lshrrev_b32_e32 v4, s10, v4
	v_mul_hi_u32 v7, s12, v4
	v_mul_lo_u32 v12, v4, s8
	v_add_nc_u32_e32 v7, v4, v7
	v_sub_nc_u32_e32 v1, v1, v12
	v_lshrrev_b32_e32 v7, s13, v7
	v_mul_lo_u32 v12, v1, s36
	v_mul_lo_u32 v15, v1, s37
	v_mul_hi_u32 v10, s15, v7
	v_add_nc_u32_e32 v10, v7, v10
	v_lshrrev_b32_e32 v10, s20, v10
	v_mul_hi_u32 v14, s22, v10
	v_mul_lo_u32 v16, v10, s14
	v_add_nc_u32_e32 v1, v10, v14
	v_mul_lo_u32 v14, v7, s11
	v_sub_nc_u32_e32 v7, v7, v16
	v_lshrrev_b32_e32 v1, s23, v1
	v_mul_lo_u32 v16, v7, s40
	v_mul_lo_u32 v7, v7, s41
	v_sub_nc_u32_e32 v4, v4, v14
	v_mul_lo_u32 v17, v1, s21
	v_mul_lo_u32 v14, v4, s38
	;; [unrolled: 1-line block ×3, first 2 shown]
	v_sub_nc_u32_e32 v10, v10, v17
	v_add3_u32 v9, v12, v9, v14
	v_mul_lo_u32 v17, v10, s42
	v_mul_lo_u32 v10, v10, s43
	v_add3_u32 v4, v15, v11, v4
	v_add3_u32 v9, v16, v9, v17
	;; [unrolled: 1-line block ×3, first 2 shown]
	s_cbranch_scc1 .LBB14_62
; %bb.63:
	s_and_b32 s6, s6, 3
	s_cmp_eq_u32 s6, 0
	s_cbranch_scc0 .LBB14_67
	s_branch .LBB14_69
.LBB14_64:
	s_mov_b32 s4, -1
                                        ; implicit-def: $vgpr9
                                        ; implicit-def: $vgpr11
	s_branch .LBB14_69
.LBB14_65:
	v_mov_b32_e32 v9, 0
	v_mov_b32_e32 v11, 0
	s_branch .LBB14_69
.LBB14_66:
	v_mov_b32_e32 v9, 0
	v_mov_b32_e32 v11, 0
	;; [unrolled: 1-line block ×3, first 2 shown]
	s_mov_b32 s5, 0
	s_and_b32 s6, s6, 3
	s_cmp_eq_u32 s6, 0
	s_cbranch_scc1 .LBB14_69
.LBB14_67:
	s_lshl_b32 s0, s5, 3
	s_mul_i32 s2, s5, 12
	s_add_u32 s0, s16, s0
	s_addc_u32 s1, s17, 0
	s_add_u32 s0, s0, 0xc4
	s_addc_u32 s1, s1, 0
	;; [unrolled: 2-line block ×3, first 2 shown]
	.p2align	6
.LBB14_68:                              ; =>This Inner Loop Header: Depth=1
	s_clause 0x1
	s_load_dwordx2 s[8:9], s[2:3], 0x4
	s_load_dword s5, s[2:3], 0xc
	s_load_dwordx2 s[10:11], s[0:1], 0x0
	s_add_u32 s2, s2, 12
	s_addc_u32 s3, s3, 0
	s_add_u32 s0, s0, 8
	s_addc_u32 s1, s1, 0
	s_add_i32 s6, s6, -1
	s_cmp_lg_u32 s6, 0
	s_waitcnt lgkmcnt(0)
	v_mul_hi_u32 v4, s9, v1
	v_add_nc_u32_e32 v4, v1, v4
	v_lshrrev_b32_e32 v4, s5, v4
	v_mul_lo_u32 v7, v4, s8
	v_sub_nc_u32_e32 v1, v1, v7
	v_mad_u64_u32 v[9:10], null, v1, s10, v[9:10]
	v_mad_u64_u32 v[11:12], null, v1, s11, v[11:12]
	v_mov_b32_e32 v1, v4
	s_cbranch_scc1 .LBB14_68
.LBB14_69:
	s_andn2_b32 vcc_lo, exec_lo, s4
	s_cbranch_vccnz .LBB14_72
; %bb.70:
	s_clause 0x1
	s_load_dwordx4 s[0:3], s[16:17], 0x4
	s_load_dwordx2 s[4:5], s[16:17], 0xc4
	s_cmp_lt_u32 s26, 2
	s_waitcnt lgkmcnt(0)
	v_mul_hi_u32 v1, s1, v13
	v_add_nc_u32_e32 v1, v13, v1
	v_lshrrev_b32_e32 v1, s2, v1
	v_mul_lo_u32 v4, v1, s0
	v_sub_nc_u32_e32 v4, v13, v4
	v_mul_lo_u32 v9, v4, s4
	v_mul_lo_u32 v11, v4, s5
	s_cbranch_scc1 .LBB14_72
; %bb.71:
	s_clause 0x1
	s_load_dwordx4 s[0:3], s[16:17], 0x10
	s_load_dwordx2 s[4:5], s[16:17], 0xcc
	s_waitcnt lgkmcnt(0)
	v_mul_hi_u32 v4, s1, v1
	v_add_nc_u32_e32 v4, v1, v4
	v_lshrrev_b32_e32 v4, s2, v4
	v_mul_lo_u32 v4, v4, s0
	v_sub_nc_u32_e32 v1, v1, v4
	v_mad_u64_u32 v[9:10], null, v1, s4, v[9:10]
	v_mad_u64_u32 v[11:12], null, v1, s5, v[11:12]
.LBB14_72:
	s_clause 0x1
	s_load_dwordx4 s[0:3], s[16:17], 0x148
	s_load_dwordx2 s[4:5], s[16:17], 0x160
	s_mov_b32 s6, exec_lo
	s_waitcnt lgkmcnt(0)
	global_load_dword v1, v2, s[2:3]
	s_waitcnt vmcnt(0)
	v_cmpx_nlg_f32_e64 0x7f800000, |v1|
	s_cbranch_execz .LBB14_74
; %bb.73:
	s_load_dwordx2 s[8:9], s[16:17], 0x158
	v_mov_b32_e32 v2, 0
	v_mov_b32_e32 v4, 1.0
	s_waitcnt lgkmcnt(0)
	global_store_dword v2, v4, s[8:9]
.LBB14_74:
	s_or_b32 exec_lo, exec_lo, s6
	v_mov_b32_e32 v7, 0
	s_mov_b32 s6, exec_lo
	global_load_dword v2, v5, s[2:3]
	global_load_dword v4, v7, s[4:5]
	s_waitcnt vmcnt(0)
	v_mov_b32_e32 v5, v4
	v_cmpx_nlg_f32_e64 0x7f800000, |v2|
	s_cbranch_execz .LBB14_76
; %bb.75:
	s_load_dwordx2 s[8:9], s[16:17], 0x158
	v_mov_b32_e32 v5, 1.0
	s_waitcnt lgkmcnt(0)
	global_store_dword v7, v5, s[8:9]
	global_load_dword v5, v7, s[4:5]
.LBB14_76:
	s_or_b32 exec_lo, exec_lo, s6
	global_load_dword v7, v8, s[2:3]
	s_waitcnt vmcnt(1)
	v_mov_b32_e32 v8, v5
	s_mov_b32 s6, exec_lo
	s_waitcnt vmcnt(0)
	v_cmpx_nlg_f32_e64 0x7f800000, |v7|
	s_cbranch_execz .LBB14_78
; %bb.77:
	s_load_dwordx2 s[8:9], s[16:17], 0x158
	v_mov_b32_e32 v8, 0
	v_mov_b32_e32 v10, 1.0
	s_waitcnt lgkmcnt(0)
	global_store_dword v8, v10, s[8:9]
	global_load_dword v8, v8, s[4:5]
.LBB14_78:
	s_or_b32 exec_lo, exec_lo, s6
	global_load_dword v10, v11, s[2:3]
	s_waitcnt vmcnt(1)
	v_mov_b32_e32 v11, v8
	s_mov_b32 s2, exec_lo
	s_waitcnt vmcnt(0)
	v_cmpx_nlg_f32_e64 0x7f800000, |v10|
	s_cbranch_execz .LBB14_80
; %bb.79:
	s_load_dwordx2 s[6:7], s[16:17], 0x158
	v_mov_b32_e32 v11, 0
	v_mov_b32_e32 v12, 1.0
	s_waitcnt lgkmcnt(0)
	global_store_dword v11, v12, s[6:7]
	global_load_dword v11, v11, s[4:5]
.LBB14_80:
	s_or_b32 exec_lo, exec_lo, s2
	v_mul_f32_e32 v12, v7, v8
	v_cmp_eq_f32_e32 vcc_lo, 1.0, v8
	v_mul_f32_e32 v14, v1, v4
	v_mul_f32_e32 v13, v2, v5
	s_waitcnt vmcnt(0)
	v_mul_f32_e32 v15, v10, v11
	v_cndmask_b32_e32 v7, v12, v7, vcc_lo
	v_cmp_eq_f32_e32 vcc_lo, 1.0, v4
	v_cndmask_b32_e32 v1, v14, v1, vcc_lo
	v_cmp_eq_f32_e32 vcc_lo, 1.0, v5
	;; [unrolled: 2-line block ×3, first 2 shown]
	v_cndmask_b32_e32 v4, v15, v10, vcc_lo
	global_store_dword v0, v1, s[0:1]
	global_store_dword v3, v2, s[0:1]
	;; [unrolled: 1-line block ×4, first 2 shown]
	s_endpgm
.LBB14_81:
	v_mov_b32_e32 v0, 0
	v_mov_b32_e32 v2, 0
	s_branch .LBB14_87
.LBB14_82:
	v_mov_b32_e32 v0, 0
	v_mov_b32_e32 v2, 0
	s_branch .LBB14_105
.LBB14_83:
	v_mov_b32_e32 v0, 0
	v_mov_b32_e32 v2, 0
	;; [unrolled: 1-line block ×3, first 2 shown]
	s_mov_b32 s36, 0
.LBB14_84:
	s_and_b32 s37, s37, 3
	s_cmp_eq_u32 s37, 0
	s_cbranch_scc1 .LBB14_87
; %bb.85:
	s_lshl_b32 s22, s36, 3
	s_mul_i32 s24, s36, 12
	s_add_u32 s22, s16, s22
	s_addc_u32 s23, s17, 0
	s_add_u32 s22, s22, 0xc4
	s_addc_u32 s23, s23, 0
	;; [unrolled: 2-line block ×3, first 2 shown]
	.p2align	6
.LBB14_86:                              ; =>This Inner Loop Header: Depth=1
	s_clause 0x1
	s_load_dwordx2 s[38:39], s[24:25], 0x4
	s_load_dword s36, s[24:25], 0xc
	s_load_dwordx2 s[40:41], s[22:23], 0x0
	s_add_u32 s24, s24, 12
	s_addc_u32 s25, s25, 0
	s_add_u32 s22, s22, 8
	s_addc_u32 s23, s23, 0
	s_add_i32 s37, s37, -1
	s_cmp_lg_u32 s37, 0
	s_waitcnt lgkmcnt(0)
	v_mul_hi_u32 v3, s39, v1
	v_add_nc_u32_e32 v3, v1, v3
	v_lshrrev_b32_e32 v4, s36, v3
	v_mul_lo_u32 v3, v4, s38
	v_sub_nc_u32_e32 v3, v1, v3
	v_mad_u64_u32 v[0:1], null, v3, s40, v[0:1]
	v_mad_u64_u32 v[2:3], null, v3, s41, v[2:3]
	v_mov_b32_e32 v1, v4
	s_cbranch_scc1 .LBB14_86
.LBB14_87:
	s_cbranch_execnz .LBB14_90
.LBB14_88:
	s_waitcnt lgkmcnt(0)
	v_mul_hi_u32 v0, s13, v7
	s_andn2_b32 vcc_lo, exec_lo, s30
	v_add_nc_u32_e32 v0, v7, v0
	v_lshrrev_b32_e32 v1, s14, v0
	v_mul_lo_u32 v0, v1, s12
	v_sub_nc_u32_e32 v2, v7, v0
	v_mul_lo_u32 v0, v2, s8
	v_mul_lo_u32 v2, v2, s9
	s_cbranch_vccnz .LBB14_90
; %bb.89:
	v_mul_hi_u32 v3, s18, v1
	v_add_nc_u32_e32 v3, v1, v3
	v_lshrrev_b32_e32 v3, s19, v3
	v_mul_lo_u32 v3, v3, s15
	v_sub_nc_u32_e32 v3, v1, v3
	v_mad_u64_u32 v[0:1], null, v3, s10, v[0:1]
	v_mad_u64_u32 v[2:3], null, v3, s11, v[2:3]
.LBB14_90:
	s_waitcnt lgkmcnt(0)
	global_load_dword v1, v2, s[2:3]
	s_mov_b32 s22, exec_lo
	s_waitcnt vmcnt(0)
	v_cmpx_nlg_f32_e64 0x7f800000, |v1|
	s_cbranch_execz .LBB14_92
; %bb.91:
	v_mov_b32_e32 v2, 0
	v_mov_b32_e32 v3, 1.0
	global_store_dword v2, v3, s[4:5]
.LBB14_92:
	s_or_b32 exec_lo, exec_lo, s22
	v_mov_b32_e32 v2, 0
	v_add_nc_u32_e32 v7, 0x80, v7
	global_load_dword v2, v2, s[6:7]
	s_waitcnt vmcnt(0)
	v_mul_f32_e32 v3, v1, v2
	v_cmp_eq_f32_e32 vcc_lo, 1.0, v2
	v_cndmask_b32_e32 v1, v3, v1, vcc_lo
	global_store_dword v0, v1, s[0:1]
	s_or_b32 exec_lo, exec_lo, s35
	s_mov_b32 s35, exec_lo
	v_cmpx_gt_i32_e64 s31, v7
	s_cbranch_execnz .LBB14_15
.LBB14_93:
	s_or_b32 exec_lo, exec_lo, s35
	s_mov_b32 s35, exec_lo
	v_cmpx_gt_i32_e64 s31, v7
	s_cbranch_execz .LBB14_111
.LBB14_94:
	s_andn2_b32 vcc_lo, exec_lo, s28
	s_cbranch_vccnz .LBB14_99
; %bb.95:
	s_andn2_b32 vcc_lo, exec_lo, s34
	s_cbranch_vccnz .LBB14_100
; %bb.96:
	s_add_i32 s37, s33, 1
	s_cmp_eq_u32 s27, 2
	s_cbranch_scc1 .LBB14_114
; %bb.97:
	v_mov_b32_e32 v2, 0
	v_mov_b32_e32 v0, 0
	;; [unrolled: 1-line block ×3, first 2 shown]
	s_and_b32 s36, s37, 28
	s_mov_b32 s38, 0
	s_mov_b64 s[22:23], s[16:17]
	s_mov_b64 s[24:25], s[20:21]
.LBB14_98:                              ; =>This Inner Loop Header: Depth=1
	s_clause 0x1
	s_load_dwordx8 s[40:47], s[22:23], 0x4
	s_load_dwordx4 s[56:59], s[22:23], 0x24
	s_load_dwordx8 s[48:55], s[24:25], 0x0
	s_add_u32 s22, s22, 48
	s_addc_u32 s23, s23, 0
	s_add_i32 s38, s38, 4
	s_add_u32 s24, s24, 32
	s_addc_u32 s25, s25, 0
	s_cmp_eq_u32 s36, s38
	s_waitcnt lgkmcnt(0)
	v_mul_hi_u32 v3, s41, v1
	v_add_nc_u32_e32 v3, v1, v3
	v_lshrrev_b32_e32 v3, s42, v3
	v_mul_hi_u32 v4, s44, v3
	v_mul_lo_u32 v6, v3, s40
	v_add_nc_u32_e32 v4, v3, v4
	v_sub_nc_u32_e32 v1, v1, v6
	v_lshrrev_b32_e32 v4, s45, v4
	v_mul_lo_u32 v6, v1, s48
	v_mul_lo_u32 v9, v1, s49
	v_mul_hi_u32 v5, s47, v4
	v_add_nc_u32_e32 v5, v4, v5
	v_lshrrev_b32_e32 v5, s56, v5
	v_mul_hi_u32 v8, s58, v5
	v_mul_lo_u32 v10, v5, s46
	v_add_nc_u32_e32 v1, v5, v8
	v_mul_lo_u32 v8, v4, s43
	v_sub_nc_u32_e32 v4, v4, v10
	v_lshrrev_b32_e32 v1, s59, v1
	v_mul_lo_u32 v10, v4, s52
	v_mul_lo_u32 v4, v4, s53
	v_sub_nc_u32_e32 v3, v3, v8
	v_mul_lo_u32 v11, v1, s57
	v_mul_lo_u32 v8, v3, s50
	;; [unrolled: 1-line block ×3, first 2 shown]
	v_sub_nc_u32_e32 v5, v5, v11
	v_add3_u32 v0, v6, v0, v8
	v_mul_lo_u32 v11, v5, s54
	v_mul_lo_u32 v5, v5, s55
	v_add3_u32 v2, v9, v2, v3
	v_add3_u32 v0, v10, v0, v11
	v_add3_u32 v2, v4, v2, v5
	s_cbranch_scc0 .LBB14_98
	s_branch .LBB14_115
.LBB14_99:
                                        ; implicit-def: $vgpr0
                                        ; implicit-def: $vgpr2
	s_branch .LBB14_119
.LBB14_100:
	v_mov_b32_e32 v0, 0
	v_mov_b32_e32 v2, 0
	s_branch .LBB14_118
.LBB14_101:
	v_mov_b32_e32 v0, 0
	v_mov_b32_e32 v2, 0
	;; [unrolled: 1-line block ×3, first 2 shown]
	s_mov_b32 s36, 0
.LBB14_102:
	s_and_b32 s37, s37, 3
	s_cmp_eq_u32 s37, 0
	s_cbranch_scc1 .LBB14_105
; %bb.103:
	s_lshl_b32 s22, s36, 3
	s_mul_i32 s24, s36, 12
	s_add_u32 s22, s16, s22
	s_addc_u32 s23, s17, 0
	s_add_u32 s22, s22, 0xc4
	s_addc_u32 s23, s23, 0
	;; [unrolled: 2-line block ×3, first 2 shown]
	.p2align	6
.LBB14_104:                             ; =>This Inner Loop Header: Depth=1
	s_clause 0x1
	s_load_dwordx2 s[38:39], s[24:25], 0x4
	s_load_dword s36, s[24:25], 0xc
	s_load_dwordx2 s[40:41], s[22:23], 0x0
	s_add_u32 s24, s24, 12
	s_addc_u32 s25, s25, 0
	s_add_u32 s22, s22, 8
	s_addc_u32 s23, s23, 0
	s_add_i32 s37, s37, -1
	s_cmp_lg_u32 s37, 0
	s_waitcnt lgkmcnt(0)
	v_mul_hi_u32 v3, s39, v1
	v_add_nc_u32_e32 v3, v1, v3
	v_lshrrev_b32_e32 v4, s36, v3
	v_mul_lo_u32 v3, v4, s38
	v_sub_nc_u32_e32 v3, v1, v3
	v_mad_u64_u32 v[0:1], null, v3, s40, v[0:1]
	v_mad_u64_u32 v[2:3], null, v3, s41, v[2:3]
	v_mov_b32_e32 v1, v4
	s_cbranch_scc1 .LBB14_104
.LBB14_105:
	s_cbranch_execnz .LBB14_108
.LBB14_106:
	s_waitcnt lgkmcnt(0)
	v_mul_hi_u32 v0, s13, v7
	s_andn2_b32 vcc_lo, exec_lo, s30
	v_add_nc_u32_e32 v0, v7, v0
	v_lshrrev_b32_e32 v1, s14, v0
	v_mul_lo_u32 v0, v1, s12
	v_sub_nc_u32_e32 v2, v7, v0
	v_mul_lo_u32 v0, v2, s8
	v_mul_lo_u32 v2, v2, s9
	s_cbranch_vccnz .LBB14_108
; %bb.107:
	v_mul_hi_u32 v3, s18, v1
	v_add_nc_u32_e32 v3, v1, v3
	v_lshrrev_b32_e32 v3, s19, v3
	v_mul_lo_u32 v3, v3, s15
	v_sub_nc_u32_e32 v3, v1, v3
	v_mad_u64_u32 v[0:1], null, v3, s10, v[0:1]
	v_mad_u64_u32 v[2:3], null, v3, s11, v[2:3]
.LBB14_108:
	s_waitcnt lgkmcnt(0)
	global_load_dword v1, v2, s[2:3]
	s_mov_b32 s22, exec_lo
	s_waitcnt vmcnt(0)
	v_cmpx_nlg_f32_e64 0x7f800000, |v1|
	s_cbranch_execz .LBB14_110
; %bb.109:
	v_mov_b32_e32 v2, 0
	v_mov_b32_e32 v3, 1.0
	global_store_dword v2, v3, s[4:5]
.LBB14_110:
	s_or_b32 exec_lo, exec_lo, s22
	v_mov_b32_e32 v2, 0
	v_add_nc_u32_e32 v7, 0x80, v7
	global_load_dword v2, v2, s[6:7]
	s_waitcnt vmcnt(0)
	v_mul_f32_e32 v3, v1, v2
	v_cmp_eq_f32_e32 vcc_lo, 1.0, v2
	v_cndmask_b32_e32 v1, v3, v1, vcc_lo
	global_store_dword v0, v1, s[0:1]
	s_or_b32 exec_lo, exec_lo, s35
	s_mov_b32 s35, exec_lo
	v_cmpx_gt_i32_e64 s31, v7
	s_cbranch_execnz .LBB14_94
.LBB14_111:
	s_or_b32 exec_lo, exec_lo, s35
	s_mov_b32 s24, exec_lo
	v_cmpx_gt_i32_e64 s31, v7
	s_cbranch_execnz .LBB14_124
.LBB14_112:
	s_or_b32 exec_lo, exec_lo, s24
                                        ; implicit-def: $vgpr13
                                        ; implicit-def: $vgpr7
	s_waitcnt lgkmcnt(0)
	s_andn2_saveexec_b32 s0, s29
	s_cbranch_execnz .LBB14_8
.LBB14_113:
	s_endpgm
.LBB14_114:
	v_mov_b32_e32 v0, 0
	v_mov_b32_e32 v2, 0
	;; [unrolled: 1-line block ×3, first 2 shown]
	s_mov_b32 s36, 0
.LBB14_115:
	s_and_b32 s37, s37, 3
	s_cmp_eq_u32 s37, 0
	s_cbranch_scc1 .LBB14_118
; %bb.116:
	s_lshl_b32 s22, s36, 3
	s_mul_i32 s24, s36, 12
	s_add_u32 s22, s16, s22
	s_addc_u32 s23, s17, 0
	s_add_u32 s22, s22, 0xc4
	s_addc_u32 s23, s23, 0
	;; [unrolled: 2-line block ×3, first 2 shown]
	.p2align	6
.LBB14_117:                             ; =>This Inner Loop Header: Depth=1
	s_clause 0x1
	s_load_dwordx2 s[38:39], s[24:25], 0x4
	s_load_dword s36, s[24:25], 0xc
	s_load_dwordx2 s[40:41], s[22:23], 0x0
	s_add_u32 s24, s24, 12
	s_addc_u32 s25, s25, 0
	s_add_u32 s22, s22, 8
	s_addc_u32 s23, s23, 0
	s_add_i32 s37, s37, -1
	s_cmp_lg_u32 s37, 0
	s_waitcnt lgkmcnt(0)
	v_mul_hi_u32 v3, s39, v1
	v_add_nc_u32_e32 v3, v1, v3
	v_lshrrev_b32_e32 v4, s36, v3
	v_mul_lo_u32 v3, v4, s38
	v_sub_nc_u32_e32 v3, v1, v3
	v_mad_u64_u32 v[0:1], null, v3, s40, v[0:1]
	v_mad_u64_u32 v[2:3], null, v3, s41, v[2:3]
	v_mov_b32_e32 v1, v4
	s_cbranch_scc1 .LBB14_117
.LBB14_118:
	s_cbranch_execnz .LBB14_121
.LBB14_119:
	s_waitcnt lgkmcnt(0)
	v_mul_hi_u32 v0, s13, v7
	s_andn2_b32 vcc_lo, exec_lo, s30
	v_add_nc_u32_e32 v0, v7, v0
	v_lshrrev_b32_e32 v1, s14, v0
	v_mul_lo_u32 v0, v1, s12
	v_sub_nc_u32_e32 v2, v7, v0
	v_mul_lo_u32 v0, v2, s8
	v_mul_lo_u32 v2, v2, s9
	s_cbranch_vccnz .LBB14_121
; %bb.120:
	v_mul_hi_u32 v3, s18, v1
	v_add_nc_u32_e32 v3, v1, v3
	v_lshrrev_b32_e32 v3, s19, v3
	v_mul_lo_u32 v3, v3, s15
	v_sub_nc_u32_e32 v3, v1, v3
	v_mad_u64_u32 v[0:1], null, v3, s10, v[0:1]
	v_mad_u64_u32 v[2:3], null, v3, s11, v[2:3]
.LBB14_121:
	s_waitcnt lgkmcnt(0)
	global_load_dword v1, v2, s[2:3]
	s_mov_b32 s22, exec_lo
	s_waitcnt vmcnt(0)
	v_cmpx_nlg_f32_e64 0x7f800000, |v1|
	s_cbranch_execz .LBB14_123
; %bb.122:
	v_mov_b32_e32 v2, 0
	v_mov_b32_e32 v3, 1.0
	global_store_dword v2, v3, s[4:5]
.LBB14_123:
	s_or_b32 exec_lo, exec_lo, s22
	v_mov_b32_e32 v2, 0
	v_add_nc_u32_e32 v7, 0x80, v7
	global_load_dword v2, v2, s[6:7]
	s_waitcnt vmcnt(0)
	v_mul_f32_e32 v3, v1, v2
	v_cmp_eq_f32_e32 vcc_lo, 1.0, v2
	v_cndmask_b32_e32 v1, v3, v1, vcc_lo
	global_store_dword v0, v1, s[0:1]
	s_or_b32 exec_lo, exec_lo, s35
	s_mov_b32 s24, exec_lo
	v_cmpx_gt_i32_e64 s31, v7
	s_cbranch_execz .LBB14_112
.LBB14_124:
	s_andn2_b32 vcc_lo, exec_lo, s28
	s_cbranch_vccnz .LBB14_129
; %bb.125:
	s_andn2_b32 vcc_lo, exec_lo, s34
	s_cbranch_vccnz .LBB14_130
; %bb.126:
	s_add_i32 s33, s33, 1
	s_cmp_eq_u32 s27, 2
	s_cbranch_scc1 .LBB14_131
; %bb.127:
	v_mov_b32_e32 v2, 0
	v_mov_b32_e32 v0, 0
	;; [unrolled: 1-line block ×3, first 2 shown]
	s_and_b32 s25, s33, 28
	s_mov_b32 s31, 0
	s_mov_b64 s[22:23], s[16:17]
.LBB14_128:                             ; =>This Inner Loop Header: Depth=1
	s_clause 0x1
	s_load_dwordx8 s[36:43], s[22:23], 0x4
	s_load_dwordx4 s[52:55], s[22:23], 0x24
	s_load_dwordx8 s[44:51], s[20:21], 0x0
	s_add_u32 s22, s22, 48
	s_addc_u32 s23, s23, 0
	s_add_i32 s31, s31, 4
	s_add_u32 s20, s20, 32
	s_addc_u32 s21, s21, 0
	s_cmp_eq_u32 s25, s31
	s_waitcnt lgkmcnt(0)
	v_mul_hi_u32 v3, s37, v1
	v_add_nc_u32_e32 v3, v1, v3
	v_lshrrev_b32_e32 v3, s38, v3
	v_mul_hi_u32 v4, s40, v3
	v_mul_lo_u32 v6, v3, s36
	v_add_nc_u32_e32 v4, v3, v4
	v_sub_nc_u32_e32 v1, v1, v6
	v_lshrrev_b32_e32 v4, s41, v4
	v_mul_lo_u32 v6, v1, s44
	v_mul_lo_u32 v9, v1, s45
	v_mul_hi_u32 v5, s43, v4
	v_add_nc_u32_e32 v5, v4, v5
	v_lshrrev_b32_e32 v5, s52, v5
	v_mul_hi_u32 v8, s54, v5
	v_mul_lo_u32 v10, v5, s42
	v_add_nc_u32_e32 v1, v5, v8
	v_mul_lo_u32 v8, v4, s39
	v_sub_nc_u32_e32 v4, v4, v10
	v_lshrrev_b32_e32 v1, s55, v1
	v_mul_lo_u32 v10, v4, s48
	v_mul_lo_u32 v4, v4, s49
	v_sub_nc_u32_e32 v3, v3, v8
	v_mul_lo_u32 v11, v1, s53
	v_mul_lo_u32 v8, v3, s46
	;; [unrolled: 1-line block ×3, first 2 shown]
	v_sub_nc_u32_e32 v5, v5, v11
	v_add3_u32 v0, v6, v0, v8
	v_mul_lo_u32 v11, v5, s50
	v_mul_lo_u32 v5, v5, s51
	v_add3_u32 v2, v9, v2, v3
	v_add3_u32 v0, v10, v0, v11
	;; [unrolled: 1-line block ×3, first 2 shown]
	s_cbranch_scc0 .LBB14_128
	s_branch .LBB14_132
.LBB14_129:
                                        ; implicit-def: $vgpr0
                                        ; implicit-def: $vgpr2
	s_branch .LBB14_136
.LBB14_130:
	v_mov_b32_e32 v0, 0
	v_mov_b32_e32 v2, 0
	s_branch .LBB14_135
.LBB14_131:
	v_mov_b32_e32 v0, 0
	v_mov_b32_e32 v2, 0
	;; [unrolled: 1-line block ×3, first 2 shown]
	s_mov_b32 s25, 0
.LBB14_132:
	s_and_b32 s31, s33, 3
	s_cmp_eq_u32 s31, 0
	s_cbranch_scc1 .LBB14_135
; %bb.133:
	s_lshl_b32 s20, s25, 3
	s_mul_i32 s22, s25, 12
	s_add_u32 s20, s16, s20
	s_addc_u32 s21, s17, 0
	s_add_u32 s20, s20, 0xc4
	s_addc_u32 s21, s21, 0
	;; [unrolled: 2-line block ×3, first 2 shown]
	.p2align	6
.LBB14_134:                             ; =>This Inner Loop Header: Depth=1
	s_clause 0x1
	s_load_dwordx2 s[34:35], s[22:23], 0x4
	s_load_dword s25, s[22:23], 0xc
	s_load_dwordx2 s[36:37], s[20:21], 0x0
	s_add_u32 s22, s22, 12
	s_addc_u32 s23, s23, 0
	s_add_u32 s20, s20, 8
	s_addc_u32 s21, s21, 0
	s_add_i32 s31, s31, -1
	s_cmp_lg_u32 s31, 0
	s_waitcnt lgkmcnt(0)
	v_mul_hi_u32 v3, s35, v1
	v_add_nc_u32_e32 v3, v1, v3
	v_lshrrev_b32_e32 v4, s25, v3
	v_mul_lo_u32 v3, v4, s34
	v_sub_nc_u32_e32 v3, v1, v3
	v_mad_u64_u32 v[0:1], null, v3, s36, v[0:1]
	v_mad_u64_u32 v[2:3], null, v3, s37, v[2:3]
	v_mov_b32_e32 v1, v4
	s_cbranch_scc1 .LBB14_134
.LBB14_135:
	s_cbranch_execnz .LBB14_138
.LBB14_136:
	s_waitcnt lgkmcnt(0)
	v_mul_hi_u32 v0, s13, v7
	s_andn2_b32 vcc_lo, exec_lo, s30
	v_add_nc_u32_e32 v0, v7, v0
	v_lshrrev_b32_e32 v1, s14, v0
	v_mul_lo_u32 v0, v1, s12
	v_sub_nc_u32_e32 v2, v7, v0
	v_mul_lo_u32 v0, v2, s8
	v_mul_lo_u32 v2, v2, s9
	s_cbranch_vccnz .LBB14_138
; %bb.137:
	v_mul_hi_u32 v3, s18, v1
	v_add_nc_u32_e32 v3, v1, v3
	v_lshrrev_b32_e32 v3, s19, v3
	v_mul_lo_u32 v3, v3, s15
	v_sub_nc_u32_e32 v3, v1, v3
	v_mad_u64_u32 v[0:1], null, v3, s10, v[0:1]
	v_mad_u64_u32 v[2:3], null, v3, s11, v[2:3]
.LBB14_138:
	s_waitcnt lgkmcnt(0)
	global_load_dword v1, v2, s[2:3]
	s_mov_b32 s2, exec_lo
	s_waitcnt vmcnt(0)
	v_cmpx_nlg_f32_e64 0x7f800000, |v1|
	s_cbranch_execz .LBB14_140
; %bb.139:
	v_mov_b32_e32 v2, 0
	v_mov_b32_e32 v3, 1.0
	global_store_dword v2, v3, s[4:5]
.LBB14_140:
	s_or_b32 exec_lo, exec_lo, s2
	v_mov_b32_e32 v2, 0
	global_load_dword v2, v2, s[6:7]
	s_waitcnt vmcnt(0)
	v_mul_f32_e32 v3, v1, v2
	v_cmp_eq_f32_e32 vcc_lo, 1.0, v2
	v_cndmask_b32_e32 v1, v3, v1, vcc_lo
	global_store_dword v0, v1, s[0:1]
	s_or_b32 exec_lo, exec_lo, s24
                                        ; implicit-def: $vgpr13
                                        ; implicit-def: $vgpr7
	s_andn2_saveexec_b32 s0, s29
	s_cbranch_execz .LBB14_113
	s_branch .LBB14_8
	.section	.rodata,"a",@progbits
	.p2align	6, 0x0
	.amdhsa_kernel _ZN2at6native32elementwise_kernel_manual_unrollILi128ELi4EZNS0_22gpu_kernel_impl_nocastIZZZNS0_12_GLOBAL__N_139_amp_non_finite_check_and_unscale_cuda_ERNS_6TensorES5_RKS4_ENKUlvE_clEvENKUlvE0_clEvEUlfE_EEvRNS_18TensorIteratorBaseERKT_EUlibE_EEviT1_
		.amdhsa_group_segment_fixed_size 0
		.amdhsa_private_segment_fixed_size 0
		.amdhsa_kernarg_size 368
		.amdhsa_user_sgpr_count 6
		.amdhsa_user_sgpr_private_segment_buffer 1
		.amdhsa_user_sgpr_dispatch_ptr 0
		.amdhsa_user_sgpr_queue_ptr 0
		.amdhsa_user_sgpr_kernarg_segment_ptr 1
		.amdhsa_user_sgpr_dispatch_id 0
		.amdhsa_user_sgpr_flat_scratch_init 0
		.amdhsa_user_sgpr_private_segment_size 0
		.amdhsa_wavefront_size32 1
		.amdhsa_uses_dynamic_stack 0
		.amdhsa_system_sgpr_private_segment_wavefront_offset 0
		.amdhsa_system_sgpr_workgroup_id_x 1
		.amdhsa_system_sgpr_workgroup_id_y 0
		.amdhsa_system_sgpr_workgroup_id_z 0
		.amdhsa_system_sgpr_workgroup_info 0
		.amdhsa_system_vgpr_workitem_id 0
		.amdhsa_next_free_vgpr 18
		.amdhsa_next_free_sgpr 60
		.amdhsa_reserve_vcc 1
		.amdhsa_reserve_flat_scratch 0
		.amdhsa_float_round_mode_32 0
		.amdhsa_float_round_mode_16_64 0
		.amdhsa_float_denorm_mode_32 3
		.amdhsa_float_denorm_mode_16_64 3
		.amdhsa_dx10_clamp 1
		.amdhsa_ieee_mode 1
		.amdhsa_fp16_overflow 0
		.amdhsa_workgroup_processor_mode 1
		.amdhsa_memory_ordered 1
		.amdhsa_forward_progress 1
		.amdhsa_shared_vgpr_count 0
		.amdhsa_exception_fp_ieee_invalid_op 0
		.amdhsa_exception_fp_denorm_src 0
		.amdhsa_exception_fp_ieee_div_zero 0
		.amdhsa_exception_fp_ieee_overflow 0
		.amdhsa_exception_fp_ieee_underflow 0
		.amdhsa_exception_fp_ieee_inexact 0
		.amdhsa_exception_int_div_zero 0
	.end_amdhsa_kernel
	.section	.text._ZN2at6native32elementwise_kernel_manual_unrollILi128ELi4EZNS0_22gpu_kernel_impl_nocastIZZZNS0_12_GLOBAL__N_139_amp_non_finite_check_and_unscale_cuda_ERNS_6TensorES5_RKS4_ENKUlvE_clEvENKUlvE0_clEvEUlfE_EEvRNS_18TensorIteratorBaseERKT_EUlibE_EEviT1_,"axG",@progbits,_ZN2at6native32elementwise_kernel_manual_unrollILi128ELi4EZNS0_22gpu_kernel_impl_nocastIZZZNS0_12_GLOBAL__N_139_amp_non_finite_check_and_unscale_cuda_ERNS_6TensorES5_RKS4_ENKUlvE_clEvENKUlvE0_clEvEUlfE_EEvRNS_18TensorIteratorBaseERKT_EUlibE_EEviT1_,comdat
.Lfunc_end14:
	.size	_ZN2at6native32elementwise_kernel_manual_unrollILi128ELi4EZNS0_22gpu_kernel_impl_nocastIZZZNS0_12_GLOBAL__N_139_amp_non_finite_check_and_unscale_cuda_ERNS_6TensorES5_RKS4_ENKUlvE_clEvENKUlvE0_clEvEUlfE_EEvRNS_18TensorIteratorBaseERKT_EUlibE_EEviT1_, .Lfunc_end14-_ZN2at6native32elementwise_kernel_manual_unrollILi128ELi4EZNS0_22gpu_kernel_impl_nocastIZZZNS0_12_GLOBAL__N_139_amp_non_finite_check_and_unscale_cuda_ERNS_6TensorES5_RKS4_ENKUlvE_clEvENKUlvE0_clEvEUlfE_EEvRNS_18TensorIteratorBaseERKT_EUlibE_EEviT1_
                                        ; -- End function
	.set _ZN2at6native32elementwise_kernel_manual_unrollILi128ELi4EZNS0_22gpu_kernel_impl_nocastIZZZNS0_12_GLOBAL__N_139_amp_non_finite_check_and_unscale_cuda_ERNS_6TensorES5_RKS4_ENKUlvE_clEvENKUlvE0_clEvEUlfE_EEvRNS_18TensorIteratorBaseERKT_EUlibE_EEviT1_.num_vgpr, 18
	.set _ZN2at6native32elementwise_kernel_manual_unrollILi128ELi4EZNS0_22gpu_kernel_impl_nocastIZZZNS0_12_GLOBAL__N_139_amp_non_finite_check_and_unscale_cuda_ERNS_6TensorES5_RKS4_ENKUlvE_clEvENKUlvE0_clEvEUlfE_EEvRNS_18TensorIteratorBaseERKT_EUlibE_EEviT1_.num_agpr, 0
	.set _ZN2at6native32elementwise_kernel_manual_unrollILi128ELi4EZNS0_22gpu_kernel_impl_nocastIZZZNS0_12_GLOBAL__N_139_amp_non_finite_check_and_unscale_cuda_ERNS_6TensorES5_RKS4_ENKUlvE_clEvENKUlvE0_clEvEUlfE_EEvRNS_18TensorIteratorBaseERKT_EUlibE_EEviT1_.numbered_sgpr, 60
	.set _ZN2at6native32elementwise_kernel_manual_unrollILi128ELi4EZNS0_22gpu_kernel_impl_nocastIZZZNS0_12_GLOBAL__N_139_amp_non_finite_check_and_unscale_cuda_ERNS_6TensorES5_RKS4_ENKUlvE_clEvENKUlvE0_clEvEUlfE_EEvRNS_18TensorIteratorBaseERKT_EUlibE_EEviT1_.num_named_barrier, 0
	.set _ZN2at6native32elementwise_kernel_manual_unrollILi128ELi4EZNS0_22gpu_kernel_impl_nocastIZZZNS0_12_GLOBAL__N_139_amp_non_finite_check_and_unscale_cuda_ERNS_6TensorES5_RKS4_ENKUlvE_clEvENKUlvE0_clEvEUlfE_EEvRNS_18TensorIteratorBaseERKT_EUlibE_EEviT1_.private_seg_size, 0
	.set _ZN2at6native32elementwise_kernel_manual_unrollILi128ELi4EZNS0_22gpu_kernel_impl_nocastIZZZNS0_12_GLOBAL__N_139_amp_non_finite_check_and_unscale_cuda_ERNS_6TensorES5_RKS4_ENKUlvE_clEvENKUlvE0_clEvEUlfE_EEvRNS_18TensorIteratorBaseERKT_EUlibE_EEviT1_.uses_vcc, 1
	.set _ZN2at6native32elementwise_kernel_manual_unrollILi128ELi4EZNS0_22gpu_kernel_impl_nocastIZZZNS0_12_GLOBAL__N_139_amp_non_finite_check_and_unscale_cuda_ERNS_6TensorES5_RKS4_ENKUlvE_clEvENKUlvE0_clEvEUlfE_EEvRNS_18TensorIteratorBaseERKT_EUlibE_EEviT1_.uses_flat_scratch, 0
	.set _ZN2at6native32elementwise_kernel_manual_unrollILi128ELi4EZNS0_22gpu_kernel_impl_nocastIZZZNS0_12_GLOBAL__N_139_amp_non_finite_check_and_unscale_cuda_ERNS_6TensorES5_RKS4_ENKUlvE_clEvENKUlvE0_clEvEUlfE_EEvRNS_18TensorIteratorBaseERKT_EUlibE_EEviT1_.has_dyn_sized_stack, 0
	.set _ZN2at6native32elementwise_kernel_manual_unrollILi128ELi4EZNS0_22gpu_kernel_impl_nocastIZZZNS0_12_GLOBAL__N_139_amp_non_finite_check_and_unscale_cuda_ERNS_6TensorES5_RKS4_ENKUlvE_clEvENKUlvE0_clEvEUlfE_EEvRNS_18TensorIteratorBaseERKT_EUlibE_EEviT1_.has_recursion, 0
	.set _ZN2at6native32elementwise_kernel_manual_unrollILi128ELi4EZNS0_22gpu_kernel_impl_nocastIZZZNS0_12_GLOBAL__N_139_amp_non_finite_check_and_unscale_cuda_ERNS_6TensorES5_RKS4_ENKUlvE_clEvENKUlvE0_clEvEUlfE_EEvRNS_18TensorIteratorBaseERKT_EUlibE_EEviT1_.has_indirect_call, 0
	.section	.AMDGPU.csdata,"",@progbits
; Kernel info:
; codeLenInByte = 6656
; TotalNumSgprs: 62
; NumVgprs: 18
; ScratchSize: 0
; MemoryBound: 0
; FloatMode: 240
; IeeeMode: 1
; LDSByteSize: 0 bytes/workgroup (compile time only)
; SGPRBlocks: 0
; VGPRBlocks: 2
; NumSGPRsForWavesPerEU: 62
; NumVGPRsForWavesPerEU: 18
; Occupancy: 16
; WaveLimiterHint : 1
; COMPUTE_PGM_RSRC2:SCRATCH_EN: 0
; COMPUTE_PGM_RSRC2:USER_SGPR: 6
; COMPUTE_PGM_RSRC2:TRAP_HANDLER: 0
; COMPUTE_PGM_RSRC2:TGID_X_EN: 1
; COMPUTE_PGM_RSRC2:TGID_Y_EN: 0
; COMPUTE_PGM_RSRC2:TGID_Z_EN: 0
; COMPUTE_PGM_RSRC2:TIDIG_COMP_CNT: 0
	.section	.text._ZN2at6native32elementwise_kernel_manual_unrollILi128ELi4EZNS0_15gpu_kernel_implIZZZNS0_12_GLOBAL__N_139_amp_non_finite_check_and_unscale_cuda_ERNS_6TensorES5_RKS4_ENKUlvE_clEvENKUlvE0_clEvEUlfE_EEvRNS_18TensorIteratorBaseERKT_EUlibE_EEviT1_,"axG",@progbits,_ZN2at6native32elementwise_kernel_manual_unrollILi128ELi4EZNS0_15gpu_kernel_implIZZZNS0_12_GLOBAL__N_139_amp_non_finite_check_and_unscale_cuda_ERNS_6TensorES5_RKS4_ENKUlvE_clEvENKUlvE0_clEvEUlfE_EEvRNS_18TensorIteratorBaseERKT_EUlibE_EEviT1_,comdat
	.globl	_ZN2at6native32elementwise_kernel_manual_unrollILi128ELi4EZNS0_15gpu_kernel_implIZZZNS0_12_GLOBAL__N_139_amp_non_finite_check_and_unscale_cuda_ERNS_6TensorES5_RKS4_ENKUlvE_clEvENKUlvE0_clEvEUlfE_EEvRNS_18TensorIteratorBaseERKT_EUlibE_EEviT1_ ; -- Begin function _ZN2at6native32elementwise_kernel_manual_unrollILi128ELi4EZNS0_15gpu_kernel_implIZZZNS0_12_GLOBAL__N_139_amp_non_finite_check_and_unscale_cuda_ERNS_6TensorES5_RKS4_ENKUlvE_clEvENKUlvE0_clEvEUlfE_EEvRNS_18TensorIteratorBaseERKT_EUlibE_EEviT1_
	.p2align	8
	.type	_ZN2at6native32elementwise_kernel_manual_unrollILi128ELi4EZNS0_15gpu_kernel_implIZZZNS0_12_GLOBAL__N_139_amp_non_finite_check_and_unscale_cuda_ERNS_6TensorES5_RKS4_ENKUlvE_clEvENKUlvE0_clEvEUlfE_EEvRNS_18TensorIteratorBaseERKT_EUlibE_EEviT1_,@function
_ZN2at6native32elementwise_kernel_manual_unrollILi128ELi4EZNS0_15gpu_kernel_implIZZZNS0_12_GLOBAL__N_139_amp_non_finite_check_and_unscale_cuda_ERNS_6TensorES5_RKS4_ENKUlvE_clEvENKUlvE0_clEvEUlfE_EEvRNS_18TensorIteratorBaseERKT_EUlibE_EEviT1_: ; @_ZN2at6native32elementwise_kernel_manual_unrollILi128ELi4EZNS0_15gpu_kernel_implIZZZNS0_12_GLOBAL__N_139_amp_non_finite_check_and_unscale_cuda_ERNS_6TensorES5_RKS4_ENKUlvE_clEvENKUlvE0_clEvEUlfE_EEvRNS_18TensorIteratorBaseERKT_EUlibE_EEviT1_
; %bb.0:
	s_clause 0x4
	s_load_dword s16, s[4:5], 0x0
	s_load_dword s1, s[4:5], 0x30
	s_load_dwordx4 s[8:11], s[4:5], 0x8
	s_load_dwordx2 s[2:3], s[4:5], 0x18
	s_load_dwordx4 s[12:15], s[4:5], 0x20
	v_lshl_or_b32 v4, s6, 9, v0
	s_mov_b32 s4, 0
	s_mov_b32 s7, 0
	s_mov_b32 s0, exec_lo
	v_or_b32_e32 v0, 0x180, v4
	s_waitcnt lgkmcnt(0)
	s_bfe_u32 s5, s1, 0x80008
	v_cmpx_le_i32_e64 s16, v0
	s_xor_b32 s6, exec_lo, s0
	s_cbranch_execz .LBB15_1039
; %bb.1:
	s_mov_b32 s21, -1
	s_mov_b32 s19, 0
	s_mov_b32 s17, 0
	s_mov_b32 s18, exec_lo
	v_cmpx_gt_i32_e64 s16, v4
	s_cbranch_execz .LBB15_254
; %bb.2:
	v_mul_lo_u32 v0, v4, s3
	s_and_b32 s0, 0xffff, s5
	s_cmp_lt_i32 s0, 11
	v_ashrrev_i32_e32 v1, 31, v0
	v_add_co_u32 v0, vcc_lo, s10, v0
	v_add_co_ci_u32_e64 v1, null, s11, v1, vcc_lo
	s_cbranch_scc1 .LBB15_9
; %bb.3:
	s_cmp_gt_i32 s0, 25
	s_cbranch_scc0 .LBB15_20
; %bb.4:
	s_cmp_gt_i32 s0, 28
	s_cbranch_scc0 .LBB15_23
	;; [unrolled: 3-line block ×4, first 2 shown]
; %bb.7:
	s_cmp_eq_u32 s0, 46
	s_mov_b32 s20, 0
	s_cbranch_scc0 .LBB15_29
; %bb.8:
	global_load_dword v2, v[0:1], off
	s_mov_b32 s7, -1
	s_waitcnt vmcnt(0)
	v_lshlrev_b32_e32 v2, 16, v2
	s_branch .LBB15_31
.LBB15_9:
                                        ; implicit-def: $vgpr2
	s_cbranch_execnz .LBB15_204
.LBB15_10:
	s_andn2_b32 vcc_lo, exec_lo, s7
	s_cbranch_vccnz .LBB15_251
.LBB15_11:
	s_mov_b32 s0, exec_lo
	s_waitcnt vmcnt(0)
	v_cmpx_nlg_f32_e64 0x7f800000, |v2|
	s_cbranch_execz .LBB15_13
; %bb.12:
	v_mov_b32_e32 v0, 0
	v_mov_b32_e32 v1, 1.0
	global_store_dword v0, v1, s[12:13]
.LBB15_13:
	s_or_b32 exec_lo, exec_lo, s0
	v_mov_b32_e32 v0, 0
	s_and_b32 s7, s1, 0xff
	s_cmp_lt_i32 s7, 11
	global_load_dword v3, v0, s[14:15]
	v_mul_lo_u32 v0, v4, s2
	v_ashrrev_i32_e32 v1, 31, v0
	v_add_co_u32 v0, vcc_lo, s8, v0
	v_add_co_ci_u32_e64 v1, null, s9, v1, vcc_lo
	s_waitcnt vmcnt(0)
	v_mul_f32_e32 v5, v2, v3
	v_cmp_eq_f32_e32 vcc_lo, 1.0, v3
	v_cndmask_b32_e32 v2, v5, v2, vcc_lo
	s_cbranch_scc1 .LBB15_21
; %bb.14:
	s_and_b32 s20, 0xffff, s7
	s_cmp_gt_i32 s20, 25
	s_cbranch_scc0 .LBB15_24
; %bb.15:
	s_cmp_gt_i32 s20, 28
	s_cbranch_scc0 .LBB15_26
; %bb.16:
	s_cmp_gt_i32 s20, 43
	s_cbranch_scc0 .LBB15_28
; %bb.17:
	s_cmp_gt_i32 s20, 45
	s_cbranch_scc0 .LBB15_34
; %bb.18:
	s_mov_b32 s22, 0
	s_mov_b32 s0, -1
	s_cmp_eq_u32 s20, 46
	s_mov_b32 s21, 0
	s_cbranch_scc0 .LBB15_35
; %bb.19:
	v_bfe_u32 v3, v2, 16, 1
	v_cmp_o_f32_e32 vcc_lo, v2, v2
	v_mov_b32_e32 v5, 0x7fc0
	s_mov_b32 s21, -1
	s_mov_b32 s0, 0
	v_add3_u32 v3, v2, v3, 0x7fff
	v_cndmask_b32_sdwa v3, v5, v3, vcc_lo dst_sel:DWORD dst_unused:UNUSED_PAD src0_sel:DWORD src1_sel:WORD_1
	global_store_dword v[0:1], v3, off
	s_branch .LBB15_35
.LBB15_20:
                                        ; implicit-def: $vgpr2
	s_cbranch_execnz .LBB15_169
	s_branch .LBB15_203
.LBB15_21:
	s_mov_b32 s0, 0
	s_mov_b32 s21, 0
	s_cbranch_execnz .LBB15_104
.LBB15_22:
	s_andn2_b32 vcc_lo, exec_lo, s21
	s_cbranch_vccnz .LBB15_252
	s_branch .LBB15_142
.LBB15_23:
	s_mov_b32 s20, -1
                                        ; implicit-def: $vgpr2
	s_branch .LBB15_150
.LBB15_24:
	s_mov_b32 s22, -1
	s_mov_b32 s0, 0
	s_mov_b32 s21, 0
	s_branch .LBB15_62
.LBB15_25:
	s_mov_b32 s20, -1
                                        ; implicit-def: $vgpr2
	s_branch .LBB15_145
.LBB15_26:
	s_mov_b32 s22, -1
	s_mov_b32 s0, 0
	s_mov_b32 s21, 0
	s_branch .LBB15_45
.LBB15_27:
	s_mov_b32 s20, -1
	s_branch .LBB15_30
.LBB15_28:
	s_mov_b32 s22, -1
	s_mov_b32 s0, 0
	s_mov_b32 s21, 0
	s_branch .LBB15_41
.LBB15_29:
	s_mov_b32 s17, -1
.LBB15_30:
                                        ; implicit-def: $vgpr2
.LBB15_31:
	s_and_b32 vcc_lo, exec_lo, s20
	s_cbranch_vccz .LBB15_144
; %bb.32:
	s_cmp_eq_u32 s0, 44
	s_cbranch_scc0 .LBB15_143
; %bb.33:
	global_load_ubyte v2, v[0:1], off
	s_mov_b32 s17, 0
	s_mov_b32 s7, -1
	s_waitcnt vmcnt(0)
	v_lshlrev_b32_e32 v3, 23, v2
	v_cmp_ne_u32_e32 vcc_lo, 0xff, v2
	v_cndmask_b32_e32 v3, 0x7f800001, v3, vcc_lo
	v_cmp_ne_u32_e32 vcc_lo, 0, v2
	v_cndmask_b32_e32 v2, 0x400000, v3, vcc_lo
	s_branch .LBB15_144
.LBB15_34:
	s_mov_b32 s22, -1
	s_mov_b32 s0, 0
	s_mov_b32 s21, 0
.LBB15_35:
	s_and_b32 vcc_lo, exec_lo, s22
	s_cbranch_vccz .LBB15_40
; %bb.36:
	s_cmp_eq_u32 s20, 44
	s_mov_b32 s0, -1
	s_cbranch_scc0 .LBB15_40
; %bb.37:
	v_bfe_u32 v5, v2, 23, 8
	v_mov_b32_e32 v3, 0xff
	s_mov_b32 s21, exec_lo
	v_cmpx_ne_u32_e32 0xff, v5
	s_cbranch_execz .LBB15_39
; %bb.38:
	v_and_b32_e32 v3, 0x400000, v2
	v_and_or_b32 v5, 0x3fffff, v2, v5
	v_cmp_ne_u32_e32 vcc_lo, 0, v3
	v_cmp_ne_u32_e64 s0, 0, v5
	v_lshrrev_b32_e32 v3, 23, v2
	s_and_b32 s0, vcc_lo, s0
	v_cndmask_b32_e64 v5, 0, 1, s0
	v_add_nc_u32_e32 v3, v3, v5
.LBB15_39:
	s_or_b32 exec_lo, exec_lo, s21
	s_mov_b32 s21, -1
	s_mov_b32 s0, 0
	global_store_byte v[0:1], v3, off
.LBB15_40:
	s_mov_b32 s22, 0
.LBB15_41:
	s_and_b32 vcc_lo, exec_lo, s22
	s_cbranch_vccz .LBB15_44
; %bb.42:
	s_cmp_eq_u32 s20, 29
	s_mov_b32 s0, -1
	s_cbranch_scc0 .LBB15_44
; %bb.43:
	v_trunc_f32_e32 v3, v2
	s_mov_b32 s21, -1
	s_mov_b32 s0, 0
	s_mov_b32 s22, 0
	v_mul_f32_e32 v5, 0x2f800000, v3
	v_floor_f32_e32 v5, v5
	v_fmamk_f32 v3, v5, 0xcf800000, v3
	v_cvt_u32_f32_e32 v6, v5
	v_cvt_u32_f32_e32 v5, v3
	global_store_dwordx2 v[0:1], v[5:6], off
	s_branch .LBB15_45
.LBB15_44:
	s_mov_b32 s22, 0
.LBB15_45:
	s_and_b32 vcc_lo, exec_lo, s22
	s_cbranch_vccz .LBB15_61
; %bb.46:
	s_cmp_lt_i32 s20, 27
	s_mov_b32 s21, -1
	s_cbranch_scc1 .LBB15_52
; %bb.47:
	v_cvt_u32_f32_e32 v3, v2
	s_cmp_gt_i32 s20, 27
	s_cbranch_scc0 .LBB15_49
; %bb.48:
	s_mov_b32 s21, 0
	global_store_dword v[0:1], v3, off
.LBB15_49:
	s_andn2_b32 vcc_lo, exec_lo, s21
	s_cbranch_vccnz .LBB15_51
; %bb.50:
	global_store_short v[0:1], v3, off
.LBB15_51:
	s_mov_b32 s21, 0
.LBB15_52:
	s_andn2_b32 vcc_lo, exec_lo, s21
	s_cbranch_vccnz .LBB15_60
; %bb.53:
	v_and_b32_e32 v3, 0x7fffffff, v2
	v_mov_b32_e32 v5, 0x80
	s_mov_b32 s21, exec_lo
	v_cmpx_gt_u32_e32 0x43800000, v3
	s_cbranch_execz .LBB15_59
; %bb.54:
	v_cmp_lt_u32_e32 vcc_lo, 0x3bffffff, v3
	s_mov_b32 s22, 0
                                        ; implicit-def: $vgpr3
	s_and_saveexec_b32 s23, vcc_lo
	s_xor_b32 s23, exec_lo, s23
	s_cbranch_execz .LBB15_283
; %bb.55:
	v_bfe_u32 v3, v2, 20, 1
	s_mov_b32 s22, exec_lo
	v_add3_u32 v3, v2, v3, 0x487ffff
	v_lshrrev_b32_e32 v3, 20, v3
	s_andn2_saveexec_b32 s23, s23
	s_cbranch_execnz .LBB15_284
.LBB15_56:
	s_or_b32 exec_lo, exec_lo, s23
	v_mov_b32_e32 v5, 0
	s_and_saveexec_b32 s23, s22
.LBB15_57:
	v_lshrrev_b32_e32 v5, 24, v2
	v_and_or_b32 v5, 0x80, v5, v3
.LBB15_58:
	s_or_b32 exec_lo, exec_lo, s23
.LBB15_59:
	s_or_b32 exec_lo, exec_lo, s21
	global_store_byte v[0:1], v5, off
.LBB15_60:
	s_mov_b32 s21, -1
.LBB15_61:
	s_mov_b32 s22, 0
.LBB15_62:
	s_and_b32 vcc_lo, exec_lo, s22
	s_cbranch_vccz .LBB15_103
; %bb.63:
	s_cmp_gt_i32 s20, 22
	s_mov_b32 s22, -1
	s_cbranch_scc0 .LBB15_95
; %bb.64:
	s_cmp_lt_i32 s20, 24
	s_mov_b32 s21, -1
	s_cbranch_scc1 .LBB15_84
; %bb.65:
	s_cmp_gt_i32 s20, 24
	s_cbranch_scc0 .LBB15_73
; %bb.66:
	v_and_b32_e32 v3, 0x7fffffff, v2
	v_mov_b32_e32 v5, 0x80
	s_mov_b32 s21, exec_lo
	v_cmpx_gt_u32_e32 0x47800000, v3
	s_cbranch_execz .LBB15_72
; %bb.67:
	v_cmp_lt_u32_e32 vcc_lo, 0x37ffffff, v3
	s_mov_b32 s22, 0
                                        ; implicit-def: $vgpr3
	s_and_saveexec_b32 s23, vcc_lo
	s_xor_b32 s23, exec_lo, s23
	s_cbranch_execz .LBB15_287
; %bb.68:
	v_bfe_u32 v3, v2, 21, 1
	s_mov_b32 s22, exec_lo
	v_add3_u32 v3, v2, v3, 0x88fffff
	v_lshrrev_b32_e32 v3, 21, v3
	s_andn2_saveexec_b32 s23, s23
	s_cbranch_execnz .LBB15_288
.LBB15_69:
	s_or_b32 exec_lo, exec_lo, s23
	v_mov_b32_e32 v5, 0
	s_and_saveexec_b32 s23, s22
.LBB15_70:
	v_lshrrev_b32_e32 v5, 24, v2
	v_and_or_b32 v5, 0x80, v5, v3
.LBB15_71:
	s_or_b32 exec_lo, exec_lo, s23
.LBB15_72:
	s_or_b32 exec_lo, exec_lo, s21
	s_mov_b32 s21, 0
	global_store_byte v[0:1], v5, off
.LBB15_73:
	s_and_b32 vcc_lo, exec_lo, s21
	s_cbranch_vccz .LBB15_83
; %bb.74:
	v_and_b32_e32 v5, 0x7fffffff, v2
	s_mov_b32 s21, exec_lo
                                        ; implicit-def: $vgpr3
	v_cmpx_gt_u32_e32 0x43f00000, v5
	s_xor_b32 s21, exec_lo, s21
	s_cbranch_execz .LBB15_80
; %bb.75:
	s_mov_b32 s22, exec_lo
                                        ; implicit-def: $vgpr3
	v_cmpx_lt_u32_e32 0x3c7fffff, v5
	s_xor_b32 s22, exec_lo, s22
; %bb.76:
	v_bfe_u32 v3, v2, 20, 1
	v_add3_u32 v3, v2, v3, 0x407ffff
	v_and_b32_e32 v5, 0xff00000, v3
	v_lshrrev_b32_e32 v3, 20, v3
	v_cmp_ne_u32_e32 vcc_lo, 0x7f00000, v5
	v_cndmask_b32_e32 v3, 0x7e, v3, vcc_lo
; %bb.77:
	s_andn2_saveexec_b32 s22, s22
; %bb.78:
	v_add_f32_e64 v3, 0x46800000, |v2|
; %bb.79:
	s_or_b32 exec_lo, exec_lo, s22
                                        ; implicit-def: $vgpr5
.LBB15_80:
	s_andn2_saveexec_b32 s21, s21
; %bb.81:
	v_mov_b32_e32 v3, 0x7f
	v_cmp_lt_u32_e32 vcc_lo, 0x7f800000, v5
	v_cndmask_b32_e32 v3, 0x7e, v3, vcc_lo
; %bb.82:
	s_or_b32 exec_lo, exec_lo, s21
	v_lshrrev_b32_e32 v5, 24, v2
	v_and_or_b32 v3, 0x80, v5, v3
	global_store_byte v[0:1], v3, off
.LBB15_83:
	s_mov_b32 s21, 0
.LBB15_84:
	s_andn2_b32 vcc_lo, exec_lo, s21
	s_cbranch_vccnz .LBB15_94
; %bb.85:
	v_and_b32_e32 v5, 0x7fffffff, v2
	s_mov_b32 s21, exec_lo
                                        ; implicit-def: $vgpr3
	v_cmpx_gt_u32_e32 0x47800000, v5
	s_xor_b32 s21, exec_lo, s21
	s_cbranch_execz .LBB15_91
; %bb.86:
	s_mov_b32 s22, exec_lo
                                        ; implicit-def: $vgpr3
	v_cmpx_lt_u32_e32 0x387fffff, v5
	s_xor_b32 s22, exec_lo, s22
; %bb.87:
	v_bfe_u32 v3, v2, 21, 1
	v_add3_u32 v3, v2, v3, 0x80fffff
	v_lshrrev_b32_e32 v3, 21, v3
; %bb.88:
	s_andn2_saveexec_b32 s22, s22
; %bb.89:
	v_add_f32_e64 v3, 0x43000000, |v2|
; %bb.90:
	s_or_b32 exec_lo, exec_lo, s22
                                        ; implicit-def: $vgpr5
.LBB15_91:
	s_andn2_saveexec_b32 s21, s21
; %bb.92:
	v_mov_b32_e32 v3, 0x7f
	v_cmp_lt_u32_e32 vcc_lo, 0x7f800000, v5
	v_cndmask_b32_e32 v3, 0x7c, v3, vcc_lo
; %bb.93:
	s_or_b32 exec_lo, exec_lo, s21
	v_lshrrev_b32_e32 v5, 24, v2
	v_and_or_b32 v3, 0x80, v5, v3
	global_store_byte v[0:1], v3, off
.LBB15_94:
	s_mov_b32 s22, 0
	s_mov_b32 s21, -1
.LBB15_95:
	s_andn2_b32 vcc_lo, exec_lo, s22
	s_cbranch_vccnz .LBB15_103
; %bb.96:
	s_cmp_gt_i32 s20, 14
	s_mov_b32 s22, -1
	s_cbranch_scc0 .LBB15_100
; %bb.97:
	s_cmp_eq_u32 s20, 15
	s_mov_b32 s0, -1
	s_cbranch_scc0 .LBB15_99
; %bb.98:
	v_bfe_u32 v3, v2, 16, 1
	v_cmp_o_f32_e32 vcc_lo, v2, v2
	v_mov_b32_e32 v5, 0x7fc0
	s_mov_b32 s21, -1
	s_mov_b32 s0, 0
	v_add3_u32 v3, v2, v3, 0x7fff
	v_cndmask_b32_sdwa v3, v5, v3, vcc_lo dst_sel:DWORD dst_unused:UNUSED_PAD src0_sel:DWORD src1_sel:WORD_1
	global_store_short v[0:1], v3, off
.LBB15_99:
	s_mov_b32 s22, 0
.LBB15_100:
	s_and_b32 vcc_lo, exec_lo, s22
	s_cbranch_vccz .LBB15_103
; %bb.101:
	s_cmp_eq_u32 s20, 11
	s_mov_b32 s0, -1
	s_cbranch_scc0 .LBB15_103
; %bb.102:
	v_cmp_neq_f32_e32 vcc_lo, 0, v2
	s_mov_b32 s0, 0
	s_mov_b32 s21, -1
	v_cndmask_b32_e64 v3, 0, 1, vcc_lo
	global_store_byte v[0:1], v3, off
.LBB15_103:
	s_branch .LBB15_22
.LBB15_104:
	s_and_b32 s7, 0xffff, s7
	s_mov_b32 s20, -1
	s_cmp_lt_i32 s7, 5
	s_cbranch_scc1 .LBB15_125
; %bb.105:
	s_cmp_lt_i32 s7, 8
	s_cbranch_scc1 .LBB15_115
; %bb.106:
	;; [unrolled: 3-line block ×3, first 2 shown]
	s_cmp_gt_i32 s7, 9
	s_cbranch_scc0 .LBB15_109
; %bb.108:
	v_cvt_f64_f32_e32 v[5:6], v2
	v_mov_b32_e32 v7, 0
	s_mov_b32 s20, 0
	v_mov_b32_e32 v8, v7
	global_store_dwordx4 v[0:1], v[5:8], off
.LBB15_109:
	s_andn2_b32 vcc_lo, exec_lo, s20
	s_cbranch_vccnz .LBB15_111
; %bb.110:
	v_mov_b32_e32 v3, 0
	global_store_dwordx2 v[0:1], v[2:3], off
.LBB15_111:
	s_mov_b32 s20, 0
.LBB15_112:
	s_andn2_b32 vcc_lo, exec_lo, s20
	s_cbranch_vccnz .LBB15_114
; %bb.113:
	v_cvt_f16_f32_e32 v3, v2
	v_and_b32_e32 v3, 0xffff, v3
	global_store_dword v[0:1], v3, off
.LBB15_114:
	s_mov_b32 s20, 0
.LBB15_115:
	s_andn2_b32 vcc_lo, exec_lo, s20
	s_cbranch_vccnz .LBB15_124
; %bb.116:
	s_cmp_lt_i32 s7, 6
	s_mov_b32 s20, -1
	s_cbranch_scc1 .LBB15_122
; %bb.117:
	s_cmp_gt_i32 s7, 6
	s_cbranch_scc0 .LBB15_119
; %bb.118:
	v_cvt_f64_f32_e32 v[5:6], v2
	s_mov_b32 s20, 0
	global_store_dwordx2 v[0:1], v[5:6], off
.LBB15_119:
	s_andn2_b32 vcc_lo, exec_lo, s20
	s_cbranch_vccnz .LBB15_121
; %bb.120:
	global_store_dword v[0:1], v2, off
.LBB15_121:
	s_mov_b32 s20, 0
.LBB15_122:
	s_andn2_b32 vcc_lo, exec_lo, s20
	s_cbranch_vccnz .LBB15_124
; %bb.123:
	v_cvt_f16_f32_e32 v3, v2
	global_store_short v[0:1], v3, off
.LBB15_124:
	s_mov_b32 s20, 0
.LBB15_125:
	s_andn2_b32 vcc_lo, exec_lo, s20
	s_cbranch_vccnz .LBB15_141
; %bb.126:
	s_cmp_lt_i32 s7, 2
	s_mov_b32 s20, -1
	s_cbranch_scc1 .LBB15_136
; %bb.127:
	s_cmp_lt_i32 s7, 3
	s_cbranch_scc1 .LBB15_133
; %bb.128:
	s_cmp_gt_i32 s7, 3
	s_cbranch_scc0 .LBB15_130
; %bb.129:
	v_trunc_f32_e32 v3, v2
	s_mov_b32 s20, 0
	v_mul_f32_e64 v5, 0x2f800000, |v3|
	v_floor_f32_e32 v5, v5
	v_fma_f32 v6, 0xcf800000, v5, |v3|
	v_ashrrev_i32_e32 v3, 31, v3
	v_cvt_u32_f32_e32 v5, v5
	v_cvt_u32_f32_e32 v6, v6
	v_xor_b32_e32 v7, v5, v3
	v_xor_b32_e32 v6, v6, v3
	v_sub_co_u32 v5, vcc_lo, v6, v3
	v_sub_co_ci_u32_e64 v6, null, v7, v3, vcc_lo
	global_store_dwordx2 v[0:1], v[5:6], off
.LBB15_130:
	s_andn2_b32 vcc_lo, exec_lo, s20
	s_cbranch_vccnz .LBB15_132
; %bb.131:
	v_cvt_i32_f32_e32 v3, v2
	global_store_dword v[0:1], v3, off
.LBB15_132:
	s_mov_b32 s20, 0
.LBB15_133:
	s_andn2_b32 vcc_lo, exec_lo, s20
	s_cbranch_vccnz .LBB15_135
; %bb.134:
	v_cvt_i32_f32_e32 v3, v2
	global_store_short v[0:1], v3, off
.LBB15_135:
	s_mov_b32 s20, 0
.LBB15_136:
	s_andn2_b32 vcc_lo, exec_lo, s20
	s_cbranch_vccnz .LBB15_141
; %bb.137:
	s_cmp_gt_i32 s7, 0
	s_mov_b32 s7, -1
	s_cbranch_scc0 .LBB15_139
; %bb.138:
	v_cvt_i32_f32_e32 v3, v2
	s_mov_b32 s7, 0
	global_store_byte v[0:1], v3, off
.LBB15_139:
	s_andn2_b32 vcc_lo, exec_lo, s7
	s_cbranch_vccnz .LBB15_141
; %bb.140:
	v_trunc_f32_e32 v2, v2
	v_mul_f32_e64 v3, 0x2f800000, |v2|
	v_floor_f32_e32 v3, v3
	v_fma_f32 v3, 0xcf800000, v3, |v2|
	v_ashrrev_i32_e32 v2, 31, v2
	v_cvt_u32_f32_e32 v3, v3
	v_xor_b32_e32 v3, v3, v2
	v_sub_nc_u32_e32 v2, v3, v2
	global_store_byte v[0:1], v2, off
.LBB15_141:
.LBB15_142:
	v_add_nc_u32_e32 v4, 0x80, v4
	s_mov_b32 s20, -1
	s_branch .LBB15_253
.LBB15_143:
	s_mov_b32 s17, -1
                                        ; implicit-def: $vgpr2
.LBB15_144:
	s_mov_b32 s20, 0
.LBB15_145:
	s_and_b32 vcc_lo, exec_lo, s20
	s_cbranch_vccz .LBB15_149
; %bb.146:
	s_cmp_eq_u32 s0, 29
	s_cbranch_scc0 .LBB15_148
; %bb.147:
	global_load_dwordx2 v[2:3], v[0:1], off
	s_mov_b32 s7, -1
	s_mov_b32 s17, 0
	s_mov_b32 s20, 0
	s_waitcnt vmcnt(0)
	v_ffbh_u32_e32 v5, v3
	v_min_u32_e32 v5, 32, v5
	v_lshlrev_b64 v[2:3], v5, v[2:3]
	v_min_u32_e32 v2, 1, v2
	v_or_b32_e32 v2, v3, v2
	v_sub_nc_u32_e32 v3, 32, v5
	v_cvt_f32_u32_e32 v2, v2
	v_ldexp_f32 v2, v2, v3
	s_branch .LBB15_150
.LBB15_148:
	s_mov_b32 s17, -1
                                        ; implicit-def: $vgpr2
.LBB15_149:
	s_mov_b32 s20, 0
.LBB15_150:
	s_and_b32 vcc_lo, exec_lo, s20
	s_cbranch_vccz .LBB15_168
; %bb.151:
	s_cmp_lt_i32 s0, 27
	s_cbranch_scc1 .LBB15_154
; %bb.152:
	s_cmp_gt_i32 s0, 27
	s_cbranch_scc0 .LBB15_155
; %bb.153:
	global_load_dword v2, v[0:1], off
	s_mov_b32 s7, 0
	s_waitcnt vmcnt(0)
	v_cvt_f32_u32_e32 v2, v2
	s_branch .LBB15_156
.LBB15_154:
	s_mov_b32 s7, -1
                                        ; implicit-def: $vgpr2
	s_branch .LBB15_159
.LBB15_155:
	s_mov_b32 s7, -1
                                        ; implicit-def: $vgpr2
.LBB15_156:
	s_andn2_b32 vcc_lo, exec_lo, s7
	s_cbranch_vccnz .LBB15_158
; %bb.157:
	global_load_ushort v2, v[0:1], off
	s_waitcnt vmcnt(0)
	v_cvt_f32_u32_e32 v2, v2
.LBB15_158:
	s_mov_b32 s7, 0
.LBB15_159:
	s_andn2_b32 vcc_lo, exec_lo, s7
	s_cbranch_vccnz .LBB15_167
; %bb.160:
	global_load_ubyte v3, v[0:1], off
	s_mov_b32 s7, 0
	s_mov_b32 s20, exec_lo
	s_waitcnt vmcnt(0)
	v_cmpx_lt_i16_e32 0x7f, v3
	s_xor_b32 s20, exec_lo, s20
	s_cbranch_execz .LBB15_180
; %bb.161:
	s_mov_b32 s7, -1
	s_mov_b32 s21, exec_lo
	v_cmpx_eq_u16_e32 0x80, v3
; %bb.162:
	s_xor_b32 s7, exec_lo, -1
; %bb.163:
	s_or_b32 exec_lo, exec_lo, s21
	s_and_b32 s7, s7, exec_lo
	s_or_saveexec_b32 s20, s20
	v_mov_b32_e32 v2, 0x7f800001
	s_xor_b32 exec_lo, exec_lo, s20
	s_cbranch_execnz .LBB15_181
.LBB15_164:
	s_or_b32 exec_lo, exec_lo, s20
	s_and_saveexec_b32 s20, s7
	s_cbranch_execz .LBB15_166
.LBB15_165:
	v_and_b32_e32 v2, 0xffff, v3
	v_lshlrev_b32_e32 v3, 24, v3
	v_and_b32_e32 v5, 7, v2
	v_bfe_u32 v8, v2, 3, 4
	v_and_b32_e32 v3, 0x80000000, v3
	v_ffbh_u32_e32 v6, v5
	v_cmp_eq_u32_e32 vcc_lo, 0, v8
	v_min_u32_e32 v6, 32, v6
	v_subrev_nc_u32_e32 v7, 28, v6
	v_sub_nc_u32_e32 v6, 29, v6
	v_lshlrev_b32_e32 v2, v7, v2
	v_cndmask_b32_e32 v6, v8, v6, vcc_lo
	v_and_b32_e32 v2, 7, v2
	v_cndmask_b32_e32 v2, v5, v2, vcc_lo
	v_lshl_add_u32 v5, v6, 23, 0x3b800000
	v_lshlrev_b32_e32 v2, 20, v2
	v_or3_b32 v2, v3, v5, v2
.LBB15_166:
	s_or_b32 exec_lo, exec_lo, s20
.LBB15_167:
	s_mov_b32 s7, -1
.LBB15_168:
	s_branch .LBB15_203
.LBB15_169:
	s_cmp_gt_i32 s0, 22
	s_cbranch_scc0 .LBB15_179
; %bb.170:
	s_cmp_lt_i32 s0, 24
	s_cbranch_scc1 .LBB15_182
; %bb.171:
	s_cmp_gt_i32 s0, 24
	s_cbranch_scc0 .LBB15_183
; %bb.172:
	global_load_ubyte v3, v[0:1], off
	s_mov_b32 s7, 0
	s_mov_b32 s20, exec_lo
	s_waitcnt vmcnt(0)
	v_cmpx_lt_i16_e32 0x7f, v3
	s_xor_b32 s20, exec_lo, s20
	s_cbranch_execz .LBB15_195
; %bb.173:
	s_mov_b32 s7, -1
	s_mov_b32 s21, exec_lo
	v_cmpx_eq_u16_e32 0x80, v3
; %bb.174:
	s_xor_b32 s7, exec_lo, -1
; %bb.175:
	s_or_b32 exec_lo, exec_lo, s21
	s_and_b32 s7, s7, exec_lo
	s_or_saveexec_b32 s20, s20
	v_mov_b32_e32 v2, 0x7f800001
	s_xor_b32 exec_lo, exec_lo, s20
	s_cbranch_execnz .LBB15_196
.LBB15_176:
	s_or_b32 exec_lo, exec_lo, s20
	s_and_saveexec_b32 s20, s7
	s_cbranch_execz .LBB15_178
.LBB15_177:
	v_and_b32_e32 v2, 0xffff, v3
	v_lshlrev_b32_e32 v3, 24, v3
	v_and_b32_e32 v5, 3, v2
	v_bfe_u32 v8, v2, 2, 5
	v_and_b32_e32 v3, 0x80000000, v3
	v_ffbh_u32_e32 v6, v5
	v_cmp_eq_u32_e32 vcc_lo, 0, v8
	v_min_u32_e32 v6, 32, v6
	v_subrev_nc_u32_e32 v7, 29, v6
	v_sub_nc_u32_e32 v6, 30, v6
	v_lshlrev_b32_e32 v2, v7, v2
	v_cndmask_b32_e32 v6, v8, v6, vcc_lo
	v_and_b32_e32 v2, 3, v2
	v_cndmask_b32_e32 v2, v5, v2, vcc_lo
	v_lshl_add_u32 v5, v6, 23, 0x37800000
	v_lshlrev_b32_e32 v2, 21, v2
	v_or3_b32 v2, v3, v5, v2
.LBB15_178:
	s_or_b32 exec_lo, exec_lo, s20
	s_mov_b32 s7, 0
	s_branch .LBB15_184
.LBB15_179:
	s_mov_b32 s20, -1
                                        ; implicit-def: $vgpr2
	s_branch .LBB15_190
.LBB15_180:
	s_or_saveexec_b32 s20, s20
	v_mov_b32_e32 v2, 0x7f800001
	s_xor_b32 exec_lo, exec_lo, s20
	s_cbranch_execz .LBB15_164
.LBB15_181:
	v_cmp_ne_u16_e32 vcc_lo, 0, v3
	v_mov_b32_e32 v2, 0
	s_andn2_b32 s7, s7, exec_lo
	s_and_b32 s21, vcc_lo, exec_lo
	s_or_b32 s7, s7, s21
	s_or_b32 exec_lo, exec_lo, s20
	s_and_saveexec_b32 s20, s7
	s_cbranch_execnz .LBB15_165
	s_branch .LBB15_166
.LBB15_182:
	s_mov_b32 s7, -1
                                        ; implicit-def: $vgpr2
	s_branch .LBB15_187
.LBB15_183:
	s_mov_b32 s7, -1
                                        ; implicit-def: $vgpr2
.LBB15_184:
	s_and_b32 vcc_lo, exec_lo, s7
	s_cbranch_vccz .LBB15_186
; %bb.185:
	global_load_ubyte v2, v[0:1], off
	s_waitcnt vmcnt(0)
	v_lshlrev_b32_e32 v2, 24, v2
	v_and_b32_e32 v3, 0x7f000000, v2
	v_ffbh_u32_e32 v5, v3
	v_add_nc_u32_e32 v7, 0x1000000, v3
	v_cmp_ne_u32_e32 vcc_lo, 0, v3
	v_min_u32_e32 v5, 32, v5
	v_sub_nc_u32_e64 v5, v5, 4 clamp
	v_lshlrev_b32_e32 v6, v5, v3
	v_lshlrev_b32_e32 v5, 23, v5
	v_lshrrev_b32_e32 v6, 4, v6
	v_sub_nc_u32_e32 v5, v6, v5
	v_ashrrev_i32_e32 v6, 8, v7
	v_add_nc_u32_e32 v5, 0x3c000000, v5
	v_and_or_b32 v5, 0x7f800000, v6, v5
	v_cndmask_b32_e32 v3, 0, v5, vcc_lo
	v_and_or_b32 v2, 0x80000000, v2, v3
.LBB15_186:
	s_mov_b32 s7, 0
.LBB15_187:
	s_andn2_b32 vcc_lo, exec_lo, s7
	s_cbranch_vccnz .LBB15_189
; %bb.188:
	global_load_ubyte v2, v[0:1], off
	s_waitcnt vmcnt(0)
	v_lshlrev_b32_e32 v3, 25, v2
	v_lshlrev_b16 v2, 8, v2
	v_lshrrev_b32_e32 v5, 4, v3
	v_and_or_b32 v6, 0x7f00, v2, 0.5
	v_cmp_gt_u32_e32 vcc_lo, 0x8000000, v3
	v_bfe_i32 v2, v2, 0, 16
	v_or_b32_e32 v5, 0x70000000, v5
	v_add_f32_e32 v6, -0.5, v6
	v_mul_f32_e32 v5, 0x7800000, v5
	v_cndmask_b32_e32 v3, v5, v6, vcc_lo
	v_and_or_b32 v2, 0x80000000, v2, v3
.LBB15_189:
	s_mov_b32 s20, 0
	s_mov_b32 s7, -1
.LBB15_190:
	s_andn2_b32 vcc_lo, exec_lo, s20
	s_cbranch_vccnz .LBB15_203
; %bb.191:
	s_cmp_gt_i32 s0, 14
	s_cbranch_scc0 .LBB15_194
; %bb.192:
	s_cmp_eq_u32 s0, 15
	s_cbranch_scc0 .LBB15_197
; %bb.193:
	global_load_ushort v2, v[0:1], off
	s_mov_b32 s7, -1
	s_mov_b32 s17, 0
	s_waitcnt vmcnt(0)
	v_lshlrev_b32_e32 v2, 16, v2
	s_branch .LBB15_198
.LBB15_194:
	s_mov_b32 s20, -1
                                        ; implicit-def: $vgpr2
	s_branch .LBB15_199
.LBB15_195:
	s_or_saveexec_b32 s20, s20
	v_mov_b32_e32 v2, 0x7f800001
	s_xor_b32 exec_lo, exec_lo, s20
	s_cbranch_execz .LBB15_176
.LBB15_196:
	v_cmp_ne_u16_e32 vcc_lo, 0, v3
	v_mov_b32_e32 v2, 0
	s_andn2_b32 s7, s7, exec_lo
	s_and_b32 s21, vcc_lo, exec_lo
	s_or_b32 s7, s7, s21
	s_or_b32 exec_lo, exec_lo, s20
	s_and_saveexec_b32 s20, s7
	s_cbranch_execnz .LBB15_177
	s_branch .LBB15_178
.LBB15_197:
	s_mov_b32 s17, -1
                                        ; implicit-def: $vgpr2
.LBB15_198:
	s_mov_b32 s20, 0
.LBB15_199:
	s_and_b32 vcc_lo, exec_lo, s20
	s_cbranch_vccz .LBB15_203
; %bb.200:
	s_cmp_eq_u32 s0, 11
	s_cbranch_scc0 .LBB15_202
; %bb.201:
	global_load_ubyte v2, v[0:1], off
	s_mov_b32 s17, 0
	s_mov_b32 s7, -1
	s_waitcnt vmcnt(0)
	v_cmp_ne_u16_e32 vcc_lo, 0, v2
	v_cndmask_b32_e64 v2, 0, 1.0, vcc_lo
	s_branch .LBB15_203
.LBB15_202:
	s_mov_b32 s17, -1
                                        ; implicit-def: $vgpr2
.LBB15_203:
	s_branch .LBB15_10
.LBB15_204:
	s_cmp_lt_i32 s0, 5
	s_cbranch_scc1 .LBB15_209
; %bb.205:
	s_cmp_lt_i32 s0, 8
	s_cbranch_scc1 .LBB15_210
; %bb.206:
	;; [unrolled: 3-line block ×3, first 2 shown]
	s_cmp_gt_i32 s0, 9
	s_cbranch_scc0 .LBB15_212
; %bb.208:
	global_load_dwordx2 v[2:3], v[0:1], off
	s_mov_b32 s7, 0
	s_waitcnt vmcnt(0)
	v_cvt_f32_f64_e32 v2, v[2:3]
	s_branch .LBB15_213
.LBB15_209:
                                        ; implicit-def: $vgpr2
	s_branch .LBB15_231
.LBB15_210:
	s_mov_b32 s7, -1
                                        ; implicit-def: $vgpr2
	s_branch .LBB15_219
.LBB15_211:
	s_mov_b32 s7, -1
                                        ; implicit-def: $vgpr2
	s_branch .LBB15_216
.LBB15_212:
	s_mov_b32 s7, -1
                                        ; implicit-def: $vgpr2
.LBB15_213:
	s_andn2_b32 vcc_lo, exec_lo, s7
	s_cbranch_vccnz .LBB15_215
; %bb.214:
	global_load_dword v2, v[0:1], off
.LBB15_215:
	s_mov_b32 s7, 0
.LBB15_216:
	s_andn2_b32 vcc_lo, exec_lo, s7
	s_cbranch_vccnz .LBB15_218
; %bb.217:
	global_load_dword v2, v[0:1], off
	s_waitcnt vmcnt(0)
	v_cvt_f32_f16_e32 v2, v2
.LBB15_218:
	s_mov_b32 s7, 0
.LBB15_219:
	s_andn2_b32 vcc_lo, exec_lo, s7
	s_cbranch_vccnz .LBB15_230
; %bb.220:
	s_cmp_lt_i32 s0, 6
	s_cbranch_scc1 .LBB15_223
; %bb.221:
	s_cmp_gt_i32 s0, 6
	s_cbranch_scc0 .LBB15_224
; %bb.222:
	global_load_dwordx2 v[2:3], v[0:1], off
	s_mov_b32 s7, 0
	s_waitcnt vmcnt(0)
	v_cvt_f32_f64_e32 v2, v[2:3]
	s_branch .LBB15_225
.LBB15_223:
	s_mov_b32 s7, -1
                                        ; implicit-def: $vgpr2
	s_branch .LBB15_228
.LBB15_224:
	s_mov_b32 s7, -1
                                        ; implicit-def: $vgpr2
.LBB15_225:
	s_andn2_b32 vcc_lo, exec_lo, s7
	s_cbranch_vccnz .LBB15_227
; %bb.226:
	global_load_dword v2, v[0:1], off
.LBB15_227:
	s_mov_b32 s7, 0
.LBB15_228:
	s_andn2_b32 vcc_lo, exec_lo, s7
	s_cbranch_vccnz .LBB15_230
; %bb.229:
	global_load_ushort v2, v[0:1], off
	s_waitcnt vmcnt(0)
	v_cvt_f32_f16_e32 v2, v2
.LBB15_230:
	s_cbranch_execnz .LBB15_250
.LBB15_231:
	s_cmp_lt_i32 s0, 2
	s_cbranch_scc1 .LBB15_235
; %bb.232:
	s_cmp_lt_i32 s0, 3
	s_cbranch_scc1 .LBB15_236
; %bb.233:
	s_cmp_gt_i32 s0, 3
	s_cbranch_scc0 .LBB15_237
; %bb.234:
	global_load_dwordx2 v[2:3], v[0:1], off
	s_mov_b32 s7, 0
	s_waitcnt vmcnt(0)
	v_xor_b32_e32 v5, v2, v3
	v_ffbh_i32_e32 v6, v3
	v_ashrrev_i32_e32 v5, 31, v5
	v_add_nc_u32_e32 v6, -1, v6
	v_add_nc_u32_e32 v5, 32, v5
	v_min_u32_e32 v5, v6, v5
	v_lshlrev_b64 v[2:3], v5, v[2:3]
	v_min_u32_e32 v2, 1, v2
	v_or_b32_e32 v2, v3, v2
	v_sub_nc_u32_e32 v3, 32, v5
	v_cvt_f32_i32_e32 v2, v2
	v_ldexp_f32 v2, v2, v3
	s_branch .LBB15_238
.LBB15_235:
	s_mov_b32 s7, -1
                                        ; implicit-def: $vgpr2
	s_branch .LBB15_244
.LBB15_236:
	s_mov_b32 s7, -1
                                        ; implicit-def: $vgpr2
	s_branch .LBB15_241
.LBB15_237:
	s_mov_b32 s7, -1
                                        ; implicit-def: $vgpr2
.LBB15_238:
	s_andn2_b32 vcc_lo, exec_lo, s7
	s_cbranch_vccnz .LBB15_240
; %bb.239:
	global_load_dword v2, v[0:1], off
	s_waitcnt vmcnt(0)
	v_cvt_f32_i32_e32 v2, v2
.LBB15_240:
	s_mov_b32 s7, 0
.LBB15_241:
	s_andn2_b32 vcc_lo, exec_lo, s7
	s_cbranch_vccnz .LBB15_243
; %bb.242:
	global_load_sshort v2, v[0:1], off
	s_waitcnt vmcnt(0)
	v_cvt_f32_i32_e32 v2, v2
.LBB15_243:
	s_mov_b32 s7, 0
.LBB15_244:
	s_andn2_b32 vcc_lo, exec_lo, s7
	s_cbranch_vccnz .LBB15_250
; %bb.245:
	s_cmp_gt_i32 s0, 0
	s_mov_b32 s0, 0
	s_cbranch_scc0 .LBB15_247
; %bb.246:
	global_load_sbyte v2, v[0:1], off
	s_waitcnt vmcnt(0)
	v_cvt_f32_i32_e32 v2, v2
	s_branch .LBB15_248
.LBB15_247:
	s_mov_b32 s0, -1
                                        ; implicit-def: $vgpr2
.LBB15_248:
	s_andn2_b32 vcc_lo, exec_lo, s0
	s_cbranch_vccnz .LBB15_250
; %bb.249:
	global_load_ubyte v0, v[0:1], off
	s_waitcnt vmcnt(0)
	v_cvt_f32_ubyte0_e32 v2, v0
.LBB15_250:
	s_branch .LBB15_11
.LBB15_251:
	s_mov_b32 s0, 0
.LBB15_252:
	s_mov_b32 s20, 0
                                        ; implicit-def: $vgpr4
.LBB15_253:
	s_and_b32 s7, s0, exec_lo
	s_and_b32 s17, s17, exec_lo
	s_orn2_b32 s21, s20, exec_lo
.LBB15_254:
	s_or_b32 exec_lo, exec_lo, s18
	s_mov_b32 s20, 0
	s_mov_b32 s0, 0
                                        ; implicit-def: $vgpr0_vgpr1
                                        ; implicit-def: $vgpr3
	s_and_saveexec_b32 s18, s21
	s_cbranch_execz .LBB15_263
; %bb.255:
	s_mov_b32 s0, -1
	s_mov_b32 s19, s17
	s_mov_b32 s20, s7
	s_mov_b32 s21, exec_lo
	v_cmpx_gt_i32_e64 s16, v4
	s_cbranch_execz .LBB15_519
; %bb.256:
	v_mul_lo_u32 v0, v4, s3
	s_and_b32 s0, 0xffff, s5
	s_cmp_lt_i32 s0, 11
	v_ashrrev_i32_e32 v1, 31, v0
	v_add_co_u32 v0, vcc_lo, s10, v0
	v_add_co_ci_u32_e64 v1, null, s11, v1, vcc_lo
	s_cbranch_scc1 .LBB15_266
; %bb.257:
	s_cmp_gt_i32 s0, 25
	s_cbranch_scc0 .LBB15_277
; %bb.258:
	s_cmp_gt_i32 s0, 28
	s_cbranch_scc0 .LBB15_279
	;; [unrolled: 3-line block ×4, first 2 shown]
; %bb.261:
	s_cmp_eq_u32 s0, 46
	s_mov_b32 s22, 0
	s_cbranch_scc0 .LBB15_289
; %bb.262:
	global_load_dword v2, v[0:1], off
	s_mov_b32 s20, -1
	s_mov_b32 s19, 0
	s_waitcnt vmcnt(0)
	v_lshlrev_b32_e32 v2, 16, v2
	s_branch .LBB15_291
.LBB15_263:
	s_or_b32 exec_lo, exec_lo, s18
	s_mov_b32 s16, 0
	s_and_saveexec_b32 s18, s17
	s_cbranch_execnz .LBB15_869
.LBB15_264:
	s_or_b32 exec_lo, exec_lo, s18
	s_and_saveexec_b32 s17, s19
	s_xor_b32 s17, exec_lo, s17
	s_cbranch_execz .LBB15_870
.LBB15_265:
	global_load_ubyte v2, v[0:1], off
	s_or_b32 s0, s0, exec_lo
	s_waitcnt vmcnt(0)
	v_cmp_ne_u16_e32 vcc_lo, 0, v2
	v_cndmask_b32_e64 v3, 0, 1.0, vcc_lo
	s_or_b32 exec_lo, exec_lo, s17
	s_and_saveexec_b32 s17, s20
	s_cbranch_execz .LBB15_916
	s_branch .LBB15_871
.LBB15_266:
	s_mov_b32 s20, 0
	s_mov_b32 s19, s17
                                        ; implicit-def: $vgpr2
	s_cbranch_execnz .LBB15_468
.LBB15_267:
	s_andn2_b32 vcc_lo, exec_lo, s20
	s_cbranch_vccnz .LBB15_516
.LBB15_268:
	s_mov_b32 s0, exec_lo
	s_waitcnt vmcnt(0)
	v_cmpx_nlg_f32_e64 0x7f800000, |v2|
	s_cbranch_execz .LBB15_270
; %bb.269:
	v_mov_b32_e32 v0, 0
	v_mov_b32_e32 v1, 1.0
	global_store_dword v0, v1, s[12:13]
.LBB15_270:
	s_or_b32 exec_lo, exec_lo, s0
	v_mov_b32_e32 v0, 0
	s_and_b32 s20, s1, 0xff
	s_cmp_lt_i32 s20, 11
	global_load_dword v3, v0, s[14:15]
	v_mul_lo_u32 v0, v4, s2
	v_ashrrev_i32_e32 v1, 31, v0
	v_add_co_u32 v0, vcc_lo, s8, v0
	v_add_co_ci_u32_e64 v1, null, s9, v1, vcc_lo
	s_waitcnt vmcnt(0)
	v_mul_f32_e32 v5, v2, v3
	v_cmp_eq_f32_e32 vcc_lo, 1.0, v3
	v_cndmask_b32_e32 v2, v5, v2, vcc_lo
	s_cbranch_scc1 .LBB15_278
; %bb.271:
	s_and_b32 s22, 0xffff, s20
	s_cmp_gt_i32 s22, 25
	s_cbranch_scc0 .LBB15_280
; %bb.272:
	s_cmp_gt_i32 s22, 28
	s_cbranch_scc0 .LBB15_282
; %bb.273:
	;; [unrolled: 3-line block ×4, first 2 shown]
	s_mov_b32 s24, 0
	s_mov_b32 s0, -1
	s_cmp_eq_u32 s22, 46
	s_mov_b32 s23, 0
	s_cbranch_scc0 .LBB15_295
; %bb.276:
	v_bfe_u32 v3, v2, 16, 1
	v_cmp_o_f32_e32 vcc_lo, v2, v2
	v_mov_b32_e32 v5, 0x7fc0
	s_mov_b32 s23, -1
	s_mov_b32 s0, 0
	v_add3_u32 v3, v2, v3, 0x7fff
	v_cndmask_b32_sdwa v3, v5, v3, vcc_lo dst_sel:DWORD dst_unused:UNUSED_PAD src0_sel:DWORD src1_sel:WORD_1
	global_store_dword v[0:1], v3, off
	s_branch .LBB15_295
.LBB15_277:
	s_mov_b32 s22, -1
	s_mov_b32 s20, 0
	s_mov_b32 s19, s17
                                        ; implicit-def: $vgpr2
	s_branch .LBB15_432
.LBB15_278:
	s_mov_b32 s22, -1
	s_mov_b32 s23, 0
	s_mov_b32 s0, s7
	s_branch .LBB15_364
.LBB15_279:
	s_mov_b32 s22, -1
	s_mov_b32 s20, 0
	s_mov_b32 s19, s17
                                        ; implicit-def: $vgpr2
	s_branch .LBB15_413
.LBB15_280:
	s_mov_b32 s24, -1
	s_mov_b32 s23, 0
	s_mov_b32 s0, s7
	s_branch .LBB15_322
.LBB15_281:
	s_mov_b32 s22, -1
	s_mov_b32 s20, 0
	s_mov_b32 s19, s17
                                        ; implicit-def: $vgpr2
	s_branch .LBB15_408
.LBB15_282:
	s_mov_b32 s24, -1
	s_mov_b32 s23, 0
	s_mov_b32 s0, s7
	s_branch .LBB15_305
.LBB15_283:
	s_andn2_saveexec_b32 s23, s23
	s_cbranch_execz .LBB15_56
.LBB15_284:
	v_add_f32_e64 v3, 0x46000000, |v2|
	s_andn2_b32 s22, s22, exec_lo
	v_and_b32_e32 v3, 0xff, v3
	v_cmp_ne_u32_e32 vcc_lo, 0, v3
	s_and_b32 s24, vcc_lo, exec_lo
	s_or_b32 s22, s22, s24
	s_or_b32 exec_lo, exec_lo, s23
	v_mov_b32_e32 v5, 0
	s_and_saveexec_b32 s23, s22
	s_cbranch_execnz .LBB15_57
	s_branch .LBB15_58
.LBB15_285:
	s_mov_b32 s22, -1
	s_mov_b32 s20, 0
	s_mov_b32 s19, s17
	s_branch .LBB15_290
.LBB15_286:
	s_mov_b32 s24, -1
	s_mov_b32 s23, 0
	s_mov_b32 s0, s7
	s_branch .LBB15_301
.LBB15_287:
	s_andn2_saveexec_b32 s23, s23
	s_cbranch_execz .LBB15_69
.LBB15_288:
	v_add_f32_e64 v3, 0x42800000, |v2|
	s_andn2_b32 s22, s22, exec_lo
	v_and_b32_e32 v3, 0xff, v3
	v_cmp_ne_u32_e32 vcc_lo, 0, v3
	s_and_b32 s24, vcc_lo, exec_lo
	s_or_b32 s22, s22, s24
	s_or_b32 exec_lo, exec_lo, s23
	v_mov_b32_e32 v5, 0
	s_and_saveexec_b32 s23, s22
	s_cbranch_execnz .LBB15_70
	s_branch .LBB15_71
.LBB15_289:
	s_mov_b32 s19, -1
	s_mov_b32 s20, 0
.LBB15_290:
                                        ; implicit-def: $vgpr2
.LBB15_291:
	s_and_b32 vcc_lo, exec_lo, s22
	s_cbranch_vccz .LBB15_407
; %bb.292:
	s_cmp_eq_u32 s0, 44
	s_cbranch_scc0 .LBB15_406
; %bb.293:
	global_load_ubyte v2, v[0:1], off
	s_mov_b32 s19, 0
	s_mov_b32 s20, -1
	s_waitcnt vmcnt(0)
	v_lshlrev_b32_e32 v3, 23, v2
	v_cmp_ne_u32_e32 vcc_lo, 0xff, v2
	v_cndmask_b32_e32 v3, 0x7f800001, v3, vcc_lo
	v_cmp_ne_u32_e32 vcc_lo, 0, v2
	v_cndmask_b32_e32 v2, 0x400000, v3, vcc_lo
	s_branch .LBB15_407
.LBB15_294:
	s_mov_b32 s24, -1
	s_mov_b32 s23, 0
	s_mov_b32 s0, s7
.LBB15_295:
	s_and_b32 vcc_lo, exec_lo, s24
	s_cbranch_vccz .LBB15_300
; %bb.296:
	s_cmp_eq_u32 s22, 44
	s_mov_b32 s0, -1
	s_cbranch_scc0 .LBB15_300
; %bb.297:
	v_bfe_u32 v5, v2, 23, 8
	v_mov_b32_e32 v3, 0xff
	s_mov_b32 s23, exec_lo
	v_cmpx_ne_u32_e32 0xff, v5
	s_cbranch_execz .LBB15_299
; %bb.298:
	v_and_b32_e32 v3, 0x400000, v2
	v_and_or_b32 v5, 0x3fffff, v2, v5
	v_cmp_ne_u32_e32 vcc_lo, 0, v3
	v_cmp_ne_u32_e64 s0, 0, v5
	v_lshrrev_b32_e32 v3, 23, v2
	s_and_b32 s0, vcc_lo, s0
	v_cndmask_b32_e64 v5, 0, 1, s0
	v_add_nc_u32_e32 v3, v3, v5
.LBB15_299:
	s_or_b32 exec_lo, exec_lo, s23
	s_mov_b32 s23, -1
	s_mov_b32 s0, 0
	global_store_byte v[0:1], v3, off
.LBB15_300:
	s_mov_b32 s24, 0
.LBB15_301:
	s_and_b32 vcc_lo, exec_lo, s24
	s_cbranch_vccz .LBB15_304
; %bb.302:
	s_cmp_eq_u32 s22, 29
	s_mov_b32 s0, -1
	s_cbranch_scc0 .LBB15_304
; %bb.303:
	v_trunc_f32_e32 v3, v2
	s_mov_b32 s23, -1
	s_mov_b32 s0, 0
	s_mov_b32 s24, 0
	v_mul_f32_e32 v5, 0x2f800000, v3
	v_floor_f32_e32 v5, v5
	v_fmamk_f32 v3, v5, 0xcf800000, v3
	v_cvt_u32_f32_e32 v6, v5
	v_cvt_u32_f32_e32 v5, v3
	global_store_dwordx2 v[0:1], v[5:6], off
	s_branch .LBB15_305
.LBB15_304:
	s_mov_b32 s24, 0
.LBB15_305:
	s_and_b32 vcc_lo, exec_lo, s24
	s_cbranch_vccz .LBB15_321
; %bb.306:
	s_cmp_lt_i32 s22, 27
	s_mov_b32 s23, -1
	s_cbranch_scc1 .LBB15_312
; %bb.307:
	v_cvt_u32_f32_e32 v3, v2
	s_cmp_gt_i32 s22, 27
	s_cbranch_scc0 .LBB15_309
; %bb.308:
	s_mov_b32 s23, 0
	global_store_dword v[0:1], v3, off
.LBB15_309:
	s_andn2_b32 vcc_lo, exec_lo, s23
	s_cbranch_vccnz .LBB15_311
; %bb.310:
	global_store_short v[0:1], v3, off
.LBB15_311:
	s_mov_b32 s23, 0
.LBB15_312:
	s_andn2_b32 vcc_lo, exec_lo, s23
	s_cbranch_vccnz .LBB15_320
; %bb.313:
	v_and_b32_e32 v3, 0x7fffffff, v2
	v_mov_b32_e32 v5, 0x80
	s_mov_b32 s23, exec_lo
	v_cmpx_gt_u32_e32 0x43800000, v3
	s_cbranch_execz .LBB15_319
; %bb.314:
	v_cmp_lt_u32_e32 vcc_lo, 0x3bffffff, v3
	s_mov_b32 s24, 0
                                        ; implicit-def: $vgpr3
	s_and_saveexec_b32 s25, vcc_lo
	s_xor_b32 s25, exec_lo, s25
	s_cbranch_execz .LBB15_532
; %bb.315:
	v_bfe_u32 v3, v2, 20, 1
	s_mov_b32 s24, exec_lo
	v_add3_u32 v3, v2, v3, 0x487ffff
	v_lshrrev_b32_e32 v3, 20, v3
	s_andn2_saveexec_b32 s25, s25
	s_cbranch_execnz .LBB15_533
.LBB15_316:
	s_or_b32 exec_lo, exec_lo, s25
	v_mov_b32_e32 v5, 0
	s_and_saveexec_b32 s25, s24
.LBB15_317:
	v_lshrrev_b32_e32 v5, 24, v2
	v_and_or_b32 v5, 0x80, v5, v3
.LBB15_318:
	s_or_b32 exec_lo, exec_lo, s25
.LBB15_319:
	s_or_b32 exec_lo, exec_lo, s23
	global_store_byte v[0:1], v5, off
.LBB15_320:
	s_mov_b32 s23, -1
.LBB15_321:
	s_mov_b32 s24, 0
.LBB15_322:
	s_and_b32 vcc_lo, exec_lo, s24
	s_cbranch_vccz .LBB15_363
; %bb.323:
	s_cmp_gt_i32 s22, 22
	s_mov_b32 s24, -1
	s_cbranch_scc0 .LBB15_355
; %bb.324:
	s_cmp_lt_i32 s22, 24
	s_mov_b32 s23, -1
	s_cbranch_scc1 .LBB15_344
; %bb.325:
	s_cmp_gt_i32 s22, 24
	s_cbranch_scc0 .LBB15_333
; %bb.326:
	v_and_b32_e32 v3, 0x7fffffff, v2
	v_mov_b32_e32 v5, 0x80
	s_mov_b32 s23, exec_lo
	v_cmpx_gt_u32_e32 0x47800000, v3
	s_cbranch_execz .LBB15_332
; %bb.327:
	v_cmp_lt_u32_e32 vcc_lo, 0x37ffffff, v3
	s_mov_b32 s24, 0
                                        ; implicit-def: $vgpr3
	s_and_saveexec_b32 s25, vcc_lo
	s_xor_b32 s25, exec_lo, s25
	s_cbranch_execz .LBB15_535
; %bb.328:
	v_bfe_u32 v3, v2, 21, 1
	s_mov_b32 s24, exec_lo
	v_add3_u32 v3, v2, v3, 0x88fffff
	v_lshrrev_b32_e32 v3, 21, v3
	s_andn2_saveexec_b32 s25, s25
	s_cbranch_execnz .LBB15_536
.LBB15_329:
	s_or_b32 exec_lo, exec_lo, s25
	v_mov_b32_e32 v5, 0
	s_and_saveexec_b32 s25, s24
.LBB15_330:
	v_lshrrev_b32_e32 v5, 24, v2
	v_and_or_b32 v5, 0x80, v5, v3
.LBB15_331:
	s_or_b32 exec_lo, exec_lo, s25
.LBB15_332:
	s_or_b32 exec_lo, exec_lo, s23
	s_mov_b32 s23, 0
	global_store_byte v[0:1], v5, off
.LBB15_333:
	s_and_b32 vcc_lo, exec_lo, s23
	s_cbranch_vccz .LBB15_343
; %bb.334:
	v_and_b32_e32 v5, 0x7fffffff, v2
	s_mov_b32 s23, exec_lo
                                        ; implicit-def: $vgpr3
	v_cmpx_gt_u32_e32 0x43f00000, v5
	s_xor_b32 s23, exec_lo, s23
	s_cbranch_execz .LBB15_340
; %bb.335:
	s_mov_b32 s24, exec_lo
                                        ; implicit-def: $vgpr3
	v_cmpx_lt_u32_e32 0x3c7fffff, v5
	s_xor_b32 s24, exec_lo, s24
; %bb.336:
	v_bfe_u32 v3, v2, 20, 1
	v_add3_u32 v3, v2, v3, 0x407ffff
	v_and_b32_e32 v5, 0xff00000, v3
	v_lshrrev_b32_e32 v3, 20, v3
	v_cmp_ne_u32_e32 vcc_lo, 0x7f00000, v5
	v_cndmask_b32_e32 v3, 0x7e, v3, vcc_lo
; %bb.337:
	s_andn2_saveexec_b32 s24, s24
; %bb.338:
	v_add_f32_e64 v3, 0x46800000, |v2|
; %bb.339:
	s_or_b32 exec_lo, exec_lo, s24
                                        ; implicit-def: $vgpr5
.LBB15_340:
	s_andn2_saveexec_b32 s23, s23
; %bb.341:
	v_mov_b32_e32 v3, 0x7f
	v_cmp_lt_u32_e32 vcc_lo, 0x7f800000, v5
	v_cndmask_b32_e32 v3, 0x7e, v3, vcc_lo
; %bb.342:
	s_or_b32 exec_lo, exec_lo, s23
	v_lshrrev_b32_e32 v5, 24, v2
	v_and_or_b32 v3, 0x80, v5, v3
	global_store_byte v[0:1], v3, off
.LBB15_343:
	s_mov_b32 s23, 0
.LBB15_344:
	s_andn2_b32 vcc_lo, exec_lo, s23
	s_cbranch_vccnz .LBB15_354
; %bb.345:
	v_and_b32_e32 v5, 0x7fffffff, v2
	s_mov_b32 s23, exec_lo
                                        ; implicit-def: $vgpr3
	v_cmpx_gt_u32_e32 0x47800000, v5
	s_xor_b32 s23, exec_lo, s23
	s_cbranch_execz .LBB15_351
; %bb.346:
	s_mov_b32 s24, exec_lo
                                        ; implicit-def: $vgpr3
	v_cmpx_lt_u32_e32 0x387fffff, v5
	s_xor_b32 s24, exec_lo, s24
; %bb.347:
	v_bfe_u32 v3, v2, 21, 1
	v_add3_u32 v3, v2, v3, 0x80fffff
	v_lshrrev_b32_e32 v3, 21, v3
; %bb.348:
	s_andn2_saveexec_b32 s24, s24
; %bb.349:
	v_add_f32_e64 v3, 0x43000000, |v2|
; %bb.350:
	s_or_b32 exec_lo, exec_lo, s24
                                        ; implicit-def: $vgpr5
.LBB15_351:
	s_andn2_saveexec_b32 s23, s23
; %bb.352:
	v_mov_b32_e32 v3, 0x7f
	v_cmp_lt_u32_e32 vcc_lo, 0x7f800000, v5
	v_cndmask_b32_e32 v3, 0x7c, v3, vcc_lo
; %bb.353:
	s_or_b32 exec_lo, exec_lo, s23
	v_lshrrev_b32_e32 v5, 24, v2
	v_and_or_b32 v3, 0x80, v5, v3
	global_store_byte v[0:1], v3, off
.LBB15_354:
	s_mov_b32 s24, 0
	s_mov_b32 s23, -1
.LBB15_355:
	s_andn2_b32 vcc_lo, exec_lo, s24
	s_cbranch_vccnz .LBB15_363
; %bb.356:
	s_cmp_gt_i32 s22, 14
	s_mov_b32 s24, -1
	s_cbranch_scc0 .LBB15_360
; %bb.357:
	s_cmp_eq_u32 s22, 15
	s_mov_b32 s0, -1
	s_cbranch_scc0 .LBB15_359
; %bb.358:
	v_bfe_u32 v3, v2, 16, 1
	v_cmp_o_f32_e32 vcc_lo, v2, v2
	v_mov_b32_e32 v5, 0x7fc0
	s_mov_b32 s23, -1
	s_mov_b32 s0, 0
	v_add3_u32 v3, v2, v3, 0x7fff
	v_cndmask_b32_sdwa v3, v5, v3, vcc_lo dst_sel:DWORD dst_unused:UNUSED_PAD src0_sel:DWORD src1_sel:WORD_1
	global_store_short v[0:1], v3, off
.LBB15_359:
	s_mov_b32 s24, 0
.LBB15_360:
	s_and_b32 vcc_lo, exec_lo, s24
	s_cbranch_vccz .LBB15_363
; %bb.361:
	s_cmp_eq_u32 s22, 11
	s_mov_b32 s0, -1
	s_cbranch_scc0 .LBB15_363
; %bb.362:
	v_cmp_neq_f32_e32 vcc_lo, 0, v2
	s_mov_b32 s0, 0
	s_mov_b32 s23, -1
	v_cndmask_b32_e64 v3, 0, 1, vcc_lo
	global_store_byte v[0:1], v3, off
.LBB15_363:
	s_mov_b32 s22, 0
.LBB15_364:
	s_and_b32 vcc_lo, exec_lo, s22
	s_cbranch_vccz .LBB15_403
; %bb.365:
	s_and_b32 s20, 0xffff, s20
	s_mov_b32 s22, -1
	s_cmp_lt_i32 s20, 5
	s_cbranch_scc1 .LBB15_386
; %bb.366:
	s_cmp_lt_i32 s20, 8
	s_cbranch_scc1 .LBB15_376
; %bb.367:
	s_cmp_lt_i32 s20, 9
	s_cbranch_scc1 .LBB15_373
; %bb.368:
	s_cmp_gt_i32 s20, 9
	s_cbranch_scc0 .LBB15_370
; %bb.369:
	v_cvt_f64_f32_e32 v[5:6], v2
	v_mov_b32_e32 v7, 0
	s_mov_b32 s22, 0
	v_mov_b32_e32 v8, v7
	global_store_dwordx4 v[0:1], v[5:8], off
.LBB15_370:
	s_andn2_b32 vcc_lo, exec_lo, s22
	s_cbranch_vccnz .LBB15_372
; %bb.371:
	v_mov_b32_e32 v3, 0
	global_store_dwordx2 v[0:1], v[2:3], off
.LBB15_372:
	s_mov_b32 s22, 0
.LBB15_373:
	s_andn2_b32 vcc_lo, exec_lo, s22
	s_cbranch_vccnz .LBB15_375
; %bb.374:
	v_cvt_f16_f32_e32 v3, v2
	v_and_b32_e32 v3, 0xffff, v3
	global_store_dword v[0:1], v3, off
.LBB15_375:
	s_mov_b32 s22, 0
.LBB15_376:
	s_andn2_b32 vcc_lo, exec_lo, s22
	s_cbranch_vccnz .LBB15_385
; %bb.377:
	s_cmp_lt_i32 s20, 6
	s_mov_b32 s22, -1
	s_cbranch_scc1 .LBB15_383
; %bb.378:
	s_cmp_gt_i32 s20, 6
	s_cbranch_scc0 .LBB15_380
; %bb.379:
	v_cvt_f64_f32_e32 v[5:6], v2
	s_mov_b32 s22, 0
	global_store_dwordx2 v[0:1], v[5:6], off
.LBB15_380:
	s_andn2_b32 vcc_lo, exec_lo, s22
	s_cbranch_vccnz .LBB15_382
; %bb.381:
	global_store_dword v[0:1], v2, off
.LBB15_382:
	s_mov_b32 s22, 0
.LBB15_383:
	s_andn2_b32 vcc_lo, exec_lo, s22
	s_cbranch_vccnz .LBB15_385
; %bb.384:
	v_cvt_f16_f32_e32 v3, v2
	global_store_short v[0:1], v3, off
.LBB15_385:
	s_mov_b32 s22, 0
.LBB15_386:
	s_andn2_b32 vcc_lo, exec_lo, s22
	s_cbranch_vccnz .LBB15_402
; %bb.387:
	s_cmp_lt_i32 s20, 2
	s_mov_b32 s22, -1
	s_cbranch_scc1 .LBB15_397
; %bb.388:
	s_cmp_lt_i32 s20, 3
	s_cbranch_scc1 .LBB15_394
; %bb.389:
	s_cmp_gt_i32 s20, 3
	s_cbranch_scc0 .LBB15_391
; %bb.390:
	v_trunc_f32_e32 v3, v2
	s_mov_b32 s22, 0
	v_mul_f32_e64 v5, 0x2f800000, |v3|
	v_floor_f32_e32 v5, v5
	v_fma_f32 v6, 0xcf800000, v5, |v3|
	v_ashrrev_i32_e32 v3, 31, v3
	v_cvt_u32_f32_e32 v5, v5
	v_cvt_u32_f32_e32 v6, v6
	v_xor_b32_e32 v7, v5, v3
	v_xor_b32_e32 v6, v6, v3
	v_sub_co_u32 v5, vcc_lo, v6, v3
	v_sub_co_ci_u32_e64 v6, null, v7, v3, vcc_lo
	global_store_dwordx2 v[0:1], v[5:6], off
.LBB15_391:
	s_andn2_b32 vcc_lo, exec_lo, s22
	s_cbranch_vccnz .LBB15_393
; %bb.392:
	v_cvt_i32_f32_e32 v3, v2
	global_store_dword v[0:1], v3, off
.LBB15_393:
	s_mov_b32 s22, 0
.LBB15_394:
	s_andn2_b32 vcc_lo, exec_lo, s22
	s_cbranch_vccnz .LBB15_396
; %bb.395:
	v_cvt_i32_f32_e32 v3, v2
	global_store_short v[0:1], v3, off
.LBB15_396:
	s_mov_b32 s22, 0
.LBB15_397:
	s_andn2_b32 vcc_lo, exec_lo, s22
	s_cbranch_vccnz .LBB15_402
; %bb.398:
	s_cmp_gt_i32 s20, 0
	s_mov_b32 s20, -1
	s_cbranch_scc0 .LBB15_400
; %bb.399:
	v_cvt_i32_f32_e32 v3, v2
	s_mov_b32 s20, 0
	global_store_byte v[0:1], v3, off
.LBB15_400:
	s_andn2_b32 vcc_lo, exec_lo, s20
	s_cbranch_vccnz .LBB15_402
; %bb.401:
	v_trunc_f32_e32 v2, v2
	v_mul_f32_e64 v3, 0x2f800000, |v2|
	v_floor_f32_e32 v3, v3
	v_fma_f32 v3, 0xcf800000, v3, |v2|
	v_ashrrev_i32_e32 v2, 31, v2
	v_cvt_u32_f32_e32 v3, v3
	v_xor_b32_e32 v3, v3, v2
	v_sub_nc_u32_e32 v2, v3, v2
	global_store_byte v[0:1], v2, off
.LBB15_402:
	s_mov_b32 s23, -1
.LBB15_403:
	s_andn2_b32 vcc_lo, exec_lo, s23
	s_cbranch_vccnz .LBB15_405
; %bb.404:
	v_add_nc_u32_e32 v4, 0x80, v4
	s_mov_b32 s22, -1
	s_branch .LBB15_518
.LBB15_405:
	s_mov_b32 s22, 0
	s_branch .LBB15_517
.LBB15_406:
	s_mov_b32 s19, -1
                                        ; implicit-def: $vgpr2
.LBB15_407:
	s_mov_b32 s22, 0
.LBB15_408:
	s_and_b32 vcc_lo, exec_lo, s22
	s_cbranch_vccz .LBB15_412
; %bb.409:
	s_cmp_eq_u32 s0, 29
	s_cbranch_scc0 .LBB15_411
; %bb.410:
	global_load_dwordx2 v[2:3], v[0:1], off
	s_mov_b32 s20, -1
	s_mov_b32 s19, 0
	s_mov_b32 s22, 0
	s_waitcnt vmcnt(0)
	v_ffbh_u32_e32 v5, v3
	v_min_u32_e32 v5, 32, v5
	v_lshlrev_b64 v[2:3], v5, v[2:3]
	v_min_u32_e32 v2, 1, v2
	v_or_b32_e32 v2, v3, v2
	v_sub_nc_u32_e32 v3, 32, v5
	v_cvt_f32_u32_e32 v2, v2
	v_ldexp_f32 v2, v2, v3
	s_branch .LBB15_413
.LBB15_411:
	s_mov_b32 s19, -1
                                        ; implicit-def: $vgpr2
.LBB15_412:
	s_mov_b32 s22, 0
.LBB15_413:
	s_and_b32 vcc_lo, exec_lo, s22
	s_cbranch_vccz .LBB15_431
; %bb.414:
	s_cmp_lt_i32 s0, 27
	s_cbranch_scc1 .LBB15_417
; %bb.415:
	s_cmp_gt_i32 s0, 27
	s_cbranch_scc0 .LBB15_418
; %bb.416:
	global_load_dword v2, v[0:1], off
	s_mov_b32 s20, 0
	s_waitcnt vmcnt(0)
	v_cvt_f32_u32_e32 v2, v2
	s_branch .LBB15_419
.LBB15_417:
	s_mov_b32 s20, -1
                                        ; implicit-def: $vgpr2
	s_branch .LBB15_422
.LBB15_418:
	s_mov_b32 s20, -1
                                        ; implicit-def: $vgpr2
.LBB15_419:
	s_andn2_b32 vcc_lo, exec_lo, s20
	s_cbranch_vccnz .LBB15_421
; %bb.420:
	global_load_ushort v2, v[0:1], off
	s_waitcnt vmcnt(0)
	v_cvt_f32_u32_e32 v2, v2
.LBB15_421:
	s_mov_b32 s20, 0
.LBB15_422:
	s_andn2_b32 vcc_lo, exec_lo, s20
	s_cbranch_vccnz .LBB15_430
; %bb.423:
	global_load_ubyte v3, v[0:1], off
	s_mov_b32 s20, 0
	s_mov_b32 s22, exec_lo
	s_waitcnt vmcnt(0)
	v_cmpx_lt_i16_e32 0x7f, v3
	s_xor_b32 s22, exec_lo, s22
	s_cbranch_execz .LBB15_444
; %bb.424:
	s_mov_b32 s20, -1
	s_mov_b32 s23, exec_lo
	v_cmpx_eq_u16_e32 0x80, v3
; %bb.425:
	s_xor_b32 s20, exec_lo, -1
; %bb.426:
	s_or_b32 exec_lo, exec_lo, s23
	s_and_b32 s20, s20, exec_lo
	s_or_saveexec_b32 s22, s22
	v_mov_b32_e32 v2, 0x7f800001
	s_xor_b32 exec_lo, exec_lo, s22
	s_cbranch_execnz .LBB15_445
.LBB15_427:
	s_or_b32 exec_lo, exec_lo, s22
	s_and_saveexec_b32 s22, s20
	s_cbranch_execz .LBB15_429
.LBB15_428:
	v_and_b32_e32 v2, 0xffff, v3
	v_lshlrev_b32_e32 v3, 24, v3
	v_and_b32_e32 v5, 7, v2
	v_bfe_u32 v8, v2, 3, 4
	v_and_b32_e32 v3, 0x80000000, v3
	v_ffbh_u32_e32 v6, v5
	v_cmp_eq_u32_e32 vcc_lo, 0, v8
	v_min_u32_e32 v6, 32, v6
	v_subrev_nc_u32_e32 v7, 28, v6
	v_sub_nc_u32_e32 v6, 29, v6
	v_lshlrev_b32_e32 v2, v7, v2
	v_cndmask_b32_e32 v6, v8, v6, vcc_lo
	v_and_b32_e32 v2, 7, v2
	v_cndmask_b32_e32 v2, v5, v2, vcc_lo
	v_lshl_add_u32 v5, v6, 23, 0x3b800000
	v_lshlrev_b32_e32 v2, 20, v2
	v_or3_b32 v2, v3, v5, v2
.LBB15_429:
	s_or_b32 exec_lo, exec_lo, s22
.LBB15_430:
	s_mov_b32 s20, -1
.LBB15_431:
	s_mov_b32 s22, 0
.LBB15_432:
	s_and_b32 vcc_lo, exec_lo, s22
	s_cbranch_vccz .LBB15_467
; %bb.433:
	s_cmp_gt_i32 s0, 22
	s_cbranch_scc0 .LBB15_443
; %bb.434:
	s_cmp_lt_i32 s0, 24
	s_cbranch_scc1 .LBB15_446
; %bb.435:
	s_cmp_gt_i32 s0, 24
	s_cbranch_scc0 .LBB15_447
; %bb.436:
	global_load_ubyte v3, v[0:1], off
	s_mov_b32 s20, 0
	s_mov_b32 s22, exec_lo
	s_waitcnt vmcnt(0)
	v_cmpx_lt_i16_e32 0x7f, v3
	s_xor_b32 s22, exec_lo, s22
	s_cbranch_execz .LBB15_459
; %bb.437:
	s_mov_b32 s20, -1
	s_mov_b32 s23, exec_lo
	v_cmpx_eq_u16_e32 0x80, v3
; %bb.438:
	s_xor_b32 s20, exec_lo, -1
; %bb.439:
	s_or_b32 exec_lo, exec_lo, s23
	s_and_b32 s20, s20, exec_lo
	s_or_saveexec_b32 s22, s22
	v_mov_b32_e32 v2, 0x7f800001
	s_xor_b32 exec_lo, exec_lo, s22
	s_cbranch_execnz .LBB15_460
.LBB15_440:
	s_or_b32 exec_lo, exec_lo, s22
	s_and_saveexec_b32 s22, s20
	s_cbranch_execz .LBB15_442
.LBB15_441:
	v_and_b32_e32 v2, 0xffff, v3
	v_lshlrev_b32_e32 v3, 24, v3
	v_and_b32_e32 v5, 3, v2
	v_bfe_u32 v8, v2, 2, 5
	v_and_b32_e32 v3, 0x80000000, v3
	v_ffbh_u32_e32 v6, v5
	v_cmp_eq_u32_e32 vcc_lo, 0, v8
	v_min_u32_e32 v6, 32, v6
	v_subrev_nc_u32_e32 v7, 29, v6
	v_sub_nc_u32_e32 v6, 30, v6
	v_lshlrev_b32_e32 v2, v7, v2
	v_cndmask_b32_e32 v6, v8, v6, vcc_lo
	v_and_b32_e32 v2, 3, v2
	v_cndmask_b32_e32 v2, v5, v2, vcc_lo
	v_lshl_add_u32 v5, v6, 23, 0x37800000
	v_lshlrev_b32_e32 v2, 21, v2
	v_or3_b32 v2, v3, v5, v2
.LBB15_442:
	s_or_b32 exec_lo, exec_lo, s22
	s_mov_b32 s20, 0
	s_branch .LBB15_448
.LBB15_443:
	s_mov_b32 s22, -1
                                        ; implicit-def: $vgpr2
	s_branch .LBB15_454
.LBB15_444:
	s_or_saveexec_b32 s22, s22
	v_mov_b32_e32 v2, 0x7f800001
	s_xor_b32 exec_lo, exec_lo, s22
	s_cbranch_execz .LBB15_427
.LBB15_445:
	v_cmp_ne_u16_e32 vcc_lo, 0, v3
	v_mov_b32_e32 v2, 0
	s_andn2_b32 s20, s20, exec_lo
	s_and_b32 s23, vcc_lo, exec_lo
	s_or_b32 s20, s20, s23
	s_or_b32 exec_lo, exec_lo, s22
	s_and_saveexec_b32 s22, s20
	s_cbranch_execnz .LBB15_428
	s_branch .LBB15_429
.LBB15_446:
	s_mov_b32 s20, -1
                                        ; implicit-def: $vgpr2
	s_branch .LBB15_451
.LBB15_447:
	s_mov_b32 s20, -1
                                        ; implicit-def: $vgpr2
.LBB15_448:
	s_and_b32 vcc_lo, exec_lo, s20
	s_cbranch_vccz .LBB15_450
; %bb.449:
	global_load_ubyte v2, v[0:1], off
	s_waitcnt vmcnt(0)
	v_lshlrev_b32_e32 v2, 24, v2
	v_and_b32_e32 v3, 0x7f000000, v2
	v_ffbh_u32_e32 v5, v3
	v_add_nc_u32_e32 v7, 0x1000000, v3
	v_cmp_ne_u32_e32 vcc_lo, 0, v3
	v_min_u32_e32 v5, 32, v5
	v_sub_nc_u32_e64 v5, v5, 4 clamp
	v_lshlrev_b32_e32 v6, v5, v3
	v_lshlrev_b32_e32 v5, 23, v5
	v_lshrrev_b32_e32 v6, 4, v6
	v_sub_nc_u32_e32 v5, v6, v5
	v_ashrrev_i32_e32 v6, 8, v7
	v_add_nc_u32_e32 v5, 0x3c000000, v5
	v_and_or_b32 v5, 0x7f800000, v6, v5
	v_cndmask_b32_e32 v3, 0, v5, vcc_lo
	v_and_or_b32 v2, 0x80000000, v2, v3
.LBB15_450:
	s_mov_b32 s20, 0
.LBB15_451:
	s_andn2_b32 vcc_lo, exec_lo, s20
	s_cbranch_vccnz .LBB15_453
; %bb.452:
	global_load_ubyte v2, v[0:1], off
	s_waitcnt vmcnt(0)
	v_lshlrev_b32_e32 v3, 25, v2
	v_lshlrev_b16 v2, 8, v2
	v_lshrrev_b32_e32 v5, 4, v3
	v_and_or_b32 v6, 0x7f00, v2, 0.5
	v_cmp_gt_u32_e32 vcc_lo, 0x8000000, v3
	v_bfe_i32 v2, v2, 0, 16
	v_or_b32_e32 v5, 0x70000000, v5
	v_add_f32_e32 v6, -0.5, v6
	v_mul_f32_e32 v5, 0x7800000, v5
	v_cndmask_b32_e32 v3, v5, v6, vcc_lo
	v_and_or_b32 v2, 0x80000000, v2, v3
.LBB15_453:
	s_mov_b32 s22, 0
	s_mov_b32 s20, -1
.LBB15_454:
	s_andn2_b32 vcc_lo, exec_lo, s22
	s_cbranch_vccnz .LBB15_467
; %bb.455:
	s_cmp_gt_i32 s0, 14
	s_cbranch_scc0 .LBB15_458
; %bb.456:
	s_cmp_eq_u32 s0, 15
	s_cbranch_scc0 .LBB15_461
; %bb.457:
	global_load_ushort v2, v[0:1], off
	s_mov_b32 s20, -1
	s_mov_b32 s19, 0
	s_waitcnt vmcnt(0)
	v_lshlrev_b32_e32 v2, 16, v2
	s_branch .LBB15_462
.LBB15_458:
	s_mov_b32 s22, -1
                                        ; implicit-def: $vgpr2
	s_branch .LBB15_463
.LBB15_459:
	s_or_saveexec_b32 s22, s22
	v_mov_b32_e32 v2, 0x7f800001
	s_xor_b32 exec_lo, exec_lo, s22
	s_cbranch_execz .LBB15_440
.LBB15_460:
	v_cmp_ne_u16_e32 vcc_lo, 0, v3
	v_mov_b32_e32 v2, 0
	s_andn2_b32 s20, s20, exec_lo
	s_and_b32 s23, vcc_lo, exec_lo
	s_or_b32 s20, s20, s23
	s_or_b32 exec_lo, exec_lo, s22
	s_and_saveexec_b32 s22, s20
	s_cbranch_execnz .LBB15_441
	s_branch .LBB15_442
.LBB15_461:
	s_mov_b32 s19, -1
                                        ; implicit-def: $vgpr2
.LBB15_462:
	s_mov_b32 s22, 0
.LBB15_463:
	s_and_b32 vcc_lo, exec_lo, s22
	s_cbranch_vccz .LBB15_467
; %bb.464:
	s_cmp_eq_u32 s0, 11
	s_cbranch_scc0 .LBB15_466
; %bb.465:
	global_load_ubyte v2, v[0:1], off
	s_mov_b32 s19, 0
	s_mov_b32 s20, -1
	s_waitcnt vmcnt(0)
	v_cmp_ne_u16_e32 vcc_lo, 0, v2
	v_cndmask_b32_e64 v2, 0, 1.0, vcc_lo
	s_branch .LBB15_467
.LBB15_466:
	s_mov_b32 s19, -1
                                        ; implicit-def: $vgpr2
.LBB15_467:
	s_branch .LBB15_267
.LBB15_468:
	s_cmp_lt_i32 s0, 5
	s_cbranch_scc1 .LBB15_473
; %bb.469:
	s_cmp_lt_i32 s0, 8
	s_cbranch_scc1 .LBB15_474
; %bb.470:
	;; [unrolled: 3-line block ×3, first 2 shown]
	s_cmp_gt_i32 s0, 9
	s_cbranch_scc0 .LBB15_476
; %bb.472:
	global_load_dwordx2 v[2:3], v[0:1], off
	s_mov_b32 s20, 0
	s_waitcnt vmcnt(0)
	v_cvt_f32_f64_e32 v2, v[2:3]
	s_branch .LBB15_477
.LBB15_473:
	s_mov_b32 s20, -1
                                        ; implicit-def: $vgpr2
	s_branch .LBB15_495
.LBB15_474:
	s_mov_b32 s20, -1
                                        ; implicit-def: $vgpr2
	s_branch .LBB15_483
.LBB15_475:
	s_mov_b32 s20, -1
                                        ; implicit-def: $vgpr2
	s_branch .LBB15_480
.LBB15_476:
	s_mov_b32 s20, -1
                                        ; implicit-def: $vgpr2
.LBB15_477:
	s_andn2_b32 vcc_lo, exec_lo, s20
	s_cbranch_vccnz .LBB15_479
; %bb.478:
	global_load_dword v2, v[0:1], off
.LBB15_479:
	s_mov_b32 s20, 0
.LBB15_480:
	s_andn2_b32 vcc_lo, exec_lo, s20
	s_cbranch_vccnz .LBB15_482
; %bb.481:
	global_load_dword v2, v[0:1], off
	s_waitcnt vmcnt(0)
	v_cvt_f32_f16_e32 v2, v2
.LBB15_482:
	s_mov_b32 s20, 0
.LBB15_483:
	s_andn2_b32 vcc_lo, exec_lo, s20
	s_cbranch_vccnz .LBB15_494
; %bb.484:
	s_cmp_lt_i32 s0, 6
	s_cbranch_scc1 .LBB15_487
; %bb.485:
	s_cmp_gt_i32 s0, 6
	s_cbranch_scc0 .LBB15_488
; %bb.486:
	global_load_dwordx2 v[2:3], v[0:1], off
	s_mov_b32 s20, 0
	s_waitcnt vmcnt(0)
	v_cvt_f32_f64_e32 v2, v[2:3]
	s_branch .LBB15_489
.LBB15_487:
	s_mov_b32 s20, -1
                                        ; implicit-def: $vgpr2
	s_branch .LBB15_492
.LBB15_488:
	s_mov_b32 s20, -1
                                        ; implicit-def: $vgpr2
.LBB15_489:
	s_andn2_b32 vcc_lo, exec_lo, s20
	s_cbranch_vccnz .LBB15_491
; %bb.490:
	global_load_dword v2, v[0:1], off
.LBB15_491:
	s_mov_b32 s20, 0
.LBB15_492:
	s_andn2_b32 vcc_lo, exec_lo, s20
	s_cbranch_vccnz .LBB15_494
; %bb.493:
	global_load_ushort v2, v[0:1], off
	s_waitcnt vmcnt(0)
	v_cvt_f32_f16_e32 v2, v2
.LBB15_494:
	s_mov_b32 s20, 0
.LBB15_495:
	s_andn2_b32 vcc_lo, exec_lo, s20
	s_cbranch_vccnz .LBB15_515
; %bb.496:
	s_cmp_lt_i32 s0, 2
	s_cbranch_scc1 .LBB15_500
; %bb.497:
	s_cmp_lt_i32 s0, 3
	s_cbranch_scc1 .LBB15_501
; %bb.498:
	s_cmp_gt_i32 s0, 3
	s_cbranch_scc0 .LBB15_502
; %bb.499:
	global_load_dwordx2 v[2:3], v[0:1], off
	s_mov_b32 s20, 0
	s_waitcnt vmcnt(0)
	v_xor_b32_e32 v5, v2, v3
	v_ffbh_i32_e32 v6, v3
	v_ashrrev_i32_e32 v5, 31, v5
	v_add_nc_u32_e32 v6, -1, v6
	v_add_nc_u32_e32 v5, 32, v5
	v_min_u32_e32 v5, v6, v5
	v_lshlrev_b64 v[2:3], v5, v[2:3]
	v_min_u32_e32 v2, 1, v2
	v_or_b32_e32 v2, v3, v2
	v_sub_nc_u32_e32 v3, 32, v5
	v_cvt_f32_i32_e32 v2, v2
	v_ldexp_f32 v2, v2, v3
	s_branch .LBB15_503
.LBB15_500:
	s_mov_b32 s20, -1
                                        ; implicit-def: $vgpr2
	s_branch .LBB15_509
.LBB15_501:
	s_mov_b32 s20, -1
                                        ; implicit-def: $vgpr2
	s_branch .LBB15_506
.LBB15_502:
	s_mov_b32 s20, -1
                                        ; implicit-def: $vgpr2
.LBB15_503:
	s_andn2_b32 vcc_lo, exec_lo, s20
	s_cbranch_vccnz .LBB15_505
; %bb.504:
	global_load_dword v2, v[0:1], off
	s_waitcnt vmcnt(0)
	v_cvt_f32_i32_e32 v2, v2
.LBB15_505:
	s_mov_b32 s20, 0
.LBB15_506:
	s_andn2_b32 vcc_lo, exec_lo, s20
	s_cbranch_vccnz .LBB15_508
; %bb.507:
	global_load_sshort v2, v[0:1], off
	s_waitcnt vmcnt(0)
	v_cvt_f32_i32_e32 v2, v2
.LBB15_508:
	s_mov_b32 s20, 0
.LBB15_509:
	s_andn2_b32 vcc_lo, exec_lo, s20
	s_cbranch_vccnz .LBB15_515
; %bb.510:
	s_cmp_gt_i32 s0, 0
	s_mov_b32 s0, 0
	s_cbranch_scc0 .LBB15_512
; %bb.511:
	global_load_sbyte v2, v[0:1], off
	s_waitcnt vmcnt(0)
	v_cvt_f32_i32_e32 v2, v2
	s_branch .LBB15_513
.LBB15_512:
	s_mov_b32 s0, -1
                                        ; implicit-def: $vgpr2
.LBB15_513:
	s_andn2_b32 vcc_lo, exec_lo, s0
	s_cbranch_vccnz .LBB15_515
; %bb.514:
	global_load_ubyte v0, v[0:1], off
	s_waitcnt vmcnt(0)
	v_cvt_f32_ubyte0_e32 v2, v0
.LBB15_515:
	s_branch .LBB15_268
.LBB15_516:
	s_mov_b32 s22, 0
	s_mov_b32 s0, s7
.LBB15_517:
                                        ; implicit-def: $vgpr4
.LBB15_518:
	s_andn2_b32 s20, s7, exec_lo
	s_and_b32 s0, s0, exec_lo
	s_andn2_b32 s23, s17, exec_lo
	s_and_b32 s19, s19, exec_lo
	s_or_b32 s20, s20, s0
	s_or_b32 s19, s23, s19
	s_orn2_b32 s0, s22, exec_lo
.LBB15_519:
	s_or_b32 exec_lo, exec_lo, s21
	s_mov_b32 s22, 0
	s_mov_b32 s23, 0
	;; [unrolled: 1-line block ×3, first 2 shown]
                                        ; implicit-def: $vgpr0_vgpr1
                                        ; implicit-def: $vgpr3
	s_and_saveexec_b32 s21, s0
	s_cbranch_execz .LBB15_868
; %bb.520:
	s_mov_b32 s24, -1
	s_mov_b32 s0, s19
	s_mov_b32 s23, s20
	s_mov_b32 s22, exec_lo
	v_cmpx_gt_i32_e64 s16, v4
	s_cbranch_execz .LBB15_782
; %bb.521:
	v_mul_lo_u32 v0, v4, s3
	s_and_b32 s0, 0xffff, s5
	s_cmp_lt_i32 s0, 11
	v_ashrrev_i32_e32 v1, 31, v0
	v_add_co_u32 v0, vcc_lo, s10, v0
	v_add_co_ci_u32_e64 v1, null, s11, v1, vcc_lo
	s_cbranch_scc1 .LBB15_528
; %bb.522:
	s_cmp_gt_i32 s0, 25
	s_cbranch_scc0 .LBB15_529
; %bb.523:
	s_cmp_gt_i32 s0, 28
	s_cbranch_scc0 .LBB15_530
	;; [unrolled: 3-line block ×4, first 2 shown]
; %bb.526:
	s_cmp_eq_u32 s0, 46
	s_mov_b32 s25, 0
	s_cbranch_scc0 .LBB15_537
; %bb.527:
	global_load_dword v2, v[0:1], off
	s_mov_b32 s23, 0
	s_waitcnt vmcnt(0)
	v_lshlrev_b32_e32 v2, 16, v2
	s_branch .LBB15_539
.LBB15_528:
	s_mov_b32 s25, -1
	s_mov_b32 s24, 0
	s_mov_b32 s23, s19
                                        ; implicit-def: $vgpr2
	s_branch .LBB15_604
.LBB15_529:
	s_mov_b32 s25, -1
	s_mov_b32 s24, 0
	s_mov_b32 s23, s19
                                        ; implicit-def: $vgpr2
	s_branch .LBB15_568
.LBB15_530:
	s_mov_b32 s25, -1
	s_mov_b32 s24, 0
	s_mov_b32 s23, s19
                                        ; implicit-def: $vgpr2
	s_branch .LBB15_549
.LBB15_531:
	s_mov_b32 s25, -1
	s_mov_b32 s24, 0
	s_mov_b32 s23, s19
                                        ; implicit-def: $vgpr2
	s_branch .LBB15_544
.LBB15_532:
	s_andn2_saveexec_b32 s25, s25
	s_cbranch_execz .LBB15_316
.LBB15_533:
	v_add_f32_e64 v3, 0x46000000, |v2|
	s_andn2_b32 s24, s24, exec_lo
	v_and_b32_e32 v3, 0xff, v3
	v_cmp_ne_u32_e32 vcc_lo, 0, v3
	s_and_b32 s26, vcc_lo, exec_lo
	s_or_b32 s24, s24, s26
	s_or_b32 exec_lo, exec_lo, s25
	v_mov_b32_e32 v5, 0
	s_and_saveexec_b32 s25, s24
	s_cbranch_execnz .LBB15_317
	s_branch .LBB15_318
.LBB15_534:
	s_mov_b32 s25, -1
	s_mov_b32 s24, 0
	s_mov_b32 s23, s19
	s_branch .LBB15_538
.LBB15_535:
	s_andn2_saveexec_b32 s25, s25
	s_cbranch_execz .LBB15_329
.LBB15_536:
	v_add_f32_e64 v3, 0x42800000, |v2|
	s_andn2_b32 s24, s24, exec_lo
	v_and_b32_e32 v3, 0xff, v3
	v_cmp_ne_u32_e32 vcc_lo, 0, v3
	s_and_b32 s26, vcc_lo, exec_lo
	s_or_b32 s24, s24, s26
	s_or_b32 exec_lo, exec_lo, s25
	v_mov_b32_e32 v5, 0
	s_and_saveexec_b32 s25, s24
	s_cbranch_execnz .LBB15_330
	s_branch .LBB15_331
.LBB15_537:
	s_mov_b32 s23, -1
	s_mov_b32 s24, 0
.LBB15_538:
                                        ; implicit-def: $vgpr2
.LBB15_539:
	s_and_b32 vcc_lo, exec_lo, s25
	s_cbranch_vccz .LBB15_543
; %bb.540:
	s_cmp_eq_u32 s0, 44
	s_cbranch_scc0 .LBB15_542
; %bb.541:
	global_load_ubyte v2, v[0:1], off
	s_mov_b32 s23, 0
	s_mov_b32 s24, -1
	s_waitcnt vmcnt(0)
	v_lshlrev_b32_e32 v3, 23, v2
	v_cmp_ne_u32_e32 vcc_lo, 0xff, v2
	v_cndmask_b32_e32 v3, 0x7f800001, v3, vcc_lo
	v_cmp_ne_u32_e32 vcc_lo, 0, v2
	v_cndmask_b32_e32 v2, 0x400000, v3, vcc_lo
	s_branch .LBB15_543
.LBB15_542:
	s_mov_b32 s23, -1
                                        ; implicit-def: $vgpr2
.LBB15_543:
	s_mov_b32 s25, 0
.LBB15_544:
	s_and_b32 vcc_lo, exec_lo, s25
	s_cbranch_vccz .LBB15_548
; %bb.545:
	s_cmp_eq_u32 s0, 29
	s_cbranch_scc0 .LBB15_547
; %bb.546:
	global_load_dwordx2 v[2:3], v[0:1], off
	s_mov_b32 s24, -1
	s_mov_b32 s23, 0
	s_mov_b32 s25, 0
	s_waitcnt vmcnt(0)
	v_ffbh_u32_e32 v5, v3
	v_min_u32_e32 v5, 32, v5
	v_lshlrev_b64 v[2:3], v5, v[2:3]
	v_min_u32_e32 v2, 1, v2
	v_or_b32_e32 v2, v3, v2
	v_sub_nc_u32_e32 v3, 32, v5
	v_cvt_f32_u32_e32 v2, v2
	v_ldexp_f32 v2, v2, v3
	s_branch .LBB15_549
.LBB15_547:
	s_mov_b32 s23, -1
                                        ; implicit-def: $vgpr2
.LBB15_548:
	s_mov_b32 s25, 0
.LBB15_549:
	s_and_b32 vcc_lo, exec_lo, s25
	s_cbranch_vccz .LBB15_567
; %bb.550:
	s_cmp_lt_i32 s0, 27
	s_cbranch_scc1 .LBB15_553
; %bb.551:
	s_cmp_gt_i32 s0, 27
	s_cbranch_scc0 .LBB15_554
; %bb.552:
	global_load_dword v2, v[0:1], off
	s_mov_b32 s24, 0
	s_waitcnt vmcnt(0)
	v_cvt_f32_u32_e32 v2, v2
	s_branch .LBB15_555
.LBB15_553:
	s_mov_b32 s24, -1
                                        ; implicit-def: $vgpr2
	s_branch .LBB15_558
.LBB15_554:
	s_mov_b32 s24, -1
                                        ; implicit-def: $vgpr2
.LBB15_555:
	s_andn2_b32 vcc_lo, exec_lo, s24
	s_cbranch_vccnz .LBB15_557
; %bb.556:
	global_load_ushort v2, v[0:1], off
	s_waitcnt vmcnt(0)
	v_cvt_f32_u32_e32 v2, v2
.LBB15_557:
	s_mov_b32 s24, 0
.LBB15_558:
	s_andn2_b32 vcc_lo, exec_lo, s24
	s_cbranch_vccnz .LBB15_566
; %bb.559:
	global_load_ubyte v3, v[0:1], off
	s_mov_b32 s24, 0
	s_mov_b32 s25, exec_lo
	s_waitcnt vmcnt(0)
	v_cmpx_lt_i16_e32 0x7f, v3
	s_xor_b32 s25, exec_lo, s25
	s_cbranch_execz .LBB15_580
; %bb.560:
	s_mov_b32 s24, -1
	s_mov_b32 s26, exec_lo
	v_cmpx_eq_u16_e32 0x80, v3
; %bb.561:
	s_xor_b32 s24, exec_lo, -1
; %bb.562:
	s_or_b32 exec_lo, exec_lo, s26
	s_and_b32 s24, s24, exec_lo
	s_or_saveexec_b32 s25, s25
	v_mov_b32_e32 v2, 0x7f800001
	s_xor_b32 exec_lo, exec_lo, s25
	s_cbranch_execnz .LBB15_581
.LBB15_563:
	s_or_b32 exec_lo, exec_lo, s25
	s_and_saveexec_b32 s25, s24
	s_cbranch_execz .LBB15_565
.LBB15_564:
	v_and_b32_e32 v2, 0xffff, v3
	v_lshlrev_b32_e32 v3, 24, v3
	v_and_b32_e32 v5, 7, v2
	v_bfe_u32 v8, v2, 3, 4
	v_and_b32_e32 v3, 0x80000000, v3
	v_ffbh_u32_e32 v6, v5
	v_cmp_eq_u32_e32 vcc_lo, 0, v8
	v_min_u32_e32 v6, 32, v6
	v_subrev_nc_u32_e32 v7, 28, v6
	v_sub_nc_u32_e32 v6, 29, v6
	v_lshlrev_b32_e32 v2, v7, v2
	v_cndmask_b32_e32 v6, v8, v6, vcc_lo
	v_and_b32_e32 v2, 7, v2
	v_cndmask_b32_e32 v2, v5, v2, vcc_lo
	v_lshl_add_u32 v5, v6, 23, 0x3b800000
	v_lshlrev_b32_e32 v2, 20, v2
	v_or3_b32 v2, v3, v5, v2
.LBB15_565:
	s_or_b32 exec_lo, exec_lo, s25
.LBB15_566:
	s_mov_b32 s24, -1
.LBB15_567:
	s_mov_b32 s25, 0
.LBB15_568:
	s_and_b32 vcc_lo, exec_lo, s25
	s_cbranch_vccz .LBB15_603
; %bb.569:
	s_cmp_gt_i32 s0, 22
	s_cbranch_scc0 .LBB15_579
; %bb.570:
	s_cmp_lt_i32 s0, 24
	s_cbranch_scc1 .LBB15_582
; %bb.571:
	s_cmp_gt_i32 s0, 24
	s_cbranch_scc0 .LBB15_583
; %bb.572:
	global_load_ubyte v3, v[0:1], off
	s_mov_b32 s24, 0
	s_mov_b32 s25, exec_lo
	s_waitcnt vmcnt(0)
	v_cmpx_lt_i16_e32 0x7f, v3
	s_xor_b32 s25, exec_lo, s25
	s_cbranch_execz .LBB15_595
; %bb.573:
	s_mov_b32 s24, -1
	s_mov_b32 s26, exec_lo
	v_cmpx_eq_u16_e32 0x80, v3
; %bb.574:
	s_xor_b32 s24, exec_lo, -1
; %bb.575:
	s_or_b32 exec_lo, exec_lo, s26
	s_and_b32 s24, s24, exec_lo
	s_or_saveexec_b32 s25, s25
	v_mov_b32_e32 v2, 0x7f800001
	s_xor_b32 exec_lo, exec_lo, s25
	s_cbranch_execnz .LBB15_596
.LBB15_576:
	s_or_b32 exec_lo, exec_lo, s25
	s_and_saveexec_b32 s25, s24
	s_cbranch_execz .LBB15_578
.LBB15_577:
	v_and_b32_e32 v2, 0xffff, v3
	v_lshlrev_b32_e32 v3, 24, v3
	v_and_b32_e32 v5, 3, v2
	v_bfe_u32 v8, v2, 2, 5
	v_and_b32_e32 v3, 0x80000000, v3
	v_ffbh_u32_e32 v6, v5
	v_cmp_eq_u32_e32 vcc_lo, 0, v8
	v_min_u32_e32 v6, 32, v6
	v_subrev_nc_u32_e32 v7, 29, v6
	v_sub_nc_u32_e32 v6, 30, v6
	v_lshlrev_b32_e32 v2, v7, v2
	v_cndmask_b32_e32 v6, v8, v6, vcc_lo
	v_and_b32_e32 v2, 3, v2
	v_cndmask_b32_e32 v2, v5, v2, vcc_lo
	v_lshl_add_u32 v5, v6, 23, 0x37800000
	v_lshlrev_b32_e32 v2, 21, v2
	v_or3_b32 v2, v3, v5, v2
.LBB15_578:
	s_or_b32 exec_lo, exec_lo, s25
	s_mov_b32 s24, 0
	s_branch .LBB15_584
.LBB15_579:
	s_mov_b32 s25, -1
                                        ; implicit-def: $vgpr2
	s_branch .LBB15_590
.LBB15_580:
	s_or_saveexec_b32 s25, s25
	v_mov_b32_e32 v2, 0x7f800001
	s_xor_b32 exec_lo, exec_lo, s25
	s_cbranch_execz .LBB15_563
.LBB15_581:
	v_cmp_ne_u16_e32 vcc_lo, 0, v3
	v_mov_b32_e32 v2, 0
	s_andn2_b32 s24, s24, exec_lo
	s_and_b32 s26, vcc_lo, exec_lo
	s_or_b32 s24, s24, s26
	s_or_b32 exec_lo, exec_lo, s25
	s_and_saveexec_b32 s25, s24
	s_cbranch_execnz .LBB15_564
	s_branch .LBB15_565
.LBB15_582:
	s_mov_b32 s24, -1
                                        ; implicit-def: $vgpr2
	s_branch .LBB15_587
.LBB15_583:
	s_mov_b32 s24, -1
                                        ; implicit-def: $vgpr2
.LBB15_584:
	s_and_b32 vcc_lo, exec_lo, s24
	s_cbranch_vccz .LBB15_586
; %bb.585:
	global_load_ubyte v2, v[0:1], off
	s_waitcnt vmcnt(0)
	v_lshlrev_b32_e32 v2, 24, v2
	v_and_b32_e32 v3, 0x7f000000, v2
	v_ffbh_u32_e32 v5, v3
	v_add_nc_u32_e32 v7, 0x1000000, v3
	v_cmp_ne_u32_e32 vcc_lo, 0, v3
	v_min_u32_e32 v5, 32, v5
	v_sub_nc_u32_e64 v5, v5, 4 clamp
	v_lshlrev_b32_e32 v6, v5, v3
	v_lshlrev_b32_e32 v5, 23, v5
	v_lshrrev_b32_e32 v6, 4, v6
	v_sub_nc_u32_e32 v5, v6, v5
	v_ashrrev_i32_e32 v6, 8, v7
	v_add_nc_u32_e32 v5, 0x3c000000, v5
	v_and_or_b32 v5, 0x7f800000, v6, v5
	v_cndmask_b32_e32 v3, 0, v5, vcc_lo
	v_and_or_b32 v2, 0x80000000, v2, v3
.LBB15_586:
	s_mov_b32 s24, 0
.LBB15_587:
	s_andn2_b32 vcc_lo, exec_lo, s24
	s_cbranch_vccnz .LBB15_589
; %bb.588:
	global_load_ubyte v2, v[0:1], off
	s_waitcnt vmcnt(0)
	v_lshlrev_b32_e32 v3, 25, v2
	v_lshlrev_b16 v2, 8, v2
	v_lshrrev_b32_e32 v5, 4, v3
	v_and_or_b32 v6, 0x7f00, v2, 0.5
	v_cmp_gt_u32_e32 vcc_lo, 0x8000000, v3
	v_bfe_i32 v2, v2, 0, 16
	v_or_b32_e32 v5, 0x70000000, v5
	v_add_f32_e32 v6, -0.5, v6
	v_mul_f32_e32 v5, 0x7800000, v5
	v_cndmask_b32_e32 v3, v5, v6, vcc_lo
	v_and_or_b32 v2, 0x80000000, v2, v3
.LBB15_589:
	s_mov_b32 s25, 0
	s_mov_b32 s24, -1
.LBB15_590:
	s_andn2_b32 vcc_lo, exec_lo, s25
	s_cbranch_vccnz .LBB15_603
; %bb.591:
	s_cmp_gt_i32 s0, 14
	s_cbranch_scc0 .LBB15_594
; %bb.592:
	s_cmp_eq_u32 s0, 15
	s_cbranch_scc0 .LBB15_597
; %bb.593:
	global_load_ushort v2, v[0:1], off
	s_mov_b32 s24, -1
	s_mov_b32 s23, 0
	s_waitcnt vmcnt(0)
	v_lshlrev_b32_e32 v2, 16, v2
	s_branch .LBB15_598
.LBB15_594:
	s_mov_b32 s25, -1
                                        ; implicit-def: $vgpr2
	s_branch .LBB15_599
.LBB15_595:
	s_or_saveexec_b32 s25, s25
	v_mov_b32_e32 v2, 0x7f800001
	s_xor_b32 exec_lo, exec_lo, s25
	s_cbranch_execz .LBB15_576
.LBB15_596:
	v_cmp_ne_u16_e32 vcc_lo, 0, v3
	v_mov_b32_e32 v2, 0
	s_andn2_b32 s24, s24, exec_lo
	s_and_b32 s26, vcc_lo, exec_lo
	s_or_b32 s24, s24, s26
	s_or_b32 exec_lo, exec_lo, s25
	s_and_saveexec_b32 s25, s24
	s_cbranch_execnz .LBB15_577
	s_branch .LBB15_578
.LBB15_597:
	s_mov_b32 s23, -1
                                        ; implicit-def: $vgpr2
.LBB15_598:
	s_mov_b32 s25, 0
.LBB15_599:
	s_and_b32 vcc_lo, exec_lo, s25
	s_cbranch_vccz .LBB15_603
; %bb.600:
	s_cmp_eq_u32 s0, 11
	s_cbranch_scc0 .LBB15_602
; %bb.601:
	global_load_ubyte v2, v[0:1], off
	s_mov_b32 s23, 0
	s_mov_b32 s24, -1
	s_waitcnt vmcnt(0)
	v_cmp_ne_u16_e32 vcc_lo, 0, v2
	v_cndmask_b32_e64 v2, 0, 1.0, vcc_lo
	s_branch .LBB15_603
.LBB15_602:
	s_mov_b32 s23, -1
                                        ; implicit-def: $vgpr2
.LBB15_603:
	s_mov_b32 s25, 0
.LBB15_604:
	s_and_b32 vcc_lo, exec_lo, s25
	s_cbranch_vccz .LBB15_653
; %bb.605:
	s_cmp_lt_i32 s0, 5
	s_cbranch_scc1 .LBB15_610
; %bb.606:
	s_cmp_lt_i32 s0, 8
	s_cbranch_scc1 .LBB15_611
	;; [unrolled: 3-line block ×3, first 2 shown]
; %bb.608:
	s_cmp_gt_i32 s0, 9
	s_cbranch_scc0 .LBB15_613
; %bb.609:
	global_load_dwordx2 v[2:3], v[0:1], off
	s_mov_b32 s24, 0
	s_waitcnt vmcnt(0)
	v_cvt_f32_f64_e32 v2, v[2:3]
	s_branch .LBB15_614
.LBB15_610:
	s_mov_b32 s24, -1
                                        ; implicit-def: $vgpr2
	s_branch .LBB15_632
.LBB15_611:
	s_mov_b32 s24, -1
                                        ; implicit-def: $vgpr2
	s_branch .LBB15_620
.LBB15_612:
	s_mov_b32 s24, -1
                                        ; implicit-def: $vgpr2
	s_branch .LBB15_617
.LBB15_613:
	s_mov_b32 s24, -1
                                        ; implicit-def: $vgpr2
.LBB15_614:
	s_andn2_b32 vcc_lo, exec_lo, s24
	s_cbranch_vccnz .LBB15_616
; %bb.615:
	global_load_dword v2, v[0:1], off
.LBB15_616:
	s_mov_b32 s24, 0
.LBB15_617:
	s_andn2_b32 vcc_lo, exec_lo, s24
	s_cbranch_vccnz .LBB15_619
; %bb.618:
	global_load_dword v2, v[0:1], off
	s_waitcnt vmcnt(0)
	v_cvt_f32_f16_e32 v2, v2
.LBB15_619:
	s_mov_b32 s24, 0
.LBB15_620:
	s_andn2_b32 vcc_lo, exec_lo, s24
	s_cbranch_vccnz .LBB15_631
; %bb.621:
	s_cmp_lt_i32 s0, 6
	s_cbranch_scc1 .LBB15_624
; %bb.622:
	s_cmp_gt_i32 s0, 6
	s_cbranch_scc0 .LBB15_625
; %bb.623:
	global_load_dwordx2 v[2:3], v[0:1], off
	s_mov_b32 s24, 0
	s_waitcnt vmcnt(0)
	v_cvt_f32_f64_e32 v2, v[2:3]
	s_branch .LBB15_626
.LBB15_624:
	s_mov_b32 s24, -1
                                        ; implicit-def: $vgpr2
	s_branch .LBB15_629
.LBB15_625:
	s_mov_b32 s24, -1
                                        ; implicit-def: $vgpr2
.LBB15_626:
	s_andn2_b32 vcc_lo, exec_lo, s24
	s_cbranch_vccnz .LBB15_628
; %bb.627:
	global_load_dword v2, v[0:1], off
.LBB15_628:
	s_mov_b32 s24, 0
.LBB15_629:
	s_andn2_b32 vcc_lo, exec_lo, s24
	s_cbranch_vccnz .LBB15_631
; %bb.630:
	global_load_ushort v2, v[0:1], off
	s_waitcnt vmcnt(0)
	v_cvt_f32_f16_e32 v2, v2
.LBB15_631:
	s_mov_b32 s24, 0
.LBB15_632:
	s_andn2_b32 vcc_lo, exec_lo, s24
	s_cbranch_vccnz .LBB15_652
; %bb.633:
	s_cmp_lt_i32 s0, 2
	s_cbranch_scc1 .LBB15_637
; %bb.634:
	s_cmp_lt_i32 s0, 3
	s_cbranch_scc1 .LBB15_638
; %bb.635:
	s_cmp_gt_i32 s0, 3
	s_cbranch_scc0 .LBB15_639
; %bb.636:
	global_load_dwordx2 v[2:3], v[0:1], off
	s_mov_b32 s24, 0
	s_waitcnt vmcnt(0)
	v_xor_b32_e32 v5, v2, v3
	v_ffbh_i32_e32 v6, v3
	v_ashrrev_i32_e32 v5, 31, v5
	v_add_nc_u32_e32 v6, -1, v6
	v_add_nc_u32_e32 v5, 32, v5
	v_min_u32_e32 v5, v6, v5
	v_lshlrev_b64 v[2:3], v5, v[2:3]
	v_min_u32_e32 v2, 1, v2
	v_or_b32_e32 v2, v3, v2
	v_sub_nc_u32_e32 v3, 32, v5
	v_cvt_f32_i32_e32 v2, v2
	v_ldexp_f32 v2, v2, v3
	s_branch .LBB15_640
.LBB15_637:
	s_mov_b32 s24, -1
                                        ; implicit-def: $vgpr2
	s_branch .LBB15_646
.LBB15_638:
	s_mov_b32 s24, -1
                                        ; implicit-def: $vgpr2
	s_branch .LBB15_643
.LBB15_639:
	s_mov_b32 s24, -1
                                        ; implicit-def: $vgpr2
.LBB15_640:
	s_andn2_b32 vcc_lo, exec_lo, s24
	s_cbranch_vccnz .LBB15_642
; %bb.641:
	global_load_dword v2, v[0:1], off
	s_waitcnt vmcnt(0)
	v_cvt_f32_i32_e32 v2, v2
.LBB15_642:
	s_mov_b32 s24, 0
.LBB15_643:
	s_andn2_b32 vcc_lo, exec_lo, s24
	s_cbranch_vccnz .LBB15_645
; %bb.644:
	global_load_sshort v2, v[0:1], off
	s_waitcnt vmcnt(0)
	v_cvt_f32_i32_e32 v2, v2
.LBB15_645:
	s_mov_b32 s24, 0
.LBB15_646:
	s_andn2_b32 vcc_lo, exec_lo, s24
	s_cbranch_vccnz .LBB15_652
; %bb.647:
	s_cmp_gt_i32 s0, 0
	s_mov_b32 s0, 0
	s_cbranch_scc0 .LBB15_649
; %bb.648:
	global_load_sbyte v2, v[0:1], off
	s_waitcnt vmcnt(0)
	v_cvt_f32_i32_e32 v2, v2
	s_branch .LBB15_650
.LBB15_649:
	s_mov_b32 s0, -1
                                        ; implicit-def: $vgpr2
.LBB15_650:
	s_andn2_b32 vcc_lo, exec_lo, s0
	s_cbranch_vccnz .LBB15_652
; %bb.651:
	global_load_ubyte v0, v[0:1], off
	s_waitcnt vmcnt(0)
	v_cvt_f32_ubyte0_e32 v2, v0
.LBB15_652:
	s_mov_b32 s24, -1
.LBB15_653:
	s_andn2_b32 vcc_lo, exec_lo, s24
	s_cbranch_vccnz .LBB15_663
; %bb.654:
	s_mov_b32 s0, exec_lo
	s_waitcnt vmcnt(0)
	v_cmpx_nlg_f32_e64 0x7f800000, |v2|
	s_cbranch_execz .LBB15_656
; %bb.655:
	v_mov_b32_e32 v0, 0
	v_mov_b32_e32 v1, 1.0
	global_store_dword v0, v1, s[12:13]
.LBB15_656:
	s_or_b32 exec_lo, exec_lo, s0
	v_mov_b32_e32 v0, 0
	s_and_b32 s24, s1, 0xff
	s_cmp_lt_i32 s24, 11
	global_load_dword v3, v0, s[14:15]
	v_mul_lo_u32 v0, v4, s2
	v_ashrrev_i32_e32 v1, 31, v0
	v_add_co_u32 v0, vcc_lo, s8, v0
	v_add_co_ci_u32_e64 v1, null, s9, v1, vcc_lo
	s_waitcnt vmcnt(0)
	v_mul_f32_e32 v5, v2, v3
	v_cmp_eq_f32_e32 vcc_lo, 1.0, v3
	v_cndmask_b32_e32 v2, v5, v2, vcc_lo
	s_cbranch_scc1 .LBB15_664
; %bb.657:
	s_and_b32 s25, 0xffff, s24
	s_cmp_gt_i32 s25, 25
	s_cbranch_scc0 .LBB15_665
; %bb.658:
	s_cmp_gt_i32 s25, 28
	s_cbranch_scc0 .LBB15_666
; %bb.659:
	;; [unrolled: 3-line block ×4, first 2 shown]
	s_mov_b32 s27, 0
	s_mov_b32 s0, -1
	s_cmp_eq_u32 s25, 46
	s_mov_b32 s26, 0
	s_cbranch_scc0 .LBB15_669
; %bb.662:
	v_bfe_u32 v3, v2, 16, 1
	v_cmp_o_f32_e32 vcc_lo, v2, v2
	v_mov_b32_e32 v5, 0x7fc0
	s_mov_b32 s26, -1
	s_mov_b32 s0, 0
	v_add3_u32 v3, v2, v3, 0x7fff
	v_cndmask_b32_sdwa v3, v5, v3, vcc_lo dst_sel:DWORD dst_unused:UNUSED_PAD src0_sel:DWORD src1_sel:WORD_1
	global_store_dword v[0:1], v3, off
	s_branch .LBB15_669
.LBB15_663:
	s_mov_b32 s24, 0
	s_mov_b32 s0, s20
	s_branch .LBB15_780
.LBB15_664:
	s_mov_b32 s25, -1
	s_mov_b32 s26, 0
	s_mov_b32 s0, s20
	s_branch .LBB15_738
.LBB15_665:
	s_mov_b32 s27, -1
	s_mov_b32 s26, 0
	s_mov_b32 s0, s20
	s_branch .LBB15_696
.LBB15_666:
	s_mov_b32 s27, -1
	s_mov_b32 s26, 0
	s_mov_b32 s0, s20
	s_branch .LBB15_679
.LBB15_667:
	s_mov_b32 s27, -1
	s_mov_b32 s26, 0
	s_mov_b32 s0, s20
	s_branch .LBB15_675
.LBB15_668:
	s_mov_b32 s27, -1
	s_mov_b32 s26, 0
	s_mov_b32 s0, s20
.LBB15_669:
	s_and_b32 vcc_lo, exec_lo, s27
	s_cbranch_vccz .LBB15_674
; %bb.670:
	s_cmp_eq_u32 s25, 44
	s_mov_b32 s0, -1
	s_cbranch_scc0 .LBB15_674
; %bb.671:
	v_bfe_u32 v5, v2, 23, 8
	v_mov_b32_e32 v3, 0xff
	s_mov_b32 s26, exec_lo
	v_cmpx_ne_u32_e32 0xff, v5
	s_cbranch_execz .LBB15_673
; %bb.672:
	v_and_b32_e32 v3, 0x400000, v2
	v_and_or_b32 v5, 0x3fffff, v2, v5
	v_cmp_ne_u32_e32 vcc_lo, 0, v3
	v_cmp_ne_u32_e64 s0, 0, v5
	v_lshrrev_b32_e32 v3, 23, v2
	s_and_b32 s0, vcc_lo, s0
	v_cndmask_b32_e64 v5, 0, 1, s0
	v_add_nc_u32_e32 v3, v3, v5
.LBB15_673:
	s_or_b32 exec_lo, exec_lo, s26
	s_mov_b32 s26, -1
	s_mov_b32 s0, 0
	global_store_byte v[0:1], v3, off
.LBB15_674:
	s_mov_b32 s27, 0
.LBB15_675:
	s_and_b32 vcc_lo, exec_lo, s27
	s_cbranch_vccz .LBB15_678
; %bb.676:
	s_cmp_eq_u32 s25, 29
	s_mov_b32 s0, -1
	s_cbranch_scc0 .LBB15_678
; %bb.677:
	v_trunc_f32_e32 v3, v2
	s_mov_b32 s26, -1
	s_mov_b32 s0, 0
	s_mov_b32 s27, 0
	v_mul_f32_e32 v5, 0x2f800000, v3
	v_floor_f32_e32 v5, v5
	v_fmamk_f32 v3, v5, 0xcf800000, v3
	v_cvt_u32_f32_e32 v6, v5
	v_cvt_u32_f32_e32 v5, v3
	global_store_dwordx2 v[0:1], v[5:6], off
	s_branch .LBB15_679
.LBB15_678:
	s_mov_b32 s27, 0
.LBB15_679:
	s_and_b32 vcc_lo, exec_lo, s27
	s_cbranch_vccz .LBB15_695
; %bb.680:
	s_cmp_lt_i32 s25, 27
	s_mov_b32 s26, -1
	s_cbranch_scc1 .LBB15_686
; %bb.681:
	v_cvt_u32_f32_e32 v3, v2
	s_cmp_gt_i32 s25, 27
	s_cbranch_scc0 .LBB15_683
; %bb.682:
	s_mov_b32 s26, 0
	global_store_dword v[0:1], v3, off
.LBB15_683:
	s_andn2_b32 vcc_lo, exec_lo, s26
	s_cbranch_vccnz .LBB15_685
; %bb.684:
	global_store_short v[0:1], v3, off
.LBB15_685:
	s_mov_b32 s26, 0
.LBB15_686:
	s_andn2_b32 vcc_lo, exec_lo, s26
	s_cbranch_vccnz .LBB15_694
; %bb.687:
	v_and_b32_e32 v3, 0x7fffffff, v2
	v_mov_b32_e32 v5, 0x80
	s_mov_b32 s26, exec_lo
	v_cmpx_gt_u32_e32 0x43800000, v3
	s_cbranch_execz .LBB15_693
; %bb.688:
	v_cmp_lt_u32_e32 vcc_lo, 0x3bffffff, v3
	s_mov_b32 s27, 0
                                        ; implicit-def: $vgpr3
	s_and_saveexec_b32 s28, vcc_lo
	s_xor_b32 s28, exec_lo, s28
	s_cbranch_execz .LBB15_795
; %bb.689:
	v_bfe_u32 v3, v2, 20, 1
	s_mov_b32 s27, exec_lo
	v_add3_u32 v3, v2, v3, 0x487ffff
	v_lshrrev_b32_e32 v3, 20, v3
	s_andn2_saveexec_b32 s28, s28
	s_cbranch_execnz .LBB15_796
.LBB15_690:
	s_or_b32 exec_lo, exec_lo, s28
	v_mov_b32_e32 v5, 0
	s_and_saveexec_b32 s28, s27
.LBB15_691:
	v_lshrrev_b32_e32 v5, 24, v2
	v_and_or_b32 v5, 0x80, v5, v3
.LBB15_692:
	s_or_b32 exec_lo, exec_lo, s28
.LBB15_693:
	s_or_b32 exec_lo, exec_lo, s26
	global_store_byte v[0:1], v5, off
.LBB15_694:
	s_mov_b32 s26, -1
.LBB15_695:
	s_mov_b32 s27, 0
.LBB15_696:
	s_and_b32 vcc_lo, exec_lo, s27
	s_cbranch_vccz .LBB15_737
; %bb.697:
	s_cmp_gt_i32 s25, 22
	s_mov_b32 s27, -1
	s_cbranch_scc0 .LBB15_729
; %bb.698:
	s_cmp_lt_i32 s25, 24
	s_mov_b32 s26, -1
	s_cbranch_scc1 .LBB15_718
; %bb.699:
	s_cmp_gt_i32 s25, 24
	s_cbranch_scc0 .LBB15_707
; %bb.700:
	v_and_b32_e32 v3, 0x7fffffff, v2
	v_mov_b32_e32 v5, 0x80
	s_mov_b32 s26, exec_lo
	v_cmpx_gt_u32_e32 0x47800000, v3
	s_cbranch_execz .LBB15_706
; %bb.701:
	v_cmp_lt_u32_e32 vcc_lo, 0x37ffffff, v3
	s_mov_b32 s27, 0
                                        ; implicit-def: $vgpr3
	s_and_saveexec_b32 s28, vcc_lo
	s_xor_b32 s28, exec_lo, s28
	s_cbranch_execz .LBB15_798
; %bb.702:
	v_bfe_u32 v3, v2, 21, 1
	s_mov_b32 s27, exec_lo
	v_add3_u32 v3, v2, v3, 0x88fffff
	v_lshrrev_b32_e32 v3, 21, v3
	s_andn2_saveexec_b32 s28, s28
	s_cbranch_execnz .LBB15_799
.LBB15_703:
	s_or_b32 exec_lo, exec_lo, s28
	v_mov_b32_e32 v5, 0
	s_and_saveexec_b32 s28, s27
.LBB15_704:
	v_lshrrev_b32_e32 v5, 24, v2
	v_and_or_b32 v5, 0x80, v5, v3
.LBB15_705:
	s_or_b32 exec_lo, exec_lo, s28
.LBB15_706:
	s_or_b32 exec_lo, exec_lo, s26
	s_mov_b32 s26, 0
	global_store_byte v[0:1], v5, off
.LBB15_707:
	s_and_b32 vcc_lo, exec_lo, s26
	s_cbranch_vccz .LBB15_717
; %bb.708:
	v_and_b32_e32 v5, 0x7fffffff, v2
	s_mov_b32 s26, exec_lo
                                        ; implicit-def: $vgpr3
	v_cmpx_gt_u32_e32 0x43f00000, v5
	s_xor_b32 s26, exec_lo, s26
	s_cbranch_execz .LBB15_714
; %bb.709:
	s_mov_b32 s27, exec_lo
                                        ; implicit-def: $vgpr3
	v_cmpx_lt_u32_e32 0x3c7fffff, v5
	s_xor_b32 s27, exec_lo, s27
; %bb.710:
	v_bfe_u32 v3, v2, 20, 1
	v_add3_u32 v3, v2, v3, 0x407ffff
	v_and_b32_e32 v5, 0xff00000, v3
	v_lshrrev_b32_e32 v3, 20, v3
	v_cmp_ne_u32_e32 vcc_lo, 0x7f00000, v5
	v_cndmask_b32_e32 v3, 0x7e, v3, vcc_lo
; %bb.711:
	s_andn2_saveexec_b32 s27, s27
; %bb.712:
	v_add_f32_e64 v3, 0x46800000, |v2|
; %bb.713:
	s_or_b32 exec_lo, exec_lo, s27
                                        ; implicit-def: $vgpr5
.LBB15_714:
	s_andn2_saveexec_b32 s26, s26
; %bb.715:
	v_mov_b32_e32 v3, 0x7f
	v_cmp_lt_u32_e32 vcc_lo, 0x7f800000, v5
	v_cndmask_b32_e32 v3, 0x7e, v3, vcc_lo
; %bb.716:
	s_or_b32 exec_lo, exec_lo, s26
	v_lshrrev_b32_e32 v5, 24, v2
	v_and_or_b32 v3, 0x80, v5, v3
	global_store_byte v[0:1], v3, off
.LBB15_717:
	s_mov_b32 s26, 0
.LBB15_718:
	s_andn2_b32 vcc_lo, exec_lo, s26
	s_cbranch_vccnz .LBB15_728
; %bb.719:
	v_and_b32_e32 v5, 0x7fffffff, v2
	s_mov_b32 s26, exec_lo
                                        ; implicit-def: $vgpr3
	v_cmpx_gt_u32_e32 0x47800000, v5
	s_xor_b32 s26, exec_lo, s26
	s_cbranch_execz .LBB15_725
; %bb.720:
	s_mov_b32 s27, exec_lo
                                        ; implicit-def: $vgpr3
	v_cmpx_lt_u32_e32 0x387fffff, v5
	s_xor_b32 s27, exec_lo, s27
; %bb.721:
	v_bfe_u32 v3, v2, 21, 1
	v_add3_u32 v3, v2, v3, 0x80fffff
	v_lshrrev_b32_e32 v3, 21, v3
; %bb.722:
	s_andn2_saveexec_b32 s27, s27
; %bb.723:
	v_add_f32_e64 v3, 0x43000000, |v2|
; %bb.724:
	s_or_b32 exec_lo, exec_lo, s27
                                        ; implicit-def: $vgpr5
.LBB15_725:
	s_andn2_saveexec_b32 s26, s26
; %bb.726:
	v_mov_b32_e32 v3, 0x7f
	v_cmp_lt_u32_e32 vcc_lo, 0x7f800000, v5
	v_cndmask_b32_e32 v3, 0x7c, v3, vcc_lo
; %bb.727:
	s_or_b32 exec_lo, exec_lo, s26
	v_lshrrev_b32_e32 v5, 24, v2
	v_and_or_b32 v3, 0x80, v5, v3
	global_store_byte v[0:1], v3, off
.LBB15_728:
	s_mov_b32 s27, 0
	s_mov_b32 s26, -1
.LBB15_729:
	s_andn2_b32 vcc_lo, exec_lo, s27
	s_cbranch_vccnz .LBB15_737
; %bb.730:
	s_cmp_gt_i32 s25, 14
	s_mov_b32 s27, -1
	s_cbranch_scc0 .LBB15_734
; %bb.731:
	s_cmp_eq_u32 s25, 15
	s_mov_b32 s0, -1
	s_cbranch_scc0 .LBB15_733
; %bb.732:
	v_bfe_u32 v3, v2, 16, 1
	v_cmp_o_f32_e32 vcc_lo, v2, v2
	v_mov_b32_e32 v5, 0x7fc0
	s_mov_b32 s26, -1
	s_mov_b32 s0, 0
	v_add3_u32 v3, v2, v3, 0x7fff
	v_cndmask_b32_sdwa v3, v5, v3, vcc_lo dst_sel:DWORD dst_unused:UNUSED_PAD src0_sel:DWORD src1_sel:WORD_1
	global_store_short v[0:1], v3, off
.LBB15_733:
	s_mov_b32 s27, 0
.LBB15_734:
	s_and_b32 vcc_lo, exec_lo, s27
	s_cbranch_vccz .LBB15_737
; %bb.735:
	s_cmp_eq_u32 s25, 11
	s_mov_b32 s0, -1
	s_cbranch_scc0 .LBB15_737
; %bb.736:
	v_cmp_neq_f32_e32 vcc_lo, 0, v2
	s_mov_b32 s0, 0
	s_mov_b32 s26, -1
	v_cndmask_b32_e64 v3, 0, 1, vcc_lo
	global_store_byte v[0:1], v3, off
.LBB15_737:
	s_mov_b32 s25, 0
.LBB15_738:
	s_and_b32 vcc_lo, exec_lo, s25
	s_cbranch_vccz .LBB15_777
; %bb.739:
	s_and_b32 s24, 0xffff, s24
	s_mov_b32 s25, -1
	s_cmp_lt_i32 s24, 5
	s_cbranch_scc1 .LBB15_760
; %bb.740:
	s_cmp_lt_i32 s24, 8
	s_cbranch_scc1 .LBB15_750
; %bb.741:
	;; [unrolled: 3-line block ×3, first 2 shown]
	s_cmp_gt_i32 s24, 9
	s_cbranch_scc0 .LBB15_744
; %bb.743:
	v_cvt_f64_f32_e32 v[5:6], v2
	v_mov_b32_e32 v7, 0
	s_mov_b32 s25, 0
	v_mov_b32_e32 v8, v7
	global_store_dwordx4 v[0:1], v[5:8], off
.LBB15_744:
	s_andn2_b32 vcc_lo, exec_lo, s25
	s_cbranch_vccnz .LBB15_746
; %bb.745:
	v_mov_b32_e32 v3, 0
	global_store_dwordx2 v[0:1], v[2:3], off
.LBB15_746:
	s_mov_b32 s25, 0
.LBB15_747:
	s_andn2_b32 vcc_lo, exec_lo, s25
	s_cbranch_vccnz .LBB15_749
; %bb.748:
	v_cvt_f16_f32_e32 v3, v2
	v_and_b32_e32 v3, 0xffff, v3
	global_store_dword v[0:1], v3, off
.LBB15_749:
	s_mov_b32 s25, 0
.LBB15_750:
	s_andn2_b32 vcc_lo, exec_lo, s25
	s_cbranch_vccnz .LBB15_759
; %bb.751:
	s_cmp_lt_i32 s24, 6
	s_mov_b32 s25, -1
	s_cbranch_scc1 .LBB15_757
; %bb.752:
	s_cmp_gt_i32 s24, 6
	s_cbranch_scc0 .LBB15_754
; %bb.753:
	v_cvt_f64_f32_e32 v[5:6], v2
	s_mov_b32 s25, 0
	global_store_dwordx2 v[0:1], v[5:6], off
.LBB15_754:
	s_andn2_b32 vcc_lo, exec_lo, s25
	s_cbranch_vccnz .LBB15_756
; %bb.755:
	global_store_dword v[0:1], v2, off
.LBB15_756:
	s_mov_b32 s25, 0
.LBB15_757:
	s_andn2_b32 vcc_lo, exec_lo, s25
	s_cbranch_vccnz .LBB15_759
; %bb.758:
	v_cvt_f16_f32_e32 v3, v2
	global_store_short v[0:1], v3, off
.LBB15_759:
	s_mov_b32 s25, 0
.LBB15_760:
	s_andn2_b32 vcc_lo, exec_lo, s25
	s_cbranch_vccnz .LBB15_776
; %bb.761:
	s_cmp_lt_i32 s24, 2
	s_mov_b32 s25, -1
	s_cbranch_scc1 .LBB15_771
; %bb.762:
	s_cmp_lt_i32 s24, 3
	s_cbranch_scc1 .LBB15_768
; %bb.763:
	s_cmp_gt_i32 s24, 3
	s_cbranch_scc0 .LBB15_765
; %bb.764:
	v_trunc_f32_e32 v3, v2
	s_mov_b32 s25, 0
	v_mul_f32_e64 v5, 0x2f800000, |v3|
	v_floor_f32_e32 v5, v5
	v_fma_f32 v6, 0xcf800000, v5, |v3|
	v_ashrrev_i32_e32 v3, 31, v3
	v_cvt_u32_f32_e32 v5, v5
	v_cvt_u32_f32_e32 v6, v6
	v_xor_b32_e32 v7, v5, v3
	v_xor_b32_e32 v6, v6, v3
	v_sub_co_u32 v5, vcc_lo, v6, v3
	v_sub_co_ci_u32_e64 v6, null, v7, v3, vcc_lo
	global_store_dwordx2 v[0:1], v[5:6], off
.LBB15_765:
	s_andn2_b32 vcc_lo, exec_lo, s25
	s_cbranch_vccnz .LBB15_767
; %bb.766:
	v_cvt_i32_f32_e32 v3, v2
	global_store_dword v[0:1], v3, off
.LBB15_767:
	s_mov_b32 s25, 0
.LBB15_768:
	s_andn2_b32 vcc_lo, exec_lo, s25
	s_cbranch_vccnz .LBB15_770
; %bb.769:
	v_cvt_i32_f32_e32 v3, v2
	global_store_short v[0:1], v3, off
.LBB15_770:
	s_mov_b32 s25, 0
.LBB15_771:
	s_andn2_b32 vcc_lo, exec_lo, s25
	s_cbranch_vccnz .LBB15_776
; %bb.772:
	s_cmp_gt_i32 s24, 0
	s_mov_b32 s24, -1
	s_cbranch_scc0 .LBB15_774
; %bb.773:
	v_cvt_i32_f32_e32 v3, v2
	s_mov_b32 s24, 0
	global_store_byte v[0:1], v3, off
.LBB15_774:
	s_andn2_b32 vcc_lo, exec_lo, s24
	s_cbranch_vccnz .LBB15_776
; %bb.775:
	v_trunc_f32_e32 v2, v2
	v_mul_f32_e64 v3, 0x2f800000, |v2|
	v_floor_f32_e32 v3, v3
	v_fma_f32 v3, 0xcf800000, v3, |v2|
	v_ashrrev_i32_e32 v2, 31, v2
	v_cvt_u32_f32_e32 v3, v3
	v_xor_b32_e32 v3, v3, v2
	v_sub_nc_u32_e32 v2, v3, v2
	global_store_byte v[0:1], v2, off
.LBB15_776:
	s_mov_b32 s26, -1
.LBB15_777:
	s_andn2_b32 vcc_lo, exec_lo, s26
	s_cbranch_vccnz .LBB15_779
; %bb.778:
	v_add_nc_u32_e32 v4, 0x80, v4
	s_mov_b32 s24, -1
	s_branch .LBB15_781
.LBB15_779:
	s_mov_b32 s24, 0
.LBB15_780:
                                        ; implicit-def: $vgpr4
.LBB15_781:
	s_andn2_b32 s25, s20, exec_lo
	s_and_b32 s0, s0, exec_lo
	s_andn2_b32 s26, s19, exec_lo
	s_and_b32 s27, s23, exec_lo
	s_or_b32 s23, s25, s0
	s_or_b32 s0, s26, s27
	s_orn2_b32 s24, s24, exec_lo
.LBB15_782:
	s_or_b32 exec_lo, exec_lo, s22
	s_mov_b32 s25, 0
	s_mov_b32 s26, 0
	;; [unrolled: 1-line block ×3, first 2 shown]
                                        ; implicit-def: $vgpr0_vgpr1
                                        ; implicit-def: $vgpr3
	s_and_saveexec_b32 s22, s24
	s_cbranch_execz .LBB15_867
; %bb.783:
	v_cmp_gt_i32_e32 vcc_lo, s16, v4
	s_mov_b32 s24, 0
	s_mov_b32 s25, s0
	;; [unrolled: 1-line block ×3, first 2 shown]
                                        ; implicit-def: $vgpr0_vgpr1
                                        ; implicit-def: $vgpr3
	s_and_saveexec_b32 s16, vcc_lo
	s_cbranch_execz .LBB15_866
; %bb.784:
	v_mul_lo_u32 v0, v4, s3
	s_and_b32 s24, 0xffff, s5
	s_cmp_lt_i32 s24, 11
	v_ashrrev_i32_e32 v1, 31, v0
	v_add_co_u32 v0, vcc_lo, s10, v0
	v_add_co_ci_u32_e64 v1, null, s11, v1, vcc_lo
	s_cbranch_scc1 .LBB15_791
; %bb.785:
	s_cmp_gt_i32 s24, 25
	s_cbranch_scc0 .LBB15_792
; %bb.786:
	s_cmp_gt_i32 s24, 28
	s_cbranch_scc0 .LBB15_793
	;; [unrolled: 3-line block ×4, first 2 shown]
; %bb.789:
	s_cmp_eq_u32 s24, 46
	s_cbranch_scc0 .LBB15_800
; %bb.790:
	global_load_dword v2, v[0:1], off
	s_mov_b32 s25, 0
	s_mov_b32 s27, -1
	s_waitcnt vmcnt(0)
	v_lshlrev_b32_e32 v3, 16, v2
	s_branch .LBB15_802
.LBB15_791:
	s_mov_b32 s24, -1
	s_mov_b32 s25, s0
                                        ; implicit-def: $vgpr3
	s_branch .LBB15_865
.LBB15_792:
	s_mov_b32 s28, -1
	s_mov_b32 s25, s0
                                        ; implicit-def: $vgpr3
	s_branch .LBB15_831
.LBB15_793:
	s_mov_b32 s28, -1
	s_mov_b32 s25, s0
                                        ; implicit-def: $vgpr3
	s_branch .LBB15_812
.LBB15_794:
	s_mov_b32 s28, -1
	s_mov_b32 s25, s0
                                        ; implicit-def: $vgpr3
	s_branch .LBB15_807
.LBB15_795:
	s_andn2_saveexec_b32 s28, s28
	s_cbranch_execz .LBB15_690
.LBB15_796:
	v_add_f32_e64 v3, 0x46000000, |v2|
	s_andn2_b32 s27, s27, exec_lo
	v_and_b32_e32 v3, 0xff, v3
	v_cmp_ne_u32_e32 vcc_lo, 0, v3
	s_and_b32 s29, vcc_lo, exec_lo
	s_or_b32 s27, s27, s29
	s_or_b32 exec_lo, exec_lo, s28
	v_mov_b32_e32 v5, 0
	s_and_saveexec_b32 s28, s27
	s_cbranch_execnz .LBB15_691
	s_branch .LBB15_692
.LBB15_797:
	s_mov_b32 s28, -1
	s_mov_b32 s25, s0
	s_branch .LBB15_801
.LBB15_798:
	s_andn2_saveexec_b32 s28, s28
	s_cbranch_execz .LBB15_703
.LBB15_799:
	v_add_f32_e64 v3, 0x42800000, |v2|
	s_andn2_b32 s27, s27, exec_lo
	v_and_b32_e32 v3, 0xff, v3
	v_cmp_ne_u32_e32 vcc_lo, 0, v3
	s_and_b32 s29, vcc_lo, exec_lo
	s_or_b32 s27, s27, s29
	s_or_b32 exec_lo, exec_lo, s28
	v_mov_b32_e32 v5, 0
	s_and_saveexec_b32 s28, s27
	s_cbranch_execnz .LBB15_704
	s_branch .LBB15_705
.LBB15_800:
	s_mov_b32 s25, -1
.LBB15_801:
                                        ; implicit-def: $vgpr3
.LBB15_802:
	s_and_b32 vcc_lo, exec_lo, s28
	s_cbranch_vccz .LBB15_806
; %bb.803:
	s_cmp_eq_u32 s24, 44
	s_cbranch_scc0 .LBB15_805
; %bb.804:
	global_load_ubyte v2, v[0:1], off
	s_mov_b32 s25, 0
	s_mov_b32 s27, -1
	s_waitcnt vmcnt(0)
	v_lshlrev_b32_e32 v3, 23, v2
	v_cmp_ne_u32_e32 vcc_lo, 0xff, v2
	v_cndmask_b32_e32 v3, 0x7f800001, v3, vcc_lo
	v_cmp_ne_u32_e32 vcc_lo, 0, v2
	v_cndmask_b32_e32 v3, 0x400000, v3, vcc_lo
	s_branch .LBB15_806
.LBB15_805:
	s_mov_b32 s25, -1
                                        ; implicit-def: $vgpr3
.LBB15_806:
	s_mov_b32 s28, 0
.LBB15_807:
	s_and_b32 vcc_lo, exec_lo, s28
	s_cbranch_vccz .LBB15_811
; %bb.808:
	s_cmp_eq_u32 s24, 29
	s_cbranch_scc0 .LBB15_810
; %bb.809:
	global_load_dwordx2 v[2:3], v[0:1], off
	s_mov_b32 s25, 0
	s_mov_b32 s27, -1
	s_mov_b32 s28, 0
	s_waitcnt vmcnt(0)
	v_ffbh_u32_e32 v5, v3
	v_min_u32_e32 v5, 32, v5
	v_lshlrev_b64 v[2:3], v5, v[2:3]
	v_min_u32_e32 v2, 1, v2
	v_or_b32_e32 v2, v3, v2
	v_sub_nc_u32_e32 v3, 32, v5
	v_cvt_f32_u32_e32 v2, v2
	v_ldexp_f32 v3, v2, v3
	s_branch .LBB15_812
.LBB15_810:
	s_mov_b32 s25, -1
                                        ; implicit-def: $vgpr3
.LBB15_811:
	s_mov_b32 s28, 0
.LBB15_812:
	s_and_b32 vcc_lo, exec_lo, s28
	s_cbranch_vccz .LBB15_830
; %bb.813:
	s_cmp_lt_i32 s24, 27
	s_cbranch_scc1 .LBB15_816
; %bb.814:
	s_cmp_gt_i32 s24, 27
	s_cbranch_scc0 .LBB15_817
; %bb.815:
	global_load_dword v2, v[0:1], off
	s_mov_b32 s27, 0
	s_waitcnt vmcnt(0)
	v_cvt_f32_u32_e32 v3, v2
	s_branch .LBB15_818
.LBB15_816:
	s_mov_b32 s27, -1
                                        ; implicit-def: $vgpr3
	s_branch .LBB15_821
.LBB15_817:
	s_mov_b32 s27, -1
                                        ; implicit-def: $vgpr3
.LBB15_818:
	s_andn2_b32 vcc_lo, exec_lo, s27
	s_cbranch_vccnz .LBB15_820
; %bb.819:
	global_load_ushort v2, v[0:1], off
	s_waitcnt vmcnt(0)
	v_cvt_f32_u32_e32 v3, v2
.LBB15_820:
	s_mov_b32 s27, 0
.LBB15_821:
	s_andn2_b32 vcc_lo, exec_lo, s27
	s_cbranch_vccnz .LBB15_829
; %bb.822:
	global_load_ubyte v2, v[0:1], off
	s_mov_b32 s27, 0
	s_mov_b32 s28, exec_lo
	s_waitcnt vmcnt(0)
	v_cmpx_lt_i16_e32 0x7f, v2
	s_xor_b32 s28, exec_lo, s28
	s_cbranch_execz .LBB15_843
; %bb.823:
	s_mov_b32 s27, -1
	s_mov_b32 s29, exec_lo
	v_cmpx_eq_u16_e32 0x80, v2
; %bb.824:
	s_xor_b32 s27, exec_lo, -1
; %bb.825:
	s_or_b32 exec_lo, exec_lo, s29
	s_and_b32 s27, s27, exec_lo
	s_or_saveexec_b32 s28, s28
	v_mov_b32_e32 v3, 0x7f800001
	s_xor_b32 exec_lo, exec_lo, s28
	s_cbranch_execnz .LBB15_844
.LBB15_826:
	s_or_b32 exec_lo, exec_lo, s28
	s_and_saveexec_b32 s28, s27
	s_cbranch_execz .LBB15_828
.LBB15_827:
	v_and_b32_e32 v3, 0xffff, v2
	v_lshlrev_b32_e32 v2, 24, v2
	v_and_b32_e32 v5, 7, v3
	v_bfe_u32 v8, v3, 3, 4
	v_and_b32_e32 v2, 0x80000000, v2
	v_ffbh_u32_e32 v6, v5
	v_cmp_eq_u32_e32 vcc_lo, 0, v8
	v_min_u32_e32 v6, 32, v6
	v_subrev_nc_u32_e32 v7, 28, v6
	v_sub_nc_u32_e32 v6, 29, v6
	v_lshlrev_b32_e32 v3, v7, v3
	v_cndmask_b32_e32 v6, v8, v6, vcc_lo
	v_and_b32_e32 v3, 7, v3
	v_cndmask_b32_e32 v3, v5, v3, vcc_lo
	v_lshl_add_u32 v5, v6, 23, 0x3b800000
	v_lshlrev_b32_e32 v3, 20, v3
	v_or3_b32 v3, v2, v5, v3
.LBB15_828:
	s_or_b32 exec_lo, exec_lo, s28
.LBB15_829:
	s_mov_b32 s27, -1
.LBB15_830:
	s_mov_b32 s28, 0
.LBB15_831:
	s_and_b32 vcc_lo, exec_lo, s28
	s_cbranch_vccz .LBB15_864
; %bb.832:
	s_cmp_gt_i32 s24, 22
	s_cbranch_scc0 .LBB15_842
; %bb.833:
	s_cmp_lt_i32 s24, 24
	s_cbranch_scc1 .LBB15_845
; %bb.834:
	s_cmp_gt_i32 s24, 24
	s_cbranch_scc0 .LBB15_846
; %bb.835:
	global_load_ubyte v2, v[0:1], off
	s_mov_b32 s27, exec_lo
	s_waitcnt vmcnt(0)
	v_cmpx_lt_i16_e32 0x7f, v2
	s_xor_b32 s27, exec_lo, s27
	s_cbranch_execz .LBB15_858
; %bb.836:
	s_mov_b32 s26, -1
	s_mov_b32 s28, exec_lo
	v_cmpx_eq_u16_e32 0x80, v2
; %bb.837:
	s_xor_b32 s26, exec_lo, -1
; %bb.838:
	s_or_b32 exec_lo, exec_lo, s28
	s_and_b32 s26, s26, exec_lo
	s_or_saveexec_b32 s27, s27
	v_mov_b32_e32 v3, 0x7f800001
	s_xor_b32 exec_lo, exec_lo, s27
	s_cbranch_execnz .LBB15_859
.LBB15_839:
	s_or_b32 exec_lo, exec_lo, s27
	s_and_saveexec_b32 s27, s26
	s_cbranch_execz .LBB15_841
.LBB15_840:
	v_and_b32_e32 v3, 0xffff, v2
	v_lshlrev_b32_e32 v2, 24, v2
	v_and_b32_e32 v5, 3, v3
	v_bfe_u32 v8, v3, 2, 5
	v_and_b32_e32 v2, 0x80000000, v2
	v_ffbh_u32_e32 v6, v5
	v_cmp_eq_u32_e32 vcc_lo, 0, v8
	v_min_u32_e32 v6, 32, v6
	v_subrev_nc_u32_e32 v7, 29, v6
	v_sub_nc_u32_e32 v6, 30, v6
	v_lshlrev_b32_e32 v3, v7, v3
	v_cndmask_b32_e32 v6, v8, v6, vcc_lo
	v_and_b32_e32 v3, 3, v3
	v_cndmask_b32_e32 v3, v5, v3, vcc_lo
	v_lshl_add_u32 v5, v6, 23, 0x37800000
	v_lshlrev_b32_e32 v3, 21, v3
	v_or3_b32 v3, v2, v5, v3
.LBB15_841:
	s_or_b32 exec_lo, exec_lo, s27
	s_mov_b32 s26, 0
	s_branch .LBB15_847
.LBB15_842:
	s_mov_b32 s26, -1
                                        ; implicit-def: $vgpr3
	s_branch .LBB15_853
.LBB15_843:
	s_or_saveexec_b32 s28, s28
	v_mov_b32_e32 v3, 0x7f800001
	s_xor_b32 exec_lo, exec_lo, s28
	s_cbranch_execz .LBB15_826
.LBB15_844:
	v_cmp_ne_u16_e32 vcc_lo, 0, v2
	v_mov_b32_e32 v3, 0
	s_andn2_b32 s27, s27, exec_lo
	s_and_b32 s29, vcc_lo, exec_lo
	s_or_b32 s27, s27, s29
	s_or_b32 exec_lo, exec_lo, s28
	s_and_saveexec_b32 s28, s27
	s_cbranch_execnz .LBB15_827
	s_branch .LBB15_828
.LBB15_845:
	s_mov_b32 s26, -1
                                        ; implicit-def: $vgpr3
	s_branch .LBB15_850
.LBB15_846:
	s_mov_b32 s26, -1
                                        ; implicit-def: $vgpr3
.LBB15_847:
	s_and_b32 vcc_lo, exec_lo, s26
	s_cbranch_vccz .LBB15_849
; %bb.848:
	global_load_ubyte v2, v[0:1], off
	s_waitcnt vmcnt(0)
	v_lshlrev_b32_e32 v2, 24, v2
	v_and_b32_e32 v3, 0x7f000000, v2
	v_ffbh_u32_e32 v5, v3
	v_add_nc_u32_e32 v7, 0x1000000, v3
	v_cmp_ne_u32_e32 vcc_lo, 0, v3
	v_min_u32_e32 v5, 32, v5
	v_sub_nc_u32_e64 v5, v5, 4 clamp
	v_lshlrev_b32_e32 v6, v5, v3
	v_lshlrev_b32_e32 v5, 23, v5
	v_lshrrev_b32_e32 v6, 4, v6
	v_sub_nc_u32_e32 v5, v6, v5
	v_ashrrev_i32_e32 v6, 8, v7
	v_add_nc_u32_e32 v5, 0x3c000000, v5
	v_and_or_b32 v5, 0x7f800000, v6, v5
	v_cndmask_b32_e32 v3, 0, v5, vcc_lo
	v_and_or_b32 v3, 0x80000000, v2, v3
.LBB15_849:
	s_mov_b32 s26, 0
.LBB15_850:
	s_andn2_b32 vcc_lo, exec_lo, s26
	s_cbranch_vccnz .LBB15_852
; %bb.851:
	global_load_ubyte v2, v[0:1], off
	s_waitcnt vmcnt(0)
	v_lshlrev_b32_e32 v3, 25, v2
	v_lshlrev_b16 v2, 8, v2
	v_lshrrev_b32_e32 v5, 4, v3
	v_and_or_b32 v6, 0x7f00, v2, 0.5
	v_cmp_gt_u32_e32 vcc_lo, 0x8000000, v3
	v_bfe_i32 v2, v2, 0, 16
	v_or_b32_e32 v5, 0x70000000, v5
	v_add_f32_e32 v6, -0.5, v6
	v_mul_f32_e32 v5, 0x7800000, v5
	v_cndmask_b32_e32 v3, v5, v6, vcc_lo
	v_and_or_b32 v3, 0x80000000, v2, v3
.LBB15_852:
	s_mov_b32 s26, 0
	s_mov_b32 s27, -1
.LBB15_853:
	s_andn2_b32 vcc_lo, exec_lo, s26
	s_mov_b32 s26, 0
	s_cbranch_vccnz .LBB15_864
; %bb.854:
	s_cmp_gt_i32 s24, 14
	s_cbranch_scc0 .LBB15_857
; %bb.855:
	s_cmp_eq_u32 s24, 15
	s_cbranch_scc0 .LBB15_860
; %bb.856:
	global_load_ushort v2, v[0:1], off
	s_mov_b32 s25, 0
	s_mov_b32 s27, -1
	s_waitcnt vmcnt(0)
	v_lshlrev_b32_e32 v3, 16, v2
	s_branch .LBB15_862
.LBB15_857:
	s_mov_b32 s26, -1
	s_branch .LBB15_861
.LBB15_858:
	s_or_saveexec_b32 s27, s27
	v_mov_b32_e32 v3, 0x7f800001
	s_xor_b32 exec_lo, exec_lo, s27
	s_cbranch_execz .LBB15_839
.LBB15_859:
	v_cmp_ne_u16_e32 vcc_lo, 0, v2
	v_mov_b32_e32 v3, 0
	s_andn2_b32 s26, s26, exec_lo
	s_and_b32 s28, vcc_lo, exec_lo
	s_or_b32 s26, s26, s28
	s_or_b32 exec_lo, exec_lo, s27
	s_and_saveexec_b32 s27, s26
	s_cbranch_execnz .LBB15_840
	s_branch .LBB15_841
.LBB15_860:
	s_mov_b32 s25, -1
.LBB15_861:
                                        ; implicit-def: $vgpr3
.LBB15_862:
	s_and_b32 vcc_lo, exec_lo, s26
	s_mov_b32 s26, 0
	s_cbranch_vccz .LBB15_864
; %bb.863:
	s_cmp_lg_u32 s24, 11
	s_mov_b32 s26, -1
	s_cselect_b32 s24, -1, 0
	s_andn2_b32 s25, s25, exec_lo
	s_and_b32 s24, s24, exec_lo
	s_or_b32 s25, s25, s24
.LBB15_864:
	s_mov_b32 s24, 0
.LBB15_865:
	s_andn2_b32 s29, s0, exec_lo
	s_and_b32 s25, s25, exec_lo
	s_and_b32 s27, s27, exec_lo
	;; [unrolled: 1-line block ×4, first 2 shown]
	s_or_b32 s25, s29, s25
.LBB15_866:
	s_or_b32 exec_lo, exec_lo, s16
	s_andn2_b32 s0, s0, exec_lo
	s_and_b32 s16, s25, exec_lo
	s_and_b32 s27, s27, exec_lo
	;; [unrolled: 1-line block ×4, first 2 shown]
	s_or_b32 s0, s0, s16
.LBB15_867:
	s_or_b32 exec_lo, exec_lo, s22
	s_andn2_b32 s16, s20, exec_lo
	s_and_b32 s20, s23, exec_lo
	s_and_b32 s0, s0, exec_lo
	s_or_b32 s20, s16, s20
	s_andn2_b32 s16, s19, exec_lo
	s_and_b32 s24, s27, exec_lo
	s_and_b32 s23, s26, exec_lo
	;; [unrolled: 1-line block ×3, first 2 shown]
	s_or_b32 s19, s16, s0
.LBB15_868:
	s_or_b32 exec_lo, exec_lo, s21
	s_andn2_b32 s0, s7, exec_lo
	s_and_b32 s7, s20, exec_lo
	s_andn2_b32 s16, s17, exec_lo
	s_and_b32 s17, s19, exec_lo
	s_or_b32 s7, s0, s7
	s_and_b32 s0, s24, exec_lo
	s_and_b32 s20, s23, exec_lo
	;; [unrolled: 1-line block ×3, first 2 shown]
	s_or_b32 s17, s16, s17
	s_or_b32 exec_lo, exec_lo, s18
	s_mov_b32 s16, 0
	s_and_saveexec_b32 s18, s17
	s_cbranch_execz .LBB15_264
.LBB15_869:
	s_mov_b32 s16, exec_lo
	s_andn2_b32 s19, s19, exec_lo
	s_trap 2
	s_or_b32 exec_lo, exec_lo, s18
	s_and_saveexec_b32 s17, s19
	s_xor_b32 s17, exec_lo, s17
	s_cbranch_execnz .LBB15_265
.LBB15_870:
	s_or_b32 exec_lo, exec_lo, s17
	s_and_saveexec_b32 s17, s20
	s_cbranch_execz .LBB15_916
.LBB15_871:
	s_sext_i32_i16 s18, s5
	s_cmp_lt_i32 s18, 5
	s_cbranch_scc1 .LBB15_876
; %bb.872:
	s_cmp_lt_i32 s18, 8
	s_cbranch_scc1 .LBB15_877
; %bb.873:
	;; [unrolled: 3-line block ×3, first 2 shown]
	s_cmp_gt_i32 s18, 9
	s_cbranch_scc0 .LBB15_879
; %bb.875:
	global_load_dwordx2 v[2:3], v[0:1], off
	s_mov_b32 s18, 0
	s_waitcnt vmcnt(0)
	v_cvt_f32_f64_e32 v3, v[2:3]
	s_branch .LBB15_880
.LBB15_876:
                                        ; implicit-def: $vgpr3
	s_branch .LBB15_897
.LBB15_877:
                                        ; implicit-def: $vgpr3
	s_branch .LBB15_886
.LBB15_878:
	s_mov_b32 s18, -1
                                        ; implicit-def: $vgpr3
	s_branch .LBB15_883
.LBB15_879:
	s_mov_b32 s18, -1
                                        ; implicit-def: $vgpr3
.LBB15_880:
	s_andn2_b32 vcc_lo, exec_lo, s18
	s_cbranch_vccnz .LBB15_882
; %bb.881:
	global_load_dword v3, v[0:1], off
.LBB15_882:
	s_mov_b32 s18, 0
.LBB15_883:
	s_andn2_b32 vcc_lo, exec_lo, s18
	s_cbranch_vccnz .LBB15_885
; %bb.884:
	global_load_dword v2, v[0:1], off
	s_waitcnt vmcnt(0)
	v_cvt_f32_f16_e32 v3, v2
.LBB15_885:
	s_cbranch_execnz .LBB15_896
.LBB15_886:
	s_sext_i32_i16 s18, s5
	s_cmp_lt_i32 s18, 6
	s_cbranch_scc1 .LBB15_889
; %bb.887:
	s_cmp_gt_i32 s18, 6
	s_cbranch_scc0 .LBB15_890
; %bb.888:
	global_load_dwordx2 v[2:3], v[0:1], off
	s_mov_b32 s18, 0
	s_waitcnt vmcnt(0)
	v_cvt_f32_f64_e32 v3, v[2:3]
	s_branch .LBB15_891
.LBB15_889:
	s_mov_b32 s18, -1
                                        ; implicit-def: $vgpr3
	s_branch .LBB15_894
.LBB15_890:
	s_mov_b32 s18, -1
                                        ; implicit-def: $vgpr3
.LBB15_891:
	s_andn2_b32 vcc_lo, exec_lo, s18
	s_cbranch_vccnz .LBB15_893
; %bb.892:
	global_load_dword v3, v[0:1], off
.LBB15_893:
	s_mov_b32 s18, 0
.LBB15_894:
	s_andn2_b32 vcc_lo, exec_lo, s18
	s_cbranch_vccnz .LBB15_896
; %bb.895:
	global_load_ushort v2, v[0:1], off
	s_waitcnt vmcnt(0)
	v_cvt_f32_f16_e32 v3, v2
.LBB15_896:
	s_cbranch_execnz .LBB15_915
.LBB15_897:
	s_sext_i32_i16 s18, s5
	s_cmp_lt_i32 s18, 2
	s_cbranch_scc1 .LBB15_901
; %bb.898:
	s_cmp_lt_i32 s18, 3
	s_cbranch_scc1 .LBB15_902
; %bb.899:
	s_cmp_gt_i32 s18, 3
	s_cbranch_scc0 .LBB15_903
; %bb.900:
	global_load_dwordx2 v[2:3], v[0:1], off
	s_mov_b32 s18, 0
	s_waitcnt vmcnt(0)
	v_xor_b32_e32 v5, v2, v3
	v_ffbh_i32_e32 v6, v3
	v_ashrrev_i32_e32 v5, 31, v5
	v_add_nc_u32_e32 v6, -1, v6
	v_add_nc_u32_e32 v5, 32, v5
	v_min_u32_e32 v5, v6, v5
	v_lshlrev_b64 v[2:3], v5, v[2:3]
	v_min_u32_e32 v2, 1, v2
	v_or_b32_e32 v2, v3, v2
	v_sub_nc_u32_e32 v3, 32, v5
	v_cvt_f32_i32_e32 v2, v2
	v_ldexp_f32 v3, v2, v3
	s_branch .LBB15_904
.LBB15_901:
                                        ; implicit-def: $vgpr3
	s_branch .LBB15_910
.LBB15_902:
	s_mov_b32 s18, -1
                                        ; implicit-def: $vgpr3
	s_branch .LBB15_907
.LBB15_903:
	s_mov_b32 s18, -1
                                        ; implicit-def: $vgpr3
.LBB15_904:
	s_andn2_b32 vcc_lo, exec_lo, s18
	s_cbranch_vccnz .LBB15_906
; %bb.905:
	global_load_dword v2, v[0:1], off
	s_waitcnt vmcnt(0)
	v_cvt_f32_i32_e32 v3, v2
.LBB15_906:
	s_mov_b32 s18, 0
.LBB15_907:
	s_andn2_b32 vcc_lo, exec_lo, s18
	s_cbranch_vccnz .LBB15_909
; %bb.908:
	global_load_sshort v2, v[0:1], off
	s_waitcnt vmcnt(0)
	v_cvt_f32_i32_e32 v3, v2
.LBB15_909:
	s_cbranch_execnz .LBB15_915
.LBB15_910:
	s_sext_i32_i16 s18, s5
	s_cmp_gt_i32 s18, 0
	s_mov_b32 s18, 0
	s_cbranch_scc0 .LBB15_912
; %bb.911:
	global_load_sbyte v2, v[0:1], off
	s_waitcnt vmcnt(0)
	v_cvt_f32_i32_e32 v3, v2
	s_branch .LBB15_913
.LBB15_912:
	s_mov_b32 s18, -1
                                        ; implicit-def: $vgpr3
.LBB15_913:
	s_andn2_b32 vcc_lo, exec_lo, s18
	s_cbranch_vccnz .LBB15_915
; %bb.914:
	global_load_ubyte v0, v[0:1], off
	s_waitcnt vmcnt(0)
	v_cvt_f32_ubyte0_e32 v3, v0
.LBB15_915:
	s_or_b32 s0, s0, exec_lo
.LBB15_916:
	s_or_b32 exec_lo, exec_lo, s17
	s_mov_b32 s20, 0
	s_mov_b32 s19, 0
                                        ; implicit-def: $sgpr17
                                        ; implicit-def: $vgpr0_vgpr1
                                        ; implicit-def: $vgpr2
	s_and_saveexec_b32 s18, s0
	s_cbranch_execz .LBB15_926
; %bb.917:
	s_mov_b32 s0, exec_lo
	s_waitcnt vmcnt(0)
	v_cmpx_nlg_f32_e64 0x7f800000, |v3|
	s_cbranch_execz .LBB15_919
; %bb.918:
	v_mov_b32_e32 v0, 0
	v_mov_b32_e32 v1, 1.0
	global_store_dword v0, v1, s[12:13]
.LBB15_919:
	s_or_b32 exec_lo, exec_lo, s0
	v_mov_b32_e32 v0, 0
	s_and_b32 s17, s1, 0xff
	s_cmp_lt_i32 s17, 11
	global_load_dword v2, v0, s[14:15]
	v_mul_lo_u32 v0, v4, s2
	v_ashrrev_i32_e32 v1, 31, v0
	v_add_co_u32 v0, vcc_lo, s8, v0
	v_add_co_ci_u32_e64 v1, null, s9, v1, vcc_lo
	s_waitcnt vmcnt(0)
	v_mul_f32_e32 v4, v3, v2
	v_cmp_eq_f32_e32 vcc_lo, 1.0, v2
	v_cndmask_b32_e32 v2, v4, v3, vcc_lo
	s_cbranch_scc1 .LBB15_929
; %bb.920:
	s_and_b32 s19, 0xffff, s17
	s_mov_b32 s20, -1
	s_cmp_gt_i32 s19, 25
	s_mov_b32 s0, s7
	s_cbranch_scc0 .LBB15_957
; %bb.921:
	s_cmp_gt_i32 s19, 28
	s_mov_b32 s0, s7
	s_cbranch_scc0 .LBB15_941
; %bb.922:
	;; [unrolled: 4-line block ×4, first 2 shown]
	s_cmp_eq_u32 s19, 46
	s_mov_b32 s0, -1
	s_cbranch_scc0 .LBB15_930
; %bb.925:
	v_bfe_u32 v3, v2, 16, 1
	v_cmp_o_f32_e32 vcc_lo, v2, v2
	v_mov_b32_e32 v4, 0x7fc0
	s_mov_b32 s0, 0
	s_mov_b32 s20, 0
	v_add3_u32 v3, v2, v3, 0x7fff
	v_cndmask_b32_sdwa v3, v4, v3, vcc_lo dst_sel:DWORD dst_unused:UNUSED_PAD src0_sel:DWORD src1_sel:WORD_1
	global_store_dword v[0:1], v3, off
	s_branch .LBB15_931
.LBB15_926:
	s_or_b32 exec_lo, exec_lo, s18
	s_and_saveexec_b32 s0, s7
	s_cbranch_execnz .LBB15_999
.LBB15_927:
	s_or_b32 exec_lo, exec_lo, s0
	s_and_saveexec_b32 s0, s20
	s_xor_b32 s0, exec_lo, s0
	s_cbranch_execz .LBB15_1000
.LBB15_928:
	s_waitcnt vmcnt(0)
	v_cmp_neq_f32_e32 vcc_lo, 0, v2
	v_cndmask_b32_e64 v3, 0, 1, vcc_lo
	global_store_byte v[0:1], v3, off
	s_or_b32 exec_lo, exec_lo, s0
	s_and_saveexec_b32 s0, s19
	s_xor_b32 s0, exec_lo, s0
	s_cbranch_execz .LBB15_1038
	s_branch .LBB15_1001
.LBB15_929:
	s_mov_b32 s21, 0
	s_mov_b32 s20, -1
	s_mov_b32 s0, s7
	s_branch .LBB15_998
.LBB15_930:
	s_mov_b32 s20, 0
.LBB15_931:
	s_and_b32 vcc_lo, exec_lo, s20
	s_cbranch_vccz .LBB15_936
; %bb.932:
	s_cmp_eq_u32 s19, 44
	s_mov_b32 s0, -1
	s_cbranch_scc0 .LBB15_936
; %bb.933:
	v_bfe_u32 v4, v2, 23, 8
	v_mov_b32_e32 v3, 0xff
	s_mov_b32 s20, exec_lo
	v_cmpx_ne_u32_e32 0xff, v4
	s_cbranch_execz .LBB15_935
; %bb.934:
	v_and_b32_e32 v3, 0x400000, v2
	v_and_or_b32 v4, 0x3fffff, v2, v4
	v_cmp_ne_u32_e32 vcc_lo, 0, v3
	v_cmp_ne_u32_e64 s0, 0, v4
	v_lshrrev_b32_e32 v3, 23, v2
	s_and_b32 s0, vcc_lo, s0
	v_cndmask_b32_e64 v4, 0, 1, s0
	v_add_nc_u32_e32 v3, v3, v4
.LBB15_935:
	s_or_b32 exec_lo, exec_lo, s20
	s_mov_b32 s0, 0
	global_store_byte v[0:1], v3, off
.LBB15_936:
	s_mov_b32 s20, 0
.LBB15_937:
	s_and_b32 vcc_lo, exec_lo, s20
	s_cbranch_vccz .LBB15_940
; %bb.938:
	s_cmp_eq_u32 s19, 29
	s_mov_b32 s0, -1
	s_cbranch_scc0 .LBB15_940
; %bb.939:
	v_trunc_f32_e32 v3, v2
	s_mov_b32 s0, 0
	s_mov_b32 s20, 0
	v_mul_f32_e32 v4, 0x2f800000, v3
	v_floor_f32_e32 v4, v4
	v_fmamk_f32 v3, v4, 0xcf800000, v3
	v_cvt_u32_f32_e32 v4, v4
	v_cvt_u32_f32_e32 v3, v3
	global_store_dwordx2 v[0:1], v[3:4], off
	s_branch .LBB15_941
.LBB15_940:
	s_mov_b32 s20, 0
.LBB15_941:
	s_and_b32 vcc_lo, exec_lo, s20
	s_cbranch_vccz .LBB15_956
; %bb.942:
	s_cmp_lt_i32 s19, 27
	s_mov_b32 s20, -1
	s_cbranch_scc1 .LBB15_948
; %bb.943:
	v_cvt_u32_f32_e32 v3, v2
	s_cmp_gt_i32 s19, 27
	s_cbranch_scc0 .LBB15_945
; %bb.944:
	s_mov_b32 s20, 0
	global_store_dword v[0:1], v3, off
.LBB15_945:
	s_andn2_b32 vcc_lo, exec_lo, s20
	s_cbranch_vccnz .LBB15_947
; %bb.946:
	global_store_short v[0:1], v3, off
.LBB15_947:
	s_mov_b32 s20, 0
.LBB15_948:
	s_andn2_b32 vcc_lo, exec_lo, s20
	s_cbranch_vccnz .LBB15_956
; %bb.949:
	v_and_b32_e32 v3, 0x7fffffff, v2
	v_mov_b32_e32 v4, 0x80
	s_mov_b32 s20, exec_lo
	v_cmpx_gt_u32_e32 0x43800000, v3
	s_cbranch_execz .LBB15_955
; %bb.950:
	v_cmp_lt_u32_e32 vcc_lo, 0x3bffffff, v3
	s_mov_b32 s21, 0
                                        ; implicit-def: $vgpr3
	s_and_saveexec_b32 s22, vcc_lo
	s_xor_b32 s22, exec_lo, s22
	s_cbranch_execz .LBB15_1053
; %bb.951:
	v_bfe_u32 v3, v2, 20, 1
	s_mov_b32 s21, exec_lo
	v_add3_u32 v3, v2, v3, 0x487ffff
	v_lshrrev_b32_e32 v3, 20, v3
	s_andn2_saveexec_b32 s22, s22
	s_cbranch_execnz .LBB15_1054
.LBB15_952:
	s_or_b32 exec_lo, exec_lo, s22
	v_mov_b32_e32 v4, 0
	s_and_saveexec_b32 s22, s21
.LBB15_953:
	v_lshrrev_b32_e32 v4, 24, v2
	v_and_or_b32 v4, 0x80, v4, v3
.LBB15_954:
	s_or_b32 exec_lo, exec_lo, s22
.LBB15_955:
	s_or_b32 exec_lo, exec_lo, s20
	global_store_byte v[0:1], v4, off
.LBB15_956:
	s_mov_b32 s20, 0
.LBB15_957:
	s_and_b32 vcc_lo, exec_lo, s20
	s_mov_b32 s20, 0
	s_cbranch_vccz .LBB15_997
; %bb.958:
	s_cmp_gt_i32 s19, 22
	s_mov_b32 s21, -1
	s_cbranch_scc0 .LBB15_990
; %bb.959:
	s_cmp_lt_i32 s19, 24
	s_cbranch_scc1 .LBB15_979
; %bb.960:
	s_cmp_gt_i32 s19, 24
	s_cbranch_scc0 .LBB15_968
; %bb.961:
	v_and_b32_e32 v3, 0x7fffffff, v2
	v_mov_b32_e32 v4, 0x80
	s_mov_b32 s21, exec_lo
	v_cmpx_gt_u32_e32 0x47800000, v3
	s_cbranch_execz .LBB15_967
; %bb.962:
	v_cmp_lt_u32_e32 vcc_lo, 0x37ffffff, v3
	s_mov_b32 s22, 0
                                        ; implicit-def: $vgpr3
	s_and_saveexec_b32 s23, vcc_lo
	s_xor_b32 s23, exec_lo, s23
	s_cbranch_execz .LBB15_1181
; %bb.963:
	v_bfe_u32 v3, v2, 21, 1
	s_mov_b32 s22, exec_lo
	v_add3_u32 v3, v2, v3, 0x88fffff
	v_lshrrev_b32_e32 v3, 21, v3
	s_andn2_saveexec_b32 s23, s23
	s_cbranch_execnz .LBB15_1182
.LBB15_964:
	s_or_b32 exec_lo, exec_lo, s23
	v_mov_b32_e32 v4, 0
	s_and_saveexec_b32 s23, s22
.LBB15_965:
	v_lshrrev_b32_e32 v4, 24, v2
	v_and_or_b32 v4, 0x80, v4, v3
.LBB15_966:
	s_or_b32 exec_lo, exec_lo, s23
.LBB15_967:
	s_or_b32 exec_lo, exec_lo, s21
	s_mov_b32 s21, 0
	global_store_byte v[0:1], v4, off
.LBB15_968:
	s_and_b32 vcc_lo, exec_lo, s21
	s_cbranch_vccz .LBB15_978
; %bb.969:
	v_and_b32_e32 v4, 0x7fffffff, v2
	s_mov_b32 s21, exec_lo
                                        ; implicit-def: $vgpr3
	v_cmpx_gt_u32_e32 0x43f00000, v4
	s_xor_b32 s21, exec_lo, s21
	s_cbranch_execz .LBB15_975
; %bb.970:
	s_mov_b32 s22, exec_lo
                                        ; implicit-def: $vgpr3
	v_cmpx_lt_u32_e32 0x3c7fffff, v4
	s_xor_b32 s22, exec_lo, s22
; %bb.971:
	v_bfe_u32 v3, v2, 20, 1
	v_add3_u32 v3, v2, v3, 0x407ffff
	v_and_b32_e32 v4, 0xff00000, v3
	v_lshrrev_b32_e32 v3, 20, v3
	v_cmp_ne_u32_e32 vcc_lo, 0x7f00000, v4
	v_cndmask_b32_e32 v3, 0x7e, v3, vcc_lo
; %bb.972:
	s_andn2_saveexec_b32 s22, s22
; %bb.973:
	v_add_f32_e64 v3, 0x46800000, |v2|
; %bb.974:
	s_or_b32 exec_lo, exec_lo, s22
                                        ; implicit-def: $vgpr4
.LBB15_975:
	s_andn2_saveexec_b32 s21, s21
; %bb.976:
	v_mov_b32_e32 v3, 0x7f
	v_cmp_lt_u32_e32 vcc_lo, 0x7f800000, v4
	v_cndmask_b32_e32 v3, 0x7e, v3, vcc_lo
; %bb.977:
	s_or_b32 exec_lo, exec_lo, s21
	v_lshrrev_b32_e32 v4, 24, v2
	v_and_or_b32 v3, 0x80, v4, v3
	global_store_byte v[0:1], v3, off
.LBB15_978:
	s_mov_b32 s21, 0
.LBB15_979:
	s_andn2_b32 vcc_lo, exec_lo, s21
	s_cbranch_vccnz .LBB15_989
; %bb.980:
	v_and_b32_e32 v4, 0x7fffffff, v2
	s_mov_b32 s21, exec_lo
                                        ; implicit-def: $vgpr3
	v_cmpx_gt_u32_e32 0x47800000, v4
	s_xor_b32 s21, exec_lo, s21
	s_cbranch_execz .LBB15_986
; %bb.981:
	s_mov_b32 s22, exec_lo
                                        ; implicit-def: $vgpr3
	v_cmpx_lt_u32_e32 0x387fffff, v4
	s_xor_b32 s22, exec_lo, s22
; %bb.982:
	v_bfe_u32 v3, v2, 21, 1
	v_add3_u32 v3, v2, v3, 0x80fffff
	v_lshrrev_b32_e32 v3, 21, v3
; %bb.983:
	s_andn2_saveexec_b32 s22, s22
; %bb.984:
	v_add_f32_e64 v3, 0x43000000, |v2|
; %bb.985:
	s_or_b32 exec_lo, exec_lo, s22
                                        ; implicit-def: $vgpr4
.LBB15_986:
	s_andn2_saveexec_b32 s21, s21
; %bb.987:
	v_mov_b32_e32 v3, 0x7f
	v_cmp_lt_u32_e32 vcc_lo, 0x7f800000, v4
	v_cndmask_b32_e32 v3, 0x7c, v3, vcc_lo
; %bb.988:
	s_or_b32 exec_lo, exec_lo, s21
	v_lshrrev_b32_e32 v4, 24, v2
	v_and_or_b32 v3, 0x80, v4, v3
	global_store_byte v[0:1], v3, off
.LBB15_989:
	s_mov_b32 s21, 0
.LBB15_990:
	s_andn2_b32 vcc_lo, exec_lo, s21
	s_mov_b32 s21, 0
	s_cbranch_vccnz .LBB15_998
; %bb.991:
	s_cmp_gt_i32 s19, 14
	s_mov_b32 s21, -1
	s_cbranch_scc0 .LBB15_995
; %bb.992:
	s_cmp_eq_u32 s19, 15
	s_mov_b32 s0, -1
	s_cbranch_scc0 .LBB15_994
; %bb.993:
	v_bfe_u32 v3, v2, 16, 1
	v_cmp_o_f32_e32 vcc_lo, v2, v2
	v_mov_b32_e32 v4, 0x7fc0
	s_mov_b32 s0, 0
	v_add3_u32 v3, v2, v3, 0x7fff
	v_cndmask_b32_sdwa v3, v4, v3, vcc_lo dst_sel:DWORD dst_unused:UNUSED_PAD src0_sel:DWORD src1_sel:WORD_1
	global_store_short v[0:1], v3, off
.LBB15_994:
	s_mov_b32 s21, 0
.LBB15_995:
	s_and_b32 vcc_lo, exec_lo, s21
	s_mov_b32 s21, 0
	s_cbranch_vccz .LBB15_998
; %bb.996:
	s_cmp_lg_u32 s19, 11
	s_mov_b32 s21, -1
	s_cselect_b32 s19, -1, 0
	s_andn2_b32 s0, s0, exec_lo
	s_and_b32 s19, s19, exec_lo
	s_or_b32 s0, s0, s19
	s_branch .LBB15_998
.LBB15_997:
	s_mov_b32 s21, 0
.LBB15_998:
	s_andn2_b32 s7, s7, exec_lo
	s_and_b32 s0, s0, exec_lo
	s_and_b32 s19, s20, exec_lo
	;; [unrolled: 1-line block ×3, first 2 shown]
	s_or_b32 s7, s7, s0
	s_or_b32 exec_lo, exec_lo, s18
	s_and_saveexec_b32 s0, s7
	s_cbranch_execz .LBB15_927
.LBB15_999:
	s_or_b32 s16, s16, exec_lo
	s_andn2_b32 s20, s20, exec_lo
	s_trap 2
	s_or_b32 exec_lo, exec_lo, s0
	s_and_saveexec_b32 s0, s20
	s_xor_b32 s0, exec_lo, s0
	s_cbranch_execnz .LBB15_928
.LBB15_1000:
	s_or_b32 exec_lo, exec_lo, s0
	s_and_saveexec_b32 s0, s19
	s_xor_b32 s0, exec_lo, s0
	s_cbranch_execz .LBB15_1038
.LBB15_1001:
	s_sext_i32_i16 s18, s17
	s_mov_b32 s7, -1
	s_cmp_lt_i32 s18, 5
	s_cbranch_scc1 .LBB15_1022
; %bb.1002:
	s_cmp_lt_i32 s18, 8
	s_cbranch_scc1 .LBB15_1012
; %bb.1003:
	;; [unrolled: 3-line block ×3, first 2 shown]
	s_cmp_gt_i32 s18, 9
	s_cbranch_scc0 .LBB15_1006
; %bb.1005:
	s_waitcnt vmcnt(0)
	v_cvt_f64_f32_e32 v[3:4], v2
	v_mov_b32_e32 v5, 0
	s_mov_b32 s7, 0
	v_mov_b32_e32 v6, v5
	global_store_dwordx4 v[0:1], v[3:6], off
.LBB15_1006:
	s_andn2_b32 vcc_lo, exec_lo, s7
	s_cbranch_vccnz .LBB15_1008
; %bb.1007:
	s_waitcnt vmcnt(0)
	v_mov_b32_e32 v3, 0
	global_store_dwordx2 v[0:1], v[2:3], off
.LBB15_1008:
	s_mov_b32 s7, 0
.LBB15_1009:
	s_andn2_b32 vcc_lo, exec_lo, s7
	s_cbranch_vccnz .LBB15_1011
; %bb.1010:
	s_waitcnt vmcnt(0)
	v_cvt_f16_f32_e32 v3, v2
	v_and_b32_e32 v3, 0xffff, v3
	global_store_dword v[0:1], v3, off
.LBB15_1011:
	s_mov_b32 s7, 0
.LBB15_1012:
	s_andn2_b32 vcc_lo, exec_lo, s7
	s_cbranch_vccnz .LBB15_1021
; %bb.1013:
	s_sext_i32_i16 s18, s17
	s_mov_b32 s7, -1
	s_cmp_lt_i32 s18, 6
	s_cbranch_scc1 .LBB15_1019
; %bb.1014:
	s_cmp_gt_i32 s18, 6
	s_cbranch_scc0 .LBB15_1016
; %bb.1015:
	s_waitcnt vmcnt(0)
	v_cvt_f64_f32_e32 v[3:4], v2
	s_mov_b32 s7, 0
	global_store_dwordx2 v[0:1], v[3:4], off
.LBB15_1016:
	s_andn2_b32 vcc_lo, exec_lo, s7
	s_cbranch_vccnz .LBB15_1018
; %bb.1017:
	s_waitcnt vmcnt(0)
	global_store_dword v[0:1], v2, off
.LBB15_1018:
	s_mov_b32 s7, 0
.LBB15_1019:
	s_andn2_b32 vcc_lo, exec_lo, s7
	s_cbranch_vccnz .LBB15_1021
; %bb.1020:
	s_waitcnt vmcnt(0)
	v_cvt_f16_f32_e32 v3, v2
	global_store_short v[0:1], v3, off
.LBB15_1021:
	s_mov_b32 s7, 0
.LBB15_1022:
	s_andn2_b32 vcc_lo, exec_lo, s7
	s_cbranch_vccnz .LBB15_1038
; %bb.1023:
	s_sext_i32_i16 s18, s17
	s_mov_b32 s7, -1
	s_cmp_lt_i32 s18, 2
	s_cbranch_scc1 .LBB15_1033
; %bb.1024:
	s_cmp_lt_i32 s18, 3
	s_cbranch_scc1 .LBB15_1030
; %bb.1025:
	s_cmp_gt_i32 s18, 3
	s_cbranch_scc0 .LBB15_1027
; %bb.1026:
	s_waitcnt vmcnt(0)
	v_trunc_f32_e32 v3, v2
	s_mov_b32 s7, 0
	v_mul_f32_e64 v4, 0x2f800000, |v3|
	v_ashrrev_i32_e32 v6, 31, v3
	v_floor_f32_e32 v4, v4
	v_fma_f32 v5, 0xcf800000, v4, |v3|
	v_cvt_u32_f32_e32 v4, v4
	v_cvt_u32_f32_e32 v3, v5
	v_xor_b32_e32 v4, v4, v6
	v_xor_b32_e32 v3, v3, v6
	v_sub_co_u32 v3, vcc_lo, v3, v6
	v_sub_co_ci_u32_e64 v4, null, v4, v6, vcc_lo
	global_store_dwordx2 v[0:1], v[3:4], off
.LBB15_1027:
	s_andn2_b32 vcc_lo, exec_lo, s7
	s_cbranch_vccnz .LBB15_1029
; %bb.1028:
	s_waitcnt vmcnt(0)
	v_cvt_i32_f32_e32 v3, v2
	global_store_dword v[0:1], v3, off
.LBB15_1029:
	s_mov_b32 s7, 0
.LBB15_1030:
	s_andn2_b32 vcc_lo, exec_lo, s7
	s_cbranch_vccnz .LBB15_1032
; %bb.1031:
	s_waitcnt vmcnt(0)
	v_cvt_i32_f32_e32 v3, v2
	global_store_short v[0:1], v3, off
.LBB15_1032:
	s_mov_b32 s7, 0
.LBB15_1033:
	s_andn2_b32 vcc_lo, exec_lo, s7
	s_cbranch_vccnz .LBB15_1038
; %bb.1034:
	s_sext_i32_i16 s7, s17
	s_cmp_gt_i32 s7, 0
	s_mov_b32 s7, -1
	s_cbranch_scc0 .LBB15_1036
; %bb.1035:
	s_waitcnt vmcnt(0)
	v_cvt_i32_f32_e32 v3, v2
	s_mov_b32 s7, 0
	global_store_byte v[0:1], v3, off
.LBB15_1036:
	s_andn2_b32 vcc_lo, exec_lo, s7
	s_cbranch_vccnz .LBB15_1038
; %bb.1037:
	s_waitcnt vmcnt(0)
	v_trunc_f32_e32 v2, v2
	v_mul_f32_e64 v3, 0x2f800000, |v2|
	v_floor_f32_e32 v3, v3
	v_fma_f32 v3, 0xcf800000, v3, |v2|
	v_ashrrev_i32_e32 v2, 31, v2
	v_cvt_u32_f32_e32 v3, v3
	v_xor_b32_e32 v3, v3, v2
	v_sub_nc_u32_e32 v2, v3, v2
	global_store_byte v[0:1], v2, off
.LBB15_1038:
	s_or_b32 exec_lo, exec_lo, s0
	s_and_b32 s7, s16, exec_lo
                                        ; implicit-def: $vgpr4
.LBB15_1039:
	s_or_saveexec_b32 s6, s6
	s_mov_b32 s0, 0
                                        ; implicit-def: $sgpr16
                                        ; implicit-def: $vgpr0_vgpr1
                                        ; implicit-def: $vgpr2
	s_xor_b32 exec_lo, exec_lo, s6
	s_cbranch_execz .LBB15_1999
; %bb.1040:
	v_mul_lo_u32 v5, s3, v4
	s_and_b32 s0, 0xffff, s5
	s_cmp_lt_i32 s0, 11
	v_ashrrev_i32_e32 v1, 31, v5
	v_add_co_u32 v0, vcc_lo, s10, v5
	v_add_co_ci_u32_e64 v1, null, s11, v1, vcc_lo
	s_cbranch_scc1 .LBB15_1047
; %bb.1041:
	s_cmp_gt_i32 s0, 25
	s_mov_b32 s5, 0
	s_cbranch_scc0 .LBB15_1049
; %bb.1042:
	s_cmp_gt_i32 s0, 28
	s_cbranch_scc0 .LBB15_1050
; %bb.1043:
	s_cmp_gt_i32 s0, 43
	;; [unrolled: 3-line block ×3, first 2 shown]
	s_cbranch_scc0 .LBB15_1052
; %bb.1045:
	s_cmp_eq_u32 s0, 46
	s_mov_b32 s17, 0
	s_cbranch_scc0 .LBB15_1055
; %bb.1046:
	global_load_dword v2, v[0:1], off
	s_mov_b32 s16, -1
	s_waitcnt vmcnt(0)
	v_lshlrev_b32_e32 v2, 16, v2
	s_branch .LBB15_1057
.LBB15_1047:
	s_mov_b32 s16, 0
	s_mov_b32 s4, s7
                                        ; implicit-def: $vgpr2
	s_cbranch_execnz .LBB15_1120
.LBB15_1048:
	s_andn2_b32 vcc_lo, exec_lo, s16
	s_cbranch_vccz .LBB15_1165
	s_branch .LBB15_1997
.LBB15_1049:
	s_mov_b32 s16, 0
                                        ; implicit-def: $vgpr2
	s_cbranch_execnz .LBB15_1085
	s_branch .LBB15_1116
.LBB15_1050:
	s_mov_b32 s17, -1
	s_mov_b32 s16, 0
                                        ; implicit-def: $vgpr2
	s_branch .LBB15_1066
.LBB15_1051:
	s_mov_b32 s16, 0
                                        ; implicit-def: $vgpr2
	s_cbranch_execnz .LBB15_1062
	s_branch .LBB15_1065
.LBB15_1052:
	s_mov_b32 s17, -1
	s_branch .LBB15_1056
.LBB15_1053:
	s_andn2_saveexec_b32 s22, s22
	s_cbranch_execz .LBB15_952
.LBB15_1054:
	v_add_f32_e64 v3, 0x46000000, |v2|
	s_andn2_b32 s21, s21, exec_lo
	v_and_b32_e32 v3, 0xff, v3
	v_cmp_ne_u32_e32 vcc_lo, 0, v3
	s_and_b32 s23, vcc_lo, exec_lo
	s_or_b32 s21, s21, s23
	s_or_b32 exec_lo, exec_lo, s22
	v_mov_b32_e32 v4, 0
	s_and_saveexec_b32 s22, s21
	s_cbranch_execnz .LBB15_953
	s_branch .LBB15_954
.LBB15_1055:
	s_mov_b32 s4, -1
.LBB15_1056:
	s_mov_b32 s16, 0
                                        ; implicit-def: $vgpr2
.LBB15_1057:
	s_and_b32 vcc_lo, exec_lo, s17
	s_cbranch_vccz .LBB15_1060
; %bb.1058:
	s_cmp_eq_u32 s0, 44
	s_cbranch_scc0 .LBB15_1061
; %bb.1059:
	global_load_ubyte v2, v[0:1], off
	s_mov_b32 s4, 0
	s_mov_b32 s16, -1
	s_waitcnt vmcnt(0)
	v_lshlrev_b32_e32 v3, 23, v2
	v_cmp_ne_u32_e32 vcc_lo, 0xff, v2
	v_cndmask_b32_e32 v3, 0x7f800001, v3, vcc_lo
	v_cmp_ne_u32_e32 vcc_lo, 0, v2
	v_cndmask_b32_e32 v2, 0x400000, v3, vcc_lo
.LBB15_1060:
	s_branch .LBB15_1065
.LBB15_1061:
	s_mov_b32 s4, -1
                                        ; implicit-def: $vgpr2
	s_branch .LBB15_1065
.LBB15_1062:
	s_cmp_eq_u32 s0, 29
	s_cbranch_scc0 .LBB15_1064
; %bb.1063:
	global_load_dwordx2 v[2:3], v[0:1], off
	s_mov_b32 s4, 0
	s_mov_b32 s16, -1
	s_mov_b32 s17, 0
	s_waitcnt vmcnt(0)
	v_ffbh_u32_e32 v6, v3
	v_min_u32_e32 v6, 32, v6
	v_lshlrev_b64 v[2:3], v6, v[2:3]
	v_min_u32_e32 v2, 1, v2
	v_or_b32_e32 v2, v3, v2
	v_sub_nc_u32_e32 v3, 32, v6
	v_cvt_f32_u32_e32 v2, v2
	v_ldexp_f32 v2, v2, v3
	s_branch .LBB15_1066
.LBB15_1064:
	s_mov_b32 s4, -1
                                        ; implicit-def: $vgpr2
.LBB15_1065:
	s_mov_b32 s17, 0
.LBB15_1066:
	s_and_b32 vcc_lo, exec_lo, s17
	s_cbranch_vccz .LBB15_1084
; %bb.1067:
	s_cmp_lt_i32 s0, 27
	s_cbranch_scc1 .LBB15_1070
; %bb.1068:
	s_cmp_gt_i32 s0, 27
	s_cbranch_scc0 .LBB15_1071
; %bb.1069:
	global_load_dword v2, v[0:1], off
	s_mov_b32 s16, 0
	s_waitcnt vmcnt(0)
	v_cvt_f32_u32_e32 v2, v2
	s_branch .LBB15_1072
.LBB15_1070:
	s_mov_b32 s16, -1
                                        ; implicit-def: $vgpr2
	s_branch .LBB15_1075
.LBB15_1071:
	s_mov_b32 s16, -1
                                        ; implicit-def: $vgpr2
.LBB15_1072:
	s_andn2_b32 vcc_lo, exec_lo, s16
	s_cbranch_vccnz .LBB15_1074
; %bb.1073:
	global_load_ushort v2, v[0:1], off
	s_waitcnt vmcnt(0)
	v_cvt_f32_u32_e32 v2, v2
.LBB15_1074:
	s_mov_b32 s16, 0
.LBB15_1075:
	s_andn2_b32 vcc_lo, exec_lo, s16
	s_cbranch_vccnz .LBB15_1083
; %bb.1076:
	global_load_ubyte v3, v[0:1], off
	s_mov_b32 s16, 0
	s_mov_b32 s17, exec_lo
	s_waitcnt vmcnt(0)
	v_cmpx_lt_i16_e32 0x7f, v3
	s_xor_b32 s17, exec_lo, s17
	s_cbranch_execz .LBB15_1096
; %bb.1077:
	s_mov_b32 s16, -1
	s_mov_b32 s18, exec_lo
	v_cmpx_eq_u16_e32 0x80, v3
; %bb.1078:
	s_xor_b32 s16, exec_lo, -1
; %bb.1079:
	s_or_b32 exec_lo, exec_lo, s18
	s_and_b32 s16, s16, exec_lo
	s_or_saveexec_b32 s17, s17
	v_mov_b32_e32 v2, 0x7f800001
	s_xor_b32 exec_lo, exec_lo, s17
	s_cbranch_execnz .LBB15_1097
.LBB15_1080:
	s_or_b32 exec_lo, exec_lo, s17
	s_and_saveexec_b32 s17, s16
	s_cbranch_execz .LBB15_1082
.LBB15_1081:
	v_and_b32_e32 v2, 0xffff, v3
	v_lshlrev_b32_e32 v3, 24, v3
	v_and_b32_e32 v6, 7, v2
	v_bfe_u32 v9, v2, 3, 4
	v_and_b32_e32 v3, 0x80000000, v3
	v_ffbh_u32_e32 v7, v6
	v_cmp_eq_u32_e32 vcc_lo, 0, v9
	v_min_u32_e32 v7, 32, v7
	v_subrev_nc_u32_e32 v8, 28, v7
	v_sub_nc_u32_e32 v7, 29, v7
	v_lshlrev_b32_e32 v2, v8, v2
	v_cndmask_b32_e32 v7, v9, v7, vcc_lo
	v_and_b32_e32 v2, 7, v2
	v_cndmask_b32_e32 v2, v6, v2, vcc_lo
	v_lshl_add_u32 v6, v7, 23, 0x3b800000
	v_lshlrev_b32_e32 v2, 20, v2
	v_or3_b32 v2, v3, v6, v2
.LBB15_1082:
	s_or_b32 exec_lo, exec_lo, s17
.LBB15_1083:
	s_mov_b32 s16, -1
.LBB15_1084:
	s_branch .LBB15_1116
.LBB15_1085:
	s_cmp_gt_i32 s0, 22
	s_cbranch_scc0 .LBB15_1095
; %bb.1086:
	s_cmp_lt_i32 s0, 24
	s_cbranch_scc1 .LBB15_1098
; %bb.1087:
	s_cmp_gt_i32 s0, 24
	s_cbranch_scc0 .LBB15_1099
; %bb.1088:
	global_load_ubyte v3, v[0:1], off
	s_mov_b32 s16, exec_lo
	s_waitcnt vmcnt(0)
	v_cmpx_lt_i16_e32 0x7f, v3
	s_xor_b32 s16, exec_lo, s16
	s_cbranch_execz .LBB15_1110
; %bb.1089:
	s_mov_b32 s5, -1
	s_mov_b32 s17, exec_lo
	v_cmpx_eq_u16_e32 0x80, v3
; %bb.1090:
	s_xor_b32 s5, exec_lo, -1
; %bb.1091:
	s_or_b32 exec_lo, exec_lo, s17
	s_and_b32 s5, s5, exec_lo
	s_or_saveexec_b32 s16, s16
	v_mov_b32_e32 v2, 0x7f800001
	s_xor_b32 exec_lo, exec_lo, s16
	s_cbranch_execnz .LBB15_1111
.LBB15_1092:
	s_or_b32 exec_lo, exec_lo, s16
	s_and_saveexec_b32 s16, s5
	s_cbranch_execz .LBB15_1094
.LBB15_1093:
	v_and_b32_e32 v2, 0xffff, v3
	v_lshlrev_b32_e32 v3, 24, v3
	v_and_b32_e32 v6, 3, v2
	v_bfe_u32 v9, v2, 2, 5
	v_and_b32_e32 v3, 0x80000000, v3
	v_ffbh_u32_e32 v7, v6
	v_cmp_eq_u32_e32 vcc_lo, 0, v9
	v_min_u32_e32 v7, 32, v7
	v_subrev_nc_u32_e32 v8, 29, v7
	v_sub_nc_u32_e32 v7, 30, v7
	v_lshlrev_b32_e32 v2, v8, v2
	v_cndmask_b32_e32 v7, v9, v7, vcc_lo
	v_and_b32_e32 v2, 3, v2
	v_cndmask_b32_e32 v2, v6, v2, vcc_lo
	v_lshl_add_u32 v6, v7, 23, 0x37800000
	v_lshlrev_b32_e32 v2, 21, v2
	v_or3_b32 v2, v3, v6, v2
.LBB15_1094:
	s_or_b32 exec_lo, exec_lo, s16
	s_mov_b32 s5, 0
	s_branch .LBB15_1100
.LBB15_1095:
                                        ; implicit-def: $vgpr2
	s_mov_b32 s5, 0
	s_branch .LBB15_1106
.LBB15_1096:
	s_or_saveexec_b32 s17, s17
	v_mov_b32_e32 v2, 0x7f800001
	s_xor_b32 exec_lo, exec_lo, s17
	s_cbranch_execz .LBB15_1080
.LBB15_1097:
	v_cmp_ne_u16_e32 vcc_lo, 0, v3
	v_mov_b32_e32 v2, 0
	s_andn2_b32 s16, s16, exec_lo
	s_and_b32 s18, vcc_lo, exec_lo
	s_or_b32 s16, s16, s18
	s_or_b32 exec_lo, exec_lo, s17
	s_and_saveexec_b32 s17, s16
	s_cbranch_execnz .LBB15_1081
	s_branch .LBB15_1082
.LBB15_1098:
	s_mov_b32 s5, -1
                                        ; implicit-def: $vgpr2
	s_branch .LBB15_1103
.LBB15_1099:
	s_mov_b32 s5, -1
                                        ; implicit-def: $vgpr2
.LBB15_1100:
	s_and_b32 vcc_lo, exec_lo, s5
	s_cbranch_vccz .LBB15_1102
; %bb.1101:
	global_load_ubyte v2, v[0:1], off
	s_waitcnt vmcnt(0)
	v_lshlrev_b32_e32 v2, 24, v2
	v_and_b32_e32 v3, 0x7f000000, v2
	v_ffbh_u32_e32 v6, v3
	v_add_nc_u32_e32 v8, 0x1000000, v3
	v_cmp_ne_u32_e32 vcc_lo, 0, v3
	v_min_u32_e32 v6, 32, v6
	v_sub_nc_u32_e64 v6, v6, 4 clamp
	v_lshlrev_b32_e32 v7, v6, v3
	v_lshlrev_b32_e32 v6, 23, v6
	v_lshrrev_b32_e32 v7, 4, v7
	v_sub_nc_u32_e32 v6, v7, v6
	v_ashrrev_i32_e32 v7, 8, v8
	v_add_nc_u32_e32 v6, 0x3c000000, v6
	v_and_or_b32 v6, 0x7f800000, v7, v6
	v_cndmask_b32_e32 v3, 0, v6, vcc_lo
	v_and_or_b32 v2, 0x80000000, v2, v3
.LBB15_1102:
	s_mov_b32 s5, 0
.LBB15_1103:
	s_andn2_b32 vcc_lo, exec_lo, s5
	s_cbranch_vccnz .LBB15_1105
; %bb.1104:
	global_load_ubyte v2, v[0:1], off
	s_waitcnt vmcnt(0)
	v_lshlrev_b32_e32 v3, 25, v2
	v_lshlrev_b16 v2, 8, v2
	v_lshrrev_b32_e32 v6, 4, v3
	v_and_or_b32 v7, 0x7f00, v2, 0.5
	v_cmp_gt_u32_e32 vcc_lo, 0x8000000, v3
	v_bfe_i32 v2, v2, 0, 16
	v_or_b32_e32 v6, 0x70000000, v6
	v_add_f32_e32 v7, -0.5, v7
	v_mul_f32_e32 v6, 0x7800000, v6
	v_cndmask_b32_e32 v3, v6, v7, vcc_lo
	v_and_or_b32 v2, 0x80000000, v2, v3
.LBB15_1105:
	s_mov_b32 s16, -1
	s_mov_b32 s5, 0
	s_cbranch_execnz .LBB15_1116
.LBB15_1106:
	s_cmp_gt_i32 s0, 14
	s_cbranch_scc0 .LBB15_1109
; %bb.1107:
	s_cmp_eq_u32 s0, 15
	s_cbranch_scc0 .LBB15_1112
; %bb.1108:
	global_load_ushort v2, v[0:1], off
	s_mov_b32 s4, 0
	s_mov_b32 s16, -1
	s_waitcnt vmcnt(0)
	v_lshlrev_b32_e32 v2, 16, v2
	s_branch .LBB15_1114
.LBB15_1109:
	s_mov_b32 s5, -1
	s_branch .LBB15_1113
.LBB15_1110:
	s_or_saveexec_b32 s16, s16
	v_mov_b32_e32 v2, 0x7f800001
	s_xor_b32 exec_lo, exec_lo, s16
	s_cbranch_execz .LBB15_1092
.LBB15_1111:
	v_cmp_ne_u16_e32 vcc_lo, 0, v3
	v_mov_b32_e32 v2, 0
	s_andn2_b32 s5, s5, exec_lo
	s_and_b32 s17, vcc_lo, exec_lo
	s_or_b32 s5, s5, s17
	s_or_b32 exec_lo, exec_lo, s16
	s_and_saveexec_b32 s16, s5
	s_cbranch_execnz .LBB15_1093
	s_branch .LBB15_1094
.LBB15_1112:
	s_mov_b32 s4, -1
.LBB15_1113:
                                        ; implicit-def: $vgpr2
.LBB15_1114:
	s_and_b32 vcc_lo, exec_lo, s5
	s_mov_b32 s5, 0
	s_cbranch_vccz .LBB15_1116
; %bb.1115:
	s_cmp_lg_u32 s0, 11
	s_mov_b32 s5, -1
	s_cselect_b32 s4, -1, 0
.LBB15_1116:
	s_and_b32 vcc_lo, exec_lo, s4
	s_mov_b32 s4, s7
	s_cbranch_vccnz .LBB15_1179
; %bb.1117:
	s_andn2_b32 vcc_lo, exec_lo, s5
	s_cbranch_vccnz .LBB15_1119
.LBB15_1118:
	global_load_ubyte v2, v[0:1], off
	s_mov_b32 s16, -1
	s_waitcnt vmcnt(0)
	v_cmp_ne_u16_e32 vcc_lo, 0, v2
	v_cndmask_b32_e64 v2, 0, 1.0, vcc_lo
.LBB15_1119:
	s_branch .LBB15_1048
.LBB15_1120:
	s_cmp_lt_i32 s0, 5
	s_cbranch_scc1 .LBB15_1125
; %bb.1121:
	s_cmp_lt_i32 s0, 8
	s_cbranch_scc1 .LBB15_1126
; %bb.1122:
	;; [unrolled: 3-line block ×3, first 2 shown]
	s_cmp_gt_i32 s0, 9
	s_cbranch_scc0 .LBB15_1128
; %bb.1124:
	global_load_dwordx2 v[2:3], v[0:1], off
	s_mov_b32 s5, 0
	s_waitcnt vmcnt(0)
	v_cvt_f32_f64_e32 v2, v[2:3]
	s_branch .LBB15_1129
.LBB15_1125:
                                        ; implicit-def: $vgpr2
	s_branch .LBB15_1146
.LBB15_1126:
                                        ; implicit-def: $vgpr2
	s_branch .LBB15_1135
.LBB15_1127:
	s_mov_b32 s5, -1
                                        ; implicit-def: $vgpr2
	s_branch .LBB15_1132
.LBB15_1128:
	s_mov_b32 s5, -1
                                        ; implicit-def: $vgpr2
.LBB15_1129:
	s_andn2_b32 vcc_lo, exec_lo, s5
	s_cbranch_vccnz .LBB15_1131
; %bb.1130:
	global_load_dword v2, v[0:1], off
.LBB15_1131:
	s_mov_b32 s5, 0
.LBB15_1132:
	s_andn2_b32 vcc_lo, exec_lo, s5
	s_cbranch_vccnz .LBB15_1134
; %bb.1133:
	global_load_dword v2, v[0:1], off
	s_waitcnt vmcnt(0)
	v_cvt_f32_f16_e32 v2, v2
.LBB15_1134:
	s_cbranch_execnz .LBB15_1145
.LBB15_1135:
	s_cmp_lt_i32 s0, 6
	s_cbranch_scc1 .LBB15_1138
; %bb.1136:
	s_cmp_gt_i32 s0, 6
	s_cbranch_scc0 .LBB15_1139
; %bb.1137:
	global_load_dwordx2 v[2:3], v[0:1], off
	s_mov_b32 s5, 0
	s_waitcnt vmcnt(0)
	v_cvt_f32_f64_e32 v2, v[2:3]
	s_branch .LBB15_1140
.LBB15_1138:
	s_mov_b32 s5, -1
                                        ; implicit-def: $vgpr2
	s_branch .LBB15_1143
.LBB15_1139:
	s_mov_b32 s5, -1
                                        ; implicit-def: $vgpr2
.LBB15_1140:
	s_andn2_b32 vcc_lo, exec_lo, s5
	s_cbranch_vccnz .LBB15_1142
; %bb.1141:
	global_load_dword v2, v[0:1], off
.LBB15_1142:
	s_mov_b32 s5, 0
.LBB15_1143:
	s_andn2_b32 vcc_lo, exec_lo, s5
	s_cbranch_vccnz .LBB15_1145
; %bb.1144:
	global_load_ushort v2, v[0:1], off
	s_waitcnt vmcnt(0)
	v_cvt_f32_f16_e32 v2, v2
.LBB15_1145:
	s_cbranch_execnz .LBB15_1164
.LBB15_1146:
	s_cmp_lt_i32 s0, 2
	s_cbranch_scc1 .LBB15_1150
; %bb.1147:
	s_cmp_lt_i32 s0, 3
	s_cbranch_scc1 .LBB15_1151
; %bb.1148:
	s_cmp_gt_i32 s0, 3
	s_cbranch_scc0 .LBB15_1152
; %bb.1149:
	global_load_dwordx2 v[2:3], v[0:1], off
	s_mov_b32 s5, 0
	s_waitcnt vmcnt(0)
	v_xor_b32_e32 v6, v2, v3
	v_ffbh_i32_e32 v7, v3
	v_ashrrev_i32_e32 v6, 31, v6
	v_add_nc_u32_e32 v7, -1, v7
	v_add_nc_u32_e32 v6, 32, v6
	v_min_u32_e32 v6, v7, v6
	v_lshlrev_b64 v[2:3], v6, v[2:3]
	v_min_u32_e32 v2, 1, v2
	v_or_b32_e32 v2, v3, v2
	v_sub_nc_u32_e32 v3, 32, v6
	v_cvt_f32_i32_e32 v2, v2
	v_ldexp_f32 v2, v2, v3
	s_branch .LBB15_1153
.LBB15_1150:
                                        ; implicit-def: $vgpr2
	s_branch .LBB15_1159
.LBB15_1151:
	s_mov_b32 s5, -1
                                        ; implicit-def: $vgpr2
	s_branch .LBB15_1156
.LBB15_1152:
	s_mov_b32 s5, -1
                                        ; implicit-def: $vgpr2
.LBB15_1153:
	s_andn2_b32 vcc_lo, exec_lo, s5
	s_cbranch_vccnz .LBB15_1155
; %bb.1154:
	global_load_dword v2, v[0:1], off
	s_waitcnt vmcnt(0)
	v_cvt_f32_i32_e32 v2, v2
.LBB15_1155:
	s_mov_b32 s5, 0
.LBB15_1156:
	s_andn2_b32 vcc_lo, exec_lo, s5
	s_cbranch_vccnz .LBB15_1158
; %bb.1157:
	global_load_sshort v2, v[0:1], off
	s_waitcnt vmcnt(0)
	v_cvt_f32_i32_e32 v2, v2
.LBB15_1158:
	s_cbranch_execnz .LBB15_1164
.LBB15_1159:
	s_cmp_gt_i32 s0, 0
	s_mov_b32 s5, 0
	s_cbranch_scc0 .LBB15_1161
; %bb.1160:
	global_load_sbyte v2, v[0:1], off
	s_waitcnt vmcnt(0)
	v_cvt_f32_i32_e32 v2, v2
	s_branch .LBB15_1162
.LBB15_1161:
	s_mov_b32 s5, -1
                                        ; implicit-def: $vgpr2
.LBB15_1162:
	s_andn2_b32 vcc_lo, exec_lo, s5
	s_cbranch_vccnz .LBB15_1164
; %bb.1163:
	global_load_ubyte v0, v[0:1], off
	s_waitcnt vmcnt(0)
	v_cvt_f32_ubyte0_e32 v2, v0
.LBB15_1164:
.LBB15_1165:
	s_mov_b32 s5, exec_lo
	s_waitcnt vmcnt(0)
	v_cmpx_nlg_f32_e64 0x7f800000, |v2|
	s_cbranch_execz .LBB15_1167
; %bb.1166:
	v_mov_b32_e32 v0, 0
	v_mov_b32_e32 v1, 1.0
	global_store_dword v0, v1, s[12:13]
.LBB15_1167:
	s_or_b32 exec_lo, exec_lo, s5
	v_mov_b32_e32 v0, 0
	s_lshl_b32 s3, s3, 7
	s_cmp_lt_i32 s0, 11
	v_add_nc_u32_e32 v6, s3, v5
	global_load_dword v3, v0, s[14:15]
	v_ashrrev_i32_e32 v1, 31, v6
	v_add_co_u32 v0, vcc_lo, s10, v6
	v_add_co_ci_u32_e64 v1, null, s11, v1, vcc_lo
	s_cbranch_scc1 .LBB15_1174
; %bb.1168:
	s_cmp_gt_i32 s0, 25
	s_mov_b32 s16, 0
	s_cbranch_scc0 .LBB15_1176
; %bb.1169:
	s_cmp_gt_i32 s0, 28
	s_cbranch_scc0 .LBB15_1177
; %bb.1170:
	s_cmp_gt_i32 s0, 43
	;; [unrolled: 3-line block ×3, first 2 shown]
	s_cbranch_scc0 .LBB15_1180
; %bb.1172:
	s_cmp_eq_u32 s0, 46
	s_mov_b32 s18, 0
	s_cbranch_scc0 .LBB15_1183
; %bb.1173:
	global_load_dword v5, v[0:1], off
	s_mov_b32 s5, 0
	s_mov_b32 s17, -1
	s_waitcnt vmcnt(0)
	v_lshlrev_b32_e32 v5, 16, v5
	s_branch .LBB15_1185
.LBB15_1174:
	s_mov_b32 s17, 0
                                        ; implicit-def: $vgpr5
	s_cbranch_execnz .LBB15_1250
.LBB15_1175:
	s_andn2_b32 vcc_lo, exec_lo, s17
	s_cbranch_vccnz .LBB15_1997
	s_branch .LBB15_1297
.LBB15_1176:
	s_mov_b32 s17, 0
	s_mov_b32 s5, 0
                                        ; implicit-def: $vgpr5
	s_cbranch_execnz .LBB15_1214
	s_branch .LBB15_1246
.LBB15_1177:
	s_mov_b32 s18, -1
	s_mov_b32 s17, 0
	s_mov_b32 s5, 0
                                        ; implicit-def: $vgpr5
	s_branch .LBB15_1195
.LBB15_1178:
	s_mov_b32 s18, -1
	s_mov_b32 s17, 0
	s_mov_b32 s5, 0
                                        ; implicit-def: $vgpr5
	s_branch .LBB15_1190
.LBB15_1179:
	s_or_b32 s4, s7, exec_lo
	s_trap 2
	s_cbranch_execz .LBB15_1118
	s_branch .LBB15_1119
.LBB15_1180:
	s_mov_b32 s18, -1
	s_mov_b32 s17, 0
	s_mov_b32 s5, 0
	s_branch .LBB15_1184
.LBB15_1181:
	s_andn2_saveexec_b32 s23, s23
	s_cbranch_execz .LBB15_964
.LBB15_1182:
	v_add_f32_e64 v3, 0x42800000, |v2|
	s_andn2_b32 s22, s22, exec_lo
	v_and_b32_e32 v3, 0xff, v3
	v_cmp_ne_u32_e32 vcc_lo, 0, v3
	s_and_b32 s24, vcc_lo, exec_lo
	s_or_b32 s22, s22, s24
	s_or_b32 exec_lo, exec_lo, s23
	v_mov_b32_e32 v4, 0
	s_and_saveexec_b32 s23, s22
	s_cbranch_execnz .LBB15_965
	s_branch .LBB15_966
.LBB15_1183:
	s_mov_b32 s5, -1
	s_mov_b32 s17, 0
.LBB15_1184:
                                        ; implicit-def: $vgpr5
.LBB15_1185:
	s_and_b32 vcc_lo, exec_lo, s18
	s_cbranch_vccz .LBB15_1189
; %bb.1186:
	s_cmp_eq_u32 s0, 44
	s_cbranch_scc0 .LBB15_1188
; %bb.1187:
	global_load_ubyte v5, v[0:1], off
	s_mov_b32 s5, 0
	s_mov_b32 s17, -1
	s_waitcnt vmcnt(0)
	v_lshlrev_b32_e32 v7, 23, v5
	v_cmp_ne_u32_e32 vcc_lo, 0xff, v5
	v_cndmask_b32_e32 v7, 0x7f800001, v7, vcc_lo
	v_cmp_ne_u32_e32 vcc_lo, 0, v5
	v_cndmask_b32_e32 v5, 0x400000, v7, vcc_lo
	s_branch .LBB15_1189
.LBB15_1188:
	s_mov_b32 s5, -1
                                        ; implicit-def: $vgpr5
.LBB15_1189:
	s_mov_b32 s18, 0
.LBB15_1190:
	s_and_b32 vcc_lo, exec_lo, s18
	s_cbranch_vccz .LBB15_1194
; %bb.1191:
	s_cmp_eq_u32 s0, 29
	s_cbranch_scc0 .LBB15_1193
; %bb.1192:
	global_load_dwordx2 v[7:8], v[0:1], off
	s_mov_b32 s5, 0
	s_mov_b32 s17, -1
	s_mov_b32 s18, 0
	s_waitcnt vmcnt(0)
	v_ffbh_u32_e32 v5, v8
	v_min_u32_e32 v5, 32, v5
	v_lshlrev_b64 v[7:8], v5, v[7:8]
	v_sub_nc_u32_e32 v5, 32, v5
	v_min_u32_e32 v7, 1, v7
	v_or_b32_e32 v7, v8, v7
	v_cvt_f32_u32_e32 v7, v7
	v_ldexp_f32 v5, v7, v5
	s_branch .LBB15_1195
.LBB15_1193:
	s_mov_b32 s5, -1
                                        ; implicit-def: $vgpr5
.LBB15_1194:
	s_mov_b32 s18, 0
.LBB15_1195:
	s_and_b32 vcc_lo, exec_lo, s18
	s_cbranch_vccz .LBB15_1213
; %bb.1196:
	s_cmp_lt_i32 s0, 27
	s_cbranch_scc1 .LBB15_1199
; %bb.1197:
	s_cmp_gt_i32 s0, 27
	s_cbranch_scc0 .LBB15_1200
; %bb.1198:
	global_load_dword v5, v[0:1], off
	s_mov_b32 s17, 0
	s_waitcnt vmcnt(0)
	v_cvt_f32_u32_e32 v5, v5
	s_branch .LBB15_1201
.LBB15_1199:
	s_mov_b32 s17, -1
                                        ; implicit-def: $vgpr5
	s_branch .LBB15_1204
.LBB15_1200:
	s_mov_b32 s17, -1
                                        ; implicit-def: $vgpr5
.LBB15_1201:
	s_andn2_b32 vcc_lo, exec_lo, s17
	s_cbranch_vccnz .LBB15_1203
; %bb.1202:
	global_load_ushort v5, v[0:1], off
	s_waitcnt vmcnt(0)
	v_cvt_f32_u32_e32 v5, v5
.LBB15_1203:
	s_mov_b32 s17, 0
.LBB15_1204:
	s_andn2_b32 vcc_lo, exec_lo, s17
	s_cbranch_vccnz .LBB15_1212
; %bb.1205:
	global_load_ubyte v7, v[0:1], off
	s_mov_b32 s17, 0
	s_mov_b32 s18, exec_lo
	s_waitcnt vmcnt(0)
	v_cmpx_lt_i16_e32 0x7f, v7
	s_xor_b32 s18, exec_lo, s18
	s_cbranch_execz .LBB15_1225
; %bb.1206:
	s_mov_b32 s17, -1
	s_mov_b32 s19, exec_lo
	v_cmpx_eq_u16_e32 0x80, v7
; %bb.1207:
	s_xor_b32 s17, exec_lo, -1
; %bb.1208:
	s_or_b32 exec_lo, exec_lo, s19
	s_and_b32 s17, s17, exec_lo
	s_or_saveexec_b32 s18, s18
	v_mov_b32_e32 v5, 0x7f800001
	s_xor_b32 exec_lo, exec_lo, s18
	s_cbranch_execnz .LBB15_1226
.LBB15_1209:
	s_or_b32 exec_lo, exec_lo, s18
	s_and_saveexec_b32 s18, s17
	s_cbranch_execz .LBB15_1211
.LBB15_1210:
	v_and_b32_e32 v5, 0xffff, v7
	v_lshlrev_b32_e32 v7, 24, v7
	v_and_b32_e32 v8, 7, v5
	v_bfe_u32 v11, v5, 3, 4
	v_and_b32_e32 v7, 0x80000000, v7
	v_ffbh_u32_e32 v9, v8
	v_cmp_eq_u32_e32 vcc_lo, 0, v11
	v_min_u32_e32 v9, 32, v9
	v_subrev_nc_u32_e32 v10, 28, v9
	v_sub_nc_u32_e32 v9, 29, v9
	v_lshlrev_b32_e32 v5, v10, v5
	v_cndmask_b32_e32 v9, v11, v9, vcc_lo
	v_and_b32_e32 v5, 7, v5
	v_cndmask_b32_e32 v5, v8, v5, vcc_lo
	v_lshl_add_u32 v8, v9, 23, 0x3b800000
	v_lshlrev_b32_e32 v5, 20, v5
	v_or3_b32 v5, v7, v8, v5
.LBB15_1211:
	s_or_b32 exec_lo, exec_lo, s18
.LBB15_1212:
	s_mov_b32 s17, -1
.LBB15_1213:
	s_branch .LBB15_1246
.LBB15_1214:
	s_cmp_gt_i32 s0, 22
	s_cbranch_scc0 .LBB15_1224
; %bb.1215:
	s_cmp_lt_i32 s0, 24
	s_cbranch_scc1 .LBB15_1227
; %bb.1216:
	s_cmp_gt_i32 s0, 24
	s_cbranch_scc0 .LBB15_1228
; %bb.1217:
	global_load_ubyte v7, v[0:1], off
	s_mov_b32 s17, exec_lo
	s_waitcnt vmcnt(0)
	v_cmpx_lt_i16_e32 0x7f, v7
	s_xor_b32 s17, exec_lo, s17
	s_cbranch_execz .LBB15_1240
; %bb.1218:
	s_mov_b32 s16, -1
	s_mov_b32 s18, exec_lo
	v_cmpx_eq_u16_e32 0x80, v7
; %bb.1219:
	s_xor_b32 s16, exec_lo, -1
; %bb.1220:
	s_or_b32 exec_lo, exec_lo, s18
	s_and_b32 s16, s16, exec_lo
	s_or_saveexec_b32 s17, s17
	v_mov_b32_e32 v5, 0x7f800001
	s_xor_b32 exec_lo, exec_lo, s17
	s_cbranch_execnz .LBB15_1241
.LBB15_1221:
	s_or_b32 exec_lo, exec_lo, s17
	s_and_saveexec_b32 s17, s16
	s_cbranch_execz .LBB15_1223
.LBB15_1222:
	v_and_b32_e32 v5, 0xffff, v7
	v_lshlrev_b32_e32 v7, 24, v7
	v_and_b32_e32 v8, 3, v5
	v_bfe_u32 v11, v5, 2, 5
	v_and_b32_e32 v7, 0x80000000, v7
	v_ffbh_u32_e32 v9, v8
	v_cmp_eq_u32_e32 vcc_lo, 0, v11
	v_min_u32_e32 v9, 32, v9
	v_subrev_nc_u32_e32 v10, 29, v9
	v_sub_nc_u32_e32 v9, 30, v9
	v_lshlrev_b32_e32 v5, v10, v5
	v_cndmask_b32_e32 v9, v11, v9, vcc_lo
	v_and_b32_e32 v5, 3, v5
	v_cndmask_b32_e32 v5, v8, v5, vcc_lo
	v_lshl_add_u32 v8, v9, 23, 0x37800000
	v_lshlrev_b32_e32 v5, 21, v5
	v_or3_b32 v5, v7, v8, v5
.LBB15_1223:
	s_or_b32 exec_lo, exec_lo, s17
	s_mov_b32 s16, 0
	s_branch .LBB15_1229
.LBB15_1224:
	s_mov_b32 s16, -1
                                        ; implicit-def: $vgpr5
	s_branch .LBB15_1235
.LBB15_1225:
	s_or_saveexec_b32 s18, s18
	v_mov_b32_e32 v5, 0x7f800001
	s_xor_b32 exec_lo, exec_lo, s18
	s_cbranch_execz .LBB15_1209
.LBB15_1226:
	v_cmp_ne_u16_e32 vcc_lo, 0, v7
	v_mov_b32_e32 v5, 0
	s_andn2_b32 s17, s17, exec_lo
	s_and_b32 s19, vcc_lo, exec_lo
	s_or_b32 s17, s17, s19
	s_or_b32 exec_lo, exec_lo, s18
	s_and_saveexec_b32 s18, s17
	s_cbranch_execnz .LBB15_1210
	s_branch .LBB15_1211
.LBB15_1227:
	s_mov_b32 s16, -1
                                        ; implicit-def: $vgpr5
	s_branch .LBB15_1232
.LBB15_1228:
	s_mov_b32 s16, -1
                                        ; implicit-def: $vgpr5
.LBB15_1229:
	s_and_b32 vcc_lo, exec_lo, s16
	s_cbranch_vccz .LBB15_1231
; %bb.1230:
	global_load_ubyte v5, v[0:1], off
	s_waitcnt vmcnt(0)
	v_lshlrev_b32_e32 v5, 24, v5
	v_and_b32_e32 v7, 0x7f000000, v5
	v_ffbh_u32_e32 v8, v7
	v_add_nc_u32_e32 v10, 0x1000000, v7
	v_cmp_ne_u32_e32 vcc_lo, 0, v7
	v_min_u32_e32 v8, 32, v8
	v_sub_nc_u32_e64 v8, v8, 4 clamp
	v_lshlrev_b32_e32 v9, v8, v7
	v_lshlrev_b32_e32 v8, 23, v8
	v_lshrrev_b32_e32 v9, 4, v9
	v_sub_nc_u32_e32 v8, v9, v8
	v_ashrrev_i32_e32 v9, 8, v10
	v_add_nc_u32_e32 v8, 0x3c000000, v8
	v_and_or_b32 v8, 0x7f800000, v9, v8
	v_cndmask_b32_e32 v7, 0, v8, vcc_lo
	v_and_or_b32 v5, 0x80000000, v5, v7
.LBB15_1231:
	s_mov_b32 s16, 0
.LBB15_1232:
	s_andn2_b32 vcc_lo, exec_lo, s16
	s_cbranch_vccnz .LBB15_1234
; %bb.1233:
	global_load_ubyte v5, v[0:1], off
	s_waitcnt vmcnt(0)
	v_lshlrev_b32_e32 v7, 25, v5
	v_lshlrev_b16 v5, 8, v5
	v_lshrrev_b32_e32 v8, 4, v7
	v_and_or_b32 v9, 0x7f00, v5, 0.5
	v_cmp_gt_u32_e32 vcc_lo, 0x8000000, v7
	v_bfe_i32 v5, v5, 0, 16
	v_or_b32_e32 v8, 0x70000000, v8
	v_add_f32_e32 v9, -0.5, v9
	v_mul_f32_e32 v8, 0x7800000, v8
	v_cndmask_b32_e32 v7, v8, v9, vcc_lo
	v_and_or_b32 v5, 0x80000000, v5, v7
.LBB15_1234:
	s_mov_b32 s16, 0
	s_mov_b32 s17, -1
.LBB15_1235:
	s_andn2_b32 vcc_lo, exec_lo, s16
	s_mov_b32 s16, 0
	s_cbranch_vccnz .LBB15_1246
; %bb.1236:
	s_cmp_gt_i32 s0, 14
	s_cbranch_scc0 .LBB15_1239
; %bb.1237:
	s_cmp_eq_u32 s0, 15
	s_cbranch_scc0 .LBB15_1242
; %bb.1238:
	global_load_ushort v5, v[0:1], off
	s_mov_b32 s5, 0
	s_mov_b32 s17, -1
	s_waitcnt vmcnt(0)
	v_lshlrev_b32_e32 v5, 16, v5
	s_branch .LBB15_1244
.LBB15_1239:
	s_mov_b32 s16, -1
	s_branch .LBB15_1243
.LBB15_1240:
	s_or_saveexec_b32 s17, s17
	v_mov_b32_e32 v5, 0x7f800001
	s_xor_b32 exec_lo, exec_lo, s17
	s_cbranch_execz .LBB15_1221
.LBB15_1241:
	v_cmp_ne_u16_e32 vcc_lo, 0, v7
	v_mov_b32_e32 v5, 0
	s_andn2_b32 s16, s16, exec_lo
	s_and_b32 s18, vcc_lo, exec_lo
	s_or_b32 s16, s16, s18
	s_or_b32 exec_lo, exec_lo, s17
	s_and_saveexec_b32 s17, s16
	s_cbranch_execnz .LBB15_1222
	s_branch .LBB15_1223
.LBB15_1242:
	s_mov_b32 s5, -1
.LBB15_1243:
                                        ; implicit-def: $vgpr5
.LBB15_1244:
	s_and_b32 vcc_lo, exec_lo, s16
	s_mov_b32 s16, 0
	s_cbranch_vccz .LBB15_1246
; %bb.1245:
	s_cmp_lg_u32 s0, 11
	s_mov_b32 s16, -1
	s_cselect_b32 s5, -1, 0
.LBB15_1246:
	s_and_b32 vcc_lo, exec_lo, s5
	s_cbranch_vccnz .LBB15_1311
; %bb.1247:
	s_andn2_b32 vcc_lo, exec_lo, s16
	s_cbranch_vccnz .LBB15_1249
.LBB15_1248:
	global_load_ubyte v5, v[0:1], off
	s_mov_b32 s17, -1
	s_waitcnt vmcnt(0)
	v_cmp_ne_u16_e32 vcc_lo, 0, v5
	v_cndmask_b32_e64 v5, 0, 1.0, vcc_lo
.LBB15_1249:
	s_branch .LBB15_1175
.LBB15_1250:
	s_cmp_lt_i32 s0, 5
	s_cbranch_scc1 .LBB15_1255
; %bb.1251:
	s_cmp_lt_i32 s0, 8
	s_cbranch_scc1 .LBB15_1256
; %bb.1252:
	;; [unrolled: 3-line block ×3, first 2 shown]
	s_cmp_gt_i32 s0, 9
	s_cbranch_scc0 .LBB15_1258
; %bb.1254:
	global_load_dwordx2 v[7:8], v[0:1], off
	s_mov_b32 s5, 0
	s_waitcnt vmcnt(0)
	v_cvt_f32_f64_e32 v5, v[7:8]
	s_branch .LBB15_1259
.LBB15_1255:
                                        ; implicit-def: $vgpr5
	s_branch .LBB15_1277
.LBB15_1256:
	s_mov_b32 s5, -1
                                        ; implicit-def: $vgpr5
	s_branch .LBB15_1265
.LBB15_1257:
	s_mov_b32 s5, -1
                                        ; implicit-def: $vgpr5
	s_branch .LBB15_1262
.LBB15_1258:
	s_mov_b32 s5, -1
                                        ; implicit-def: $vgpr5
.LBB15_1259:
	s_andn2_b32 vcc_lo, exec_lo, s5
	s_cbranch_vccnz .LBB15_1261
; %bb.1260:
	global_load_dword v5, v[0:1], off
.LBB15_1261:
	s_mov_b32 s5, 0
.LBB15_1262:
	s_andn2_b32 vcc_lo, exec_lo, s5
	s_cbranch_vccnz .LBB15_1264
; %bb.1263:
	global_load_dword v5, v[0:1], off
	s_waitcnt vmcnt(0)
	v_cvt_f32_f16_e32 v5, v5
.LBB15_1264:
	s_mov_b32 s5, 0
.LBB15_1265:
	s_andn2_b32 vcc_lo, exec_lo, s5
	s_cbranch_vccnz .LBB15_1276
; %bb.1266:
	s_cmp_lt_i32 s0, 6
	s_cbranch_scc1 .LBB15_1269
; %bb.1267:
	s_cmp_gt_i32 s0, 6
	s_cbranch_scc0 .LBB15_1270
; %bb.1268:
	global_load_dwordx2 v[7:8], v[0:1], off
	s_mov_b32 s5, 0
	s_waitcnt vmcnt(0)
	v_cvt_f32_f64_e32 v5, v[7:8]
	s_branch .LBB15_1271
.LBB15_1269:
	s_mov_b32 s5, -1
                                        ; implicit-def: $vgpr5
	s_branch .LBB15_1274
.LBB15_1270:
	s_mov_b32 s5, -1
                                        ; implicit-def: $vgpr5
.LBB15_1271:
	s_andn2_b32 vcc_lo, exec_lo, s5
	s_cbranch_vccnz .LBB15_1273
; %bb.1272:
	global_load_dword v5, v[0:1], off
.LBB15_1273:
	s_mov_b32 s5, 0
.LBB15_1274:
	s_andn2_b32 vcc_lo, exec_lo, s5
	s_cbranch_vccnz .LBB15_1276
; %bb.1275:
	global_load_ushort v5, v[0:1], off
	s_waitcnt vmcnt(0)
	v_cvt_f32_f16_e32 v5, v5
.LBB15_1276:
	s_cbranch_execnz .LBB15_1296
.LBB15_1277:
	s_cmp_lt_i32 s0, 2
	s_cbranch_scc1 .LBB15_1281
; %bb.1278:
	s_cmp_lt_i32 s0, 3
	s_cbranch_scc1 .LBB15_1282
; %bb.1279:
	s_cmp_gt_i32 s0, 3
	s_cbranch_scc0 .LBB15_1283
; %bb.1280:
	global_load_dwordx2 v[7:8], v[0:1], off
	s_mov_b32 s5, 0
	s_waitcnt vmcnt(0)
	v_xor_b32_e32 v5, v7, v8
	v_ffbh_i32_e32 v9, v8
	v_ashrrev_i32_e32 v5, 31, v5
	v_add_nc_u32_e32 v9, -1, v9
	v_add_nc_u32_e32 v5, 32, v5
	v_min_u32_e32 v5, v9, v5
	v_lshlrev_b64 v[7:8], v5, v[7:8]
	v_sub_nc_u32_e32 v5, 32, v5
	v_min_u32_e32 v7, 1, v7
	v_or_b32_e32 v7, v8, v7
	v_cvt_f32_i32_e32 v7, v7
	v_ldexp_f32 v5, v7, v5
	s_branch .LBB15_1284
.LBB15_1281:
	s_mov_b32 s5, -1
                                        ; implicit-def: $vgpr5
	s_branch .LBB15_1290
.LBB15_1282:
	s_mov_b32 s5, -1
                                        ; implicit-def: $vgpr5
	s_branch .LBB15_1287
.LBB15_1283:
	s_mov_b32 s5, -1
                                        ; implicit-def: $vgpr5
.LBB15_1284:
	s_andn2_b32 vcc_lo, exec_lo, s5
	s_cbranch_vccnz .LBB15_1286
; %bb.1285:
	global_load_dword v5, v[0:1], off
	s_waitcnt vmcnt(0)
	v_cvt_f32_i32_e32 v5, v5
.LBB15_1286:
	s_mov_b32 s5, 0
.LBB15_1287:
	s_andn2_b32 vcc_lo, exec_lo, s5
	s_cbranch_vccnz .LBB15_1289
; %bb.1288:
	global_load_sshort v5, v[0:1], off
	s_waitcnt vmcnt(0)
	v_cvt_f32_i32_e32 v5, v5
.LBB15_1289:
	s_mov_b32 s5, 0
.LBB15_1290:
	s_andn2_b32 vcc_lo, exec_lo, s5
	s_cbranch_vccnz .LBB15_1296
; %bb.1291:
	s_cmp_gt_i32 s0, 0
	s_mov_b32 s5, 0
	s_cbranch_scc0 .LBB15_1293
; %bb.1292:
	global_load_sbyte v5, v[0:1], off
	s_waitcnt vmcnt(0)
	v_cvt_f32_i32_e32 v5, v5
	s_branch .LBB15_1294
.LBB15_1293:
	s_mov_b32 s5, -1
                                        ; implicit-def: $vgpr5
.LBB15_1294:
	s_andn2_b32 vcc_lo, exec_lo, s5
	s_cbranch_vccnz .LBB15_1296
; %bb.1295:
	global_load_ubyte v0, v[0:1], off
	s_waitcnt vmcnt(0)
	v_cvt_f32_ubyte0_e32 v5, v0
.LBB15_1296:
.LBB15_1297:
	s_waitcnt vmcnt(0)
	v_mov_b32_e32 v8, v3
	s_mov_b32 s5, exec_lo
	v_cmpx_nlg_f32_e64 0x7f800000, |v5|
	s_cbranch_execz .LBB15_1299
; %bb.1298:
	v_mov_b32_e32 v0, 0
	v_mov_b32_e32 v1, 1.0
	global_store_dword v0, v1, s[12:13]
	global_load_dword v8, v0, s[14:15]
.LBB15_1299:
	s_or_b32 exec_lo, exec_lo, s5
	v_add_nc_u32_e32 v7, s3, v6
	s_cmp_lt_i32 s0, 11
	v_ashrrev_i32_e32 v1, 31, v7
	v_add_co_u32 v0, vcc_lo, s10, v7
	v_add_co_ci_u32_e64 v1, null, s11, v1, vcc_lo
	s_cbranch_scc1 .LBB15_1306
; %bb.1300:
	s_cmp_gt_i32 s0, 25
	s_mov_b32 s16, 0
	s_cbranch_scc0 .LBB15_1308
; %bb.1301:
	s_cmp_gt_i32 s0, 28
	s_cbranch_scc0 .LBB15_1309
; %bb.1302:
	s_cmp_gt_i32 s0, 43
	;; [unrolled: 3-line block ×3, first 2 shown]
	s_cbranch_scc0 .LBB15_1312
; %bb.1304:
	s_cmp_eq_u32 s0, 46
	s_mov_b32 s18, 0
	s_cbranch_scc0 .LBB15_1313
; %bb.1305:
	global_load_dword v6, v[0:1], off
	s_mov_b32 s5, 0
	s_mov_b32 s17, -1
	s_waitcnt vmcnt(0)
	v_lshlrev_b32_e32 v6, 16, v6
	s_branch .LBB15_1315
.LBB15_1306:
	s_mov_b32 s17, 0
                                        ; implicit-def: $vgpr6
	s_cbranch_execnz .LBB15_1381
.LBB15_1307:
	s_andn2_b32 vcc_lo, exec_lo, s17
	s_cbranch_vccnz .LBB15_1997
	s_branch .LBB15_1429
.LBB15_1308:
	s_mov_b32 s18, -1
	s_mov_b32 s17, 0
	s_mov_b32 s5, 0
                                        ; implicit-def: $vgpr6
	s_branch .LBB15_1344
.LBB15_1309:
	s_mov_b32 s18, -1
	s_mov_b32 s17, 0
	s_mov_b32 s5, 0
                                        ; implicit-def: $vgpr6
	s_branch .LBB15_1325
.LBB15_1310:
	s_mov_b32 s18, -1
	s_mov_b32 s17, 0
	s_mov_b32 s5, 0
                                        ; implicit-def: $vgpr6
	s_branch .LBB15_1320
.LBB15_1311:
	s_or_b32 s4, s4, exec_lo
	s_trap 2
	s_cbranch_execz .LBB15_1248
	s_branch .LBB15_1249
.LBB15_1312:
	s_mov_b32 s18, -1
	s_mov_b32 s17, 0
	s_mov_b32 s5, 0
	s_branch .LBB15_1314
.LBB15_1313:
	s_mov_b32 s5, -1
	s_mov_b32 s17, 0
.LBB15_1314:
                                        ; implicit-def: $vgpr6
.LBB15_1315:
	s_and_b32 vcc_lo, exec_lo, s18
	s_cbranch_vccz .LBB15_1319
; %bb.1316:
	s_cmp_eq_u32 s0, 44
	s_cbranch_scc0 .LBB15_1318
; %bb.1317:
	global_load_ubyte v6, v[0:1], off
	s_mov_b32 s5, 0
	s_mov_b32 s17, -1
	s_waitcnt vmcnt(0)
	v_lshlrev_b32_e32 v9, 23, v6
	v_cmp_ne_u32_e32 vcc_lo, 0xff, v6
	v_cndmask_b32_e32 v9, 0x7f800001, v9, vcc_lo
	v_cmp_ne_u32_e32 vcc_lo, 0, v6
	v_cndmask_b32_e32 v6, 0x400000, v9, vcc_lo
	s_branch .LBB15_1319
.LBB15_1318:
	s_mov_b32 s5, -1
                                        ; implicit-def: $vgpr6
.LBB15_1319:
	s_mov_b32 s18, 0
.LBB15_1320:
	s_and_b32 vcc_lo, exec_lo, s18
	s_cbranch_vccz .LBB15_1324
; %bb.1321:
	s_cmp_eq_u32 s0, 29
	s_cbranch_scc0 .LBB15_1323
; %bb.1322:
	global_load_dwordx2 v[9:10], v[0:1], off
	s_mov_b32 s5, 0
	s_mov_b32 s17, -1
	s_mov_b32 s18, 0
	s_waitcnt vmcnt(0)
	v_ffbh_u32_e32 v6, v10
	v_min_u32_e32 v6, 32, v6
	v_lshlrev_b64 v[9:10], v6, v[9:10]
	v_sub_nc_u32_e32 v6, 32, v6
	v_min_u32_e32 v9, 1, v9
	v_or_b32_e32 v9, v10, v9
	v_cvt_f32_u32_e32 v9, v9
	v_ldexp_f32 v6, v9, v6
	s_branch .LBB15_1325
.LBB15_1323:
	s_mov_b32 s5, -1
                                        ; implicit-def: $vgpr6
.LBB15_1324:
	s_mov_b32 s18, 0
.LBB15_1325:
	s_and_b32 vcc_lo, exec_lo, s18
	s_cbranch_vccz .LBB15_1343
; %bb.1326:
	s_cmp_lt_i32 s0, 27
	s_cbranch_scc1 .LBB15_1329
; %bb.1327:
	s_cmp_gt_i32 s0, 27
	s_cbranch_scc0 .LBB15_1330
; %bb.1328:
	global_load_dword v6, v[0:1], off
	s_mov_b32 s17, 0
	s_waitcnt vmcnt(0)
	v_cvt_f32_u32_e32 v6, v6
	s_branch .LBB15_1331
.LBB15_1329:
	s_mov_b32 s17, -1
                                        ; implicit-def: $vgpr6
	s_branch .LBB15_1334
.LBB15_1330:
	s_mov_b32 s17, -1
                                        ; implicit-def: $vgpr6
.LBB15_1331:
	s_andn2_b32 vcc_lo, exec_lo, s17
	s_cbranch_vccnz .LBB15_1333
; %bb.1332:
	global_load_ushort v6, v[0:1], off
	s_waitcnt vmcnt(0)
	v_cvt_f32_u32_e32 v6, v6
.LBB15_1333:
	s_mov_b32 s17, 0
.LBB15_1334:
	s_andn2_b32 vcc_lo, exec_lo, s17
	s_cbranch_vccnz .LBB15_1342
; %bb.1335:
	global_load_ubyte v9, v[0:1], off
	s_mov_b32 s17, 0
	s_mov_b32 s18, exec_lo
	s_waitcnt vmcnt(0)
	v_cmpx_lt_i16_e32 0x7f, v9
	s_xor_b32 s18, exec_lo, s18
	s_cbranch_execz .LBB15_1356
; %bb.1336:
	s_mov_b32 s17, -1
	s_mov_b32 s19, exec_lo
	v_cmpx_eq_u16_e32 0x80, v9
; %bb.1337:
	s_xor_b32 s17, exec_lo, -1
; %bb.1338:
	s_or_b32 exec_lo, exec_lo, s19
	s_and_b32 s17, s17, exec_lo
	s_or_saveexec_b32 s18, s18
	v_mov_b32_e32 v6, 0x7f800001
	s_xor_b32 exec_lo, exec_lo, s18
	s_cbranch_execnz .LBB15_1357
.LBB15_1339:
	s_or_b32 exec_lo, exec_lo, s18
	s_and_saveexec_b32 s18, s17
	s_cbranch_execz .LBB15_1341
.LBB15_1340:
	v_and_b32_e32 v6, 0xffff, v9
	v_lshlrev_b32_e32 v9, 24, v9
	v_and_b32_e32 v10, 7, v6
	v_bfe_u32 v13, v6, 3, 4
	v_and_b32_e32 v9, 0x80000000, v9
	v_ffbh_u32_e32 v11, v10
	v_cmp_eq_u32_e32 vcc_lo, 0, v13
	v_min_u32_e32 v11, 32, v11
	v_subrev_nc_u32_e32 v12, 28, v11
	v_sub_nc_u32_e32 v11, 29, v11
	v_lshlrev_b32_e32 v6, v12, v6
	v_cndmask_b32_e32 v11, v13, v11, vcc_lo
	v_and_b32_e32 v6, 7, v6
	v_cndmask_b32_e32 v6, v10, v6, vcc_lo
	v_lshl_add_u32 v10, v11, 23, 0x3b800000
	v_lshlrev_b32_e32 v6, 20, v6
	v_or3_b32 v6, v9, v10, v6
.LBB15_1341:
	s_or_b32 exec_lo, exec_lo, s18
.LBB15_1342:
	s_mov_b32 s17, -1
.LBB15_1343:
	s_mov_b32 s18, 0
.LBB15_1344:
	s_and_b32 vcc_lo, exec_lo, s18
	s_cbranch_vccz .LBB15_1377
; %bb.1345:
	s_cmp_gt_i32 s0, 22
	s_cbranch_scc0 .LBB15_1355
; %bb.1346:
	s_cmp_lt_i32 s0, 24
	s_cbranch_scc1 .LBB15_1358
; %bb.1347:
	s_cmp_gt_i32 s0, 24
	s_cbranch_scc0 .LBB15_1359
; %bb.1348:
	global_load_ubyte v9, v[0:1], off
	s_mov_b32 s17, exec_lo
	s_waitcnt vmcnt(0)
	v_cmpx_lt_i16_e32 0x7f, v9
	s_xor_b32 s17, exec_lo, s17
	s_cbranch_execz .LBB15_1371
; %bb.1349:
	s_mov_b32 s16, -1
	s_mov_b32 s18, exec_lo
	v_cmpx_eq_u16_e32 0x80, v9
; %bb.1350:
	s_xor_b32 s16, exec_lo, -1
; %bb.1351:
	s_or_b32 exec_lo, exec_lo, s18
	s_and_b32 s16, s16, exec_lo
	s_or_saveexec_b32 s17, s17
	v_mov_b32_e32 v6, 0x7f800001
	s_xor_b32 exec_lo, exec_lo, s17
	s_cbranch_execnz .LBB15_1372
.LBB15_1352:
	s_or_b32 exec_lo, exec_lo, s17
	s_and_saveexec_b32 s17, s16
	s_cbranch_execz .LBB15_1354
.LBB15_1353:
	v_and_b32_e32 v6, 0xffff, v9
	v_lshlrev_b32_e32 v9, 24, v9
	v_and_b32_e32 v10, 3, v6
	v_bfe_u32 v13, v6, 2, 5
	v_and_b32_e32 v9, 0x80000000, v9
	v_ffbh_u32_e32 v11, v10
	v_cmp_eq_u32_e32 vcc_lo, 0, v13
	v_min_u32_e32 v11, 32, v11
	v_subrev_nc_u32_e32 v12, 29, v11
	v_sub_nc_u32_e32 v11, 30, v11
	v_lshlrev_b32_e32 v6, v12, v6
	v_cndmask_b32_e32 v11, v13, v11, vcc_lo
	v_and_b32_e32 v6, 3, v6
	v_cndmask_b32_e32 v6, v10, v6, vcc_lo
	v_lshl_add_u32 v10, v11, 23, 0x37800000
	v_lshlrev_b32_e32 v6, 21, v6
	v_or3_b32 v6, v9, v10, v6
.LBB15_1354:
	s_or_b32 exec_lo, exec_lo, s17
	s_mov_b32 s16, 0
	s_branch .LBB15_1360
.LBB15_1355:
	s_mov_b32 s16, -1
                                        ; implicit-def: $vgpr6
	s_branch .LBB15_1366
.LBB15_1356:
	s_or_saveexec_b32 s18, s18
	v_mov_b32_e32 v6, 0x7f800001
	s_xor_b32 exec_lo, exec_lo, s18
	s_cbranch_execz .LBB15_1339
.LBB15_1357:
	v_cmp_ne_u16_e32 vcc_lo, 0, v9
	v_mov_b32_e32 v6, 0
	s_andn2_b32 s17, s17, exec_lo
	s_and_b32 s19, vcc_lo, exec_lo
	s_or_b32 s17, s17, s19
	s_or_b32 exec_lo, exec_lo, s18
	s_and_saveexec_b32 s18, s17
	s_cbranch_execnz .LBB15_1340
	s_branch .LBB15_1341
.LBB15_1358:
	s_mov_b32 s16, -1
                                        ; implicit-def: $vgpr6
	s_branch .LBB15_1363
.LBB15_1359:
	s_mov_b32 s16, -1
                                        ; implicit-def: $vgpr6
.LBB15_1360:
	s_and_b32 vcc_lo, exec_lo, s16
	s_cbranch_vccz .LBB15_1362
; %bb.1361:
	global_load_ubyte v6, v[0:1], off
	s_waitcnt vmcnt(0)
	v_lshlrev_b32_e32 v6, 24, v6
	v_and_b32_e32 v9, 0x7f000000, v6
	v_ffbh_u32_e32 v10, v9
	v_add_nc_u32_e32 v12, 0x1000000, v9
	v_cmp_ne_u32_e32 vcc_lo, 0, v9
	v_min_u32_e32 v10, 32, v10
	v_sub_nc_u32_e64 v10, v10, 4 clamp
	v_lshlrev_b32_e32 v11, v10, v9
	v_lshlrev_b32_e32 v10, 23, v10
	v_lshrrev_b32_e32 v11, 4, v11
	v_sub_nc_u32_e32 v10, v11, v10
	v_ashrrev_i32_e32 v11, 8, v12
	v_add_nc_u32_e32 v10, 0x3c000000, v10
	v_and_or_b32 v10, 0x7f800000, v11, v10
	v_cndmask_b32_e32 v9, 0, v10, vcc_lo
	v_and_or_b32 v6, 0x80000000, v6, v9
.LBB15_1362:
	s_mov_b32 s16, 0
.LBB15_1363:
	s_andn2_b32 vcc_lo, exec_lo, s16
	s_cbranch_vccnz .LBB15_1365
; %bb.1364:
	global_load_ubyte v6, v[0:1], off
	s_waitcnt vmcnt(0)
	v_lshlrev_b32_e32 v9, 25, v6
	v_lshlrev_b16 v6, 8, v6
	v_lshrrev_b32_e32 v10, 4, v9
	v_and_or_b32 v11, 0x7f00, v6, 0.5
	v_cmp_gt_u32_e32 vcc_lo, 0x8000000, v9
	v_bfe_i32 v6, v6, 0, 16
	v_or_b32_e32 v10, 0x70000000, v10
	v_add_f32_e32 v11, -0.5, v11
	v_mul_f32_e32 v10, 0x7800000, v10
	v_cndmask_b32_e32 v9, v10, v11, vcc_lo
	v_and_or_b32 v6, 0x80000000, v6, v9
.LBB15_1365:
	s_mov_b32 s16, 0
	s_mov_b32 s17, -1
.LBB15_1366:
	s_andn2_b32 vcc_lo, exec_lo, s16
	s_mov_b32 s16, 0
	s_cbranch_vccnz .LBB15_1377
; %bb.1367:
	s_cmp_gt_i32 s0, 14
	s_cbranch_scc0 .LBB15_1370
; %bb.1368:
	s_cmp_eq_u32 s0, 15
	s_cbranch_scc0 .LBB15_1373
; %bb.1369:
	global_load_ushort v6, v[0:1], off
	s_mov_b32 s5, 0
	s_mov_b32 s17, -1
	s_waitcnt vmcnt(0)
	v_lshlrev_b32_e32 v6, 16, v6
	s_branch .LBB15_1375
.LBB15_1370:
	s_mov_b32 s16, -1
	s_branch .LBB15_1374
.LBB15_1371:
	s_or_saveexec_b32 s17, s17
	v_mov_b32_e32 v6, 0x7f800001
	s_xor_b32 exec_lo, exec_lo, s17
	s_cbranch_execz .LBB15_1352
.LBB15_1372:
	v_cmp_ne_u16_e32 vcc_lo, 0, v9
	v_mov_b32_e32 v6, 0
	s_andn2_b32 s16, s16, exec_lo
	s_and_b32 s18, vcc_lo, exec_lo
	s_or_b32 s16, s16, s18
	s_or_b32 exec_lo, exec_lo, s17
	s_and_saveexec_b32 s17, s16
	s_cbranch_execnz .LBB15_1353
	s_branch .LBB15_1354
.LBB15_1373:
	s_mov_b32 s5, -1
.LBB15_1374:
                                        ; implicit-def: $vgpr6
.LBB15_1375:
	s_and_b32 vcc_lo, exec_lo, s16
	s_mov_b32 s16, 0
	s_cbranch_vccz .LBB15_1377
; %bb.1376:
	s_cmp_lg_u32 s0, 11
	s_mov_b32 s16, -1
	s_cselect_b32 s5, -1, 0
.LBB15_1377:
	s_and_b32 vcc_lo, exec_lo, s5
	s_cbranch_vccnz .LBB15_1442
; %bb.1378:
	s_andn2_b32 vcc_lo, exec_lo, s16
	s_cbranch_vccnz .LBB15_1380
.LBB15_1379:
	global_load_ubyte v6, v[0:1], off
	s_mov_b32 s17, -1
	s_waitcnt vmcnt(0)
	v_cmp_ne_u16_e32 vcc_lo, 0, v6
	v_cndmask_b32_e64 v6, 0, 1.0, vcc_lo
.LBB15_1380:
	s_branch .LBB15_1307
.LBB15_1381:
	s_cmp_lt_i32 s0, 5
	s_cbranch_scc1 .LBB15_1386
; %bb.1382:
	s_cmp_lt_i32 s0, 8
	s_cbranch_scc1 .LBB15_1387
; %bb.1383:
	s_cmp_lt_i32 s0, 9
	s_cbranch_scc1 .LBB15_1388
; %bb.1384:
	s_cmp_gt_i32 s0, 9
	s_cbranch_scc0 .LBB15_1389
; %bb.1385:
	global_load_dwordx2 v[9:10], v[0:1], off
	s_mov_b32 s5, 0
	s_waitcnt vmcnt(0)
	v_cvt_f32_f64_e32 v6, v[9:10]
	s_branch .LBB15_1390
.LBB15_1386:
	s_mov_b32 s5, -1
                                        ; implicit-def: $vgpr6
	s_branch .LBB15_1408
.LBB15_1387:
	s_mov_b32 s5, -1
                                        ; implicit-def: $vgpr6
	s_branch .LBB15_1396
.LBB15_1388:
	s_mov_b32 s5, -1
                                        ; implicit-def: $vgpr6
	s_branch .LBB15_1393
.LBB15_1389:
	s_mov_b32 s5, -1
                                        ; implicit-def: $vgpr6
.LBB15_1390:
	s_andn2_b32 vcc_lo, exec_lo, s5
	s_cbranch_vccnz .LBB15_1392
; %bb.1391:
	global_load_dword v6, v[0:1], off
.LBB15_1392:
	s_mov_b32 s5, 0
.LBB15_1393:
	s_andn2_b32 vcc_lo, exec_lo, s5
	s_cbranch_vccnz .LBB15_1395
; %bb.1394:
	global_load_dword v6, v[0:1], off
	s_waitcnt vmcnt(0)
	v_cvt_f32_f16_e32 v6, v6
.LBB15_1395:
	s_mov_b32 s5, 0
.LBB15_1396:
	s_andn2_b32 vcc_lo, exec_lo, s5
	s_cbranch_vccnz .LBB15_1407
; %bb.1397:
	s_cmp_lt_i32 s0, 6
	s_cbranch_scc1 .LBB15_1400
; %bb.1398:
	s_cmp_gt_i32 s0, 6
	s_cbranch_scc0 .LBB15_1401
; %bb.1399:
	global_load_dwordx2 v[9:10], v[0:1], off
	s_mov_b32 s5, 0
	s_waitcnt vmcnt(0)
	v_cvt_f32_f64_e32 v6, v[9:10]
	s_branch .LBB15_1402
.LBB15_1400:
	s_mov_b32 s5, -1
                                        ; implicit-def: $vgpr6
	s_branch .LBB15_1405
.LBB15_1401:
	s_mov_b32 s5, -1
                                        ; implicit-def: $vgpr6
.LBB15_1402:
	s_andn2_b32 vcc_lo, exec_lo, s5
	s_cbranch_vccnz .LBB15_1404
; %bb.1403:
	global_load_dword v6, v[0:1], off
.LBB15_1404:
	s_mov_b32 s5, 0
.LBB15_1405:
	s_andn2_b32 vcc_lo, exec_lo, s5
	s_cbranch_vccnz .LBB15_1407
; %bb.1406:
	global_load_ushort v6, v[0:1], off
	s_waitcnt vmcnt(0)
	v_cvt_f32_f16_e32 v6, v6
.LBB15_1407:
	s_mov_b32 s5, 0
.LBB15_1408:
	s_andn2_b32 vcc_lo, exec_lo, s5
	s_cbranch_vccnz .LBB15_1428
; %bb.1409:
	s_cmp_lt_i32 s0, 2
	s_cbranch_scc1 .LBB15_1413
; %bb.1410:
	s_cmp_lt_i32 s0, 3
	s_cbranch_scc1 .LBB15_1414
; %bb.1411:
	s_cmp_gt_i32 s0, 3
	s_cbranch_scc0 .LBB15_1415
; %bb.1412:
	global_load_dwordx2 v[9:10], v[0:1], off
	s_mov_b32 s5, 0
	s_waitcnt vmcnt(0)
	v_xor_b32_e32 v6, v9, v10
	v_ffbh_i32_e32 v11, v10
	v_ashrrev_i32_e32 v6, 31, v6
	v_add_nc_u32_e32 v11, -1, v11
	v_add_nc_u32_e32 v6, 32, v6
	v_min_u32_e32 v6, v11, v6
	v_lshlrev_b64 v[9:10], v6, v[9:10]
	v_sub_nc_u32_e32 v6, 32, v6
	v_min_u32_e32 v9, 1, v9
	v_or_b32_e32 v9, v10, v9
	v_cvt_f32_i32_e32 v9, v9
	v_ldexp_f32 v6, v9, v6
	s_branch .LBB15_1416
.LBB15_1413:
	s_mov_b32 s5, -1
                                        ; implicit-def: $vgpr6
	s_branch .LBB15_1422
.LBB15_1414:
	s_mov_b32 s5, -1
                                        ; implicit-def: $vgpr6
	s_branch .LBB15_1419
.LBB15_1415:
	s_mov_b32 s5, -1
                                        ; implicit-def: $vgpr6
.LBB15_1416:
	s_andn2_b32 vcc_lo, exec_lo, s5
	s_cbranch_vccnz .LBB15_1418
; %bb.1417:
	global_load_dword v6, v[0:1], off
	s_waitcnt vmcnt(0)
	v_cvt_f32_i32_e32 v6, v6
.LBB15_1418:
	s_mov_b32 s5, 0
.LBB15_1419:
	s_andn2_b32 vcc_lo, exec_lo, s5
	s_cbranch_vccnz .LBB15_1421
; %bb.1420:
	global_load_sshort v6, v[0:1], off
	s_waitcnt vmcnt(0)
	v_cvt_f32_i32_e32 v6, v6
.LBB15_1421:
	s_mov_b32 s5, 0
.LBB15_1422:
	s_andn2_b32 vcc_lo, exec_lo, s5
	s_cbranch_vccnz .LBB15_1428
; %bb.1423:
	s_cmp_gt_i32 s0, 0
	s_mov_b32 s5, 0
	s_cbranch_scc0 .LBB15_1425
; %bb.1424:
	global_load_sbyte v6, v[0:1], off
	s_waitcnt vmcnt(0)
	v_cvt_f32_i32_e32 v6, v6
	s_branch .LBB15_1426
.LBB15_1425:
	s_mov_b32 s5, -1
                                        ; implicit-def: $vgpr6
.LBB15_1426:
	s_andn2_b32 vcc_lo, exec_lo, s5
	s_cbranch_vccnz .LBB15_1428
; %bb.1427:
	global_load_ubyte v0, v[0:1], off
	s_waitcnt vmcnt(0)
	v_cvt_f32_ubyte0_e32 v6, v0
.LBB15_1428:
.LBB15_1429:
	s_waitcnt vmcnt(0)
	v_mov_b32_e32 v9, v8
	s_mov_b32 s5, exec_lo
	v_cmpx_nlg_f32_e64 0x7f800000, |v6|
	s_cbranch_execz .LBB15_1431
; %bb.1430:
	v_mov_b32_e32 v0, 0
	v_mov_b32_e32 v1, 1.0
	global_store_dword v0, v1, s[12:13]
	global_load_dword v9, v0, s[14:15]
.LBB15_1431:
	s_or_b32 exec_lo, exec_lo, s5
	v_add_nc_u32_e32 v0, s3, v7
	s_cmp_lt_i32 s0, 11
	v_ashrrev_i32_e32 v1, 31, v0
	v_add_co_u32 v0, vcc_lo, s10, v0
	v_add_co_ci_u32_e64 v1, null, s11, v1, vcc_lo
	s_cbranch_scc1 .LBB15_1438
; %bb.1432:
	s_cmp_gt_i32 s0, 25
	s_mov_b32 s5, 0
	s_cbranch_scc0 .LBB15_1439
; %bb.1433:
	s_cmp_gt_i32 s0, 28
	s_cbranch_scc0 .LBB15_1440
; %bb.1434:
	s_cmp_gt_i32 s0, 43
	;; [unrolled: 3-line block ×3, first 2 shown]
	s_cbranch_scc0 .LBB15_1443
; %bb.1436:
	s_cmp_eq_u32 s0, 46
	s_mov_b32 s11, 0
	s_cbranch_scc0 .LBB15_1444
; %bb.1437:
	global_load_dword v7, v[0:1], off
	s_mov_b32 s3, 0
	s_mov_b32 s10, -1
	s_waitcnt vmcnt(0)
	v_lshlrev_b32_e32 v7, 16, v7
	s_branch .LBB15_1446
.LBB15_1438:
	s_mov_b32 s3, -1
	s_mov_b32 s10, 0
                                        ; implicit-def: $vgpr7
	s_branch .LBB15_1512
.LBB15_1439:
	s_mov_b32 s11, -1
	s_mov_b32 s10, 0
	s_mov_b32 s3, 0
                                        ; implicit-def: $vgpr7
	s_branch .LBB15_1475
.LBB15_1440:
	s_mov_b32 s11, -1
	s_mov_b32 s10, 0
	s_mov_b32 s3, 0
                                        ; implicit-def: $vgpr7
	s_branch .LBB15_1456
.LBB15_1441:
	s_mov_b32 s11, -1
	s_mov_b32 s10, 0
	s_mov_b32 s3, 0
                                        ; implicit-def: $vgpr7
	s_branch .LBB15_1451
.LBB15_1442:
	s_or_b32 s4, s4, exec_lo
	s_trap 2
	s_cbranch_execz .LBB15_1379
	s_branch .LBB15_1380
.LBB15_1443:
	s_mov_b32 s11, -1
	s_mov_b32 s10, 0
	s_mov_b32 s3, 0
	s_branch .LBB15_1445
.LBB15_1444:
	s_mov_b32 s3, -1
	s_mov_b32 s10, 0
.LBB15_1445:
                                        ; implicit-def: $vgpr7
.LBB15_1446:
	s_and_b32 vcc_lo, exec_lo, s11
	s_cbranch_vccz .LBB15_1450
; %bb.1447:
	s_cmp_eq_u32 s0, 44
	s_cbranch_scc0 .LBB15_1449
; %bb.1448:
	global_load_ubyte v7, v[0:1], off
	s_mov_b32 s3, 0
	s_mov_b32 s10, -1
	s_waitcnt vmcnt(0)
	v_lshlrev_b32_e32 v10, 23, v7
	v_cmp_ne_u32_e32 vcc_lo, 0xff, v7
	v_cndmask_b32_e32 v10, 0x7f800001, v10, vcc_lo
	v_cmp_ne_u32_e32 vcc_lo, 0, v7
	v_cndmask_b32_e32 v7, 0x400000, v10, vcc_lo
	s_branch .LBB15_1450
.LBB15_1449:
	s_mov_b32 s3, -1
                                        ; implicit-def: $vgpr7
.LBB15_1450:
	s_mov_b32 s11, 0
.LBB15_1451:
	s_and_b32 vcc_lo, exec_lo, s11
	s_cbranch_vccz .LBB15_1455
; %bb.1452:
	s_cmp_eq_u32 s0, 29
	s_cbranch_scc0 .LBB15_1454
; %bb.1453:
	global_load_dwordx2 v[10:11], v[0:1], off
	s_mov_b32 s3, 0
	s_mov_b32 s10, -1
	s_mov_b32 s11, 0
	s_waitcnt vmcnt(0)
	v_ffbh_u32_e32 v7, v11
	v_min_u32_e32 v7, 32, v7
	v_lshlrev_b64 v[10:11], v7, v[10:11]
	v_sub_nc_u32_e32 v7, 32, v7
	v_min_u32_e32 v10, 1, v10
	v_or_b32_e32 v10, v11, v10
	v_cvt_f32_u32_e32 v10, v10
	v_ldexp_f32 v7, v10, v7
	s_branch .LBB15_1456
.LBB15_1454:
	s_mov_b32 s3, -1
                                        ; implicit-def: $vgpr7
.LBB15_1455:
	s_mov_b32 s11, 0
.LBB15_1456:
	s_and_b32 vcc_lo, exec_lo, s11
	s_cbranch_vccz .LBB15_1474
; %bb.1457:
	s_cmp_lt_i32 s0, 27
	s_cbranch_scc1 .LBB15_1460
; %bb.1458:
	s_cmp_gt_i32 s0, 27
	s_cbranch_scc0 .LBB15_1461
; %bb.1459:
	global_load_dword v7, v[0:1], off
	s_mov_b32 s10, 0
	s_waitcnt vmcnt(0)
	v_cvt_f32_u32_e32 v7, v7
	s_branch .LBB15_1462
.LBB15_1460:
	s_mov_b32 s10, -1
                                        ; implicit-def: $vgpr7
	s_branch .LBB15_1465
.LBB15_1461:
	s_mov_b32 s10, -1
                                        ; implicit-def: $vgpr7
.LBB15_1462:
	s_andn2_b32 vcc_lo, exec_lo, s10
	s_cbranch_vccnz .LBB15_1464
; %bb.1463:
	global_load_ushort v7, v[0:1], off
	s_waitcnt vmcnt(0)
	v_cvt_f32_u32_e32 v7, v7
.LBB15_1464:
	s_mov_b32 s10, 0
.LBB15_1465:
	s_andn2_b32 vcc_lo, exec_lo, s10
	s_cbranch_vccnz .LBB15_1473
; %bb.1466:
	global_load_ubyte v10, v[0:1], off
	s_mov_b32 s10, 0
	s_mov_b32 s11, exec_lo
	s_waitcnt vmcnt(0)
	v_cmpx_lt_i16_e32 0x7f, v10
	s_xor_b32 s11, exec_lo, s11
	s_cbranch_execz .LBB15_1487
; %bb.1467:
	s_mov_b32 s10, -1
	s_mov_b32 s16, exec_lo
	v_cmpx_eq_u16_e32 0x80, v10
; %bb.1468:
	s_xor_b32 s10, exec_lo, -1
; %bb.1469:
	s_or_b32 exec_lo, exec_lo, s16
	s_and_b32 s10, s10, exec_lo
	s_or_saveexec_b32 s11, s11
	v_mov_b32_e32 v7, 0x7f800001
	s_xor_b32 exec_lo, exec_lo, s11
	s_cbranch_execnz .LBB15_1488
.LBB15_1470:
	s_or_b32 exec_lo, exec_lo, s11
	s_and_saveexec_b32 s11, s10
	s_cbranch_execz .LBB15_1472
.LBB15_1471:
	v_and_b32_e32 v7, 0xffff, v10
	v_lshlrev_b32_e32 v10, 24, v10
	v_and_b32_e32 v11, 7, v7
	v_bfe_u32 v14, v7, 3, 4
	v_and_b32_e32 v10, 0x80000000, v10
	v_ffbh_u32_e32 v12, v11
	v_cmp_eq_u32_e32 vcc_lo, 0, v14
	v_min_u32_e32 v12, 32, v12
	v_subrev_nc_u32_e32 v13, 28, v12
	v_sub_nc_u32_e32 v12, 29, v12
	v_lshlrev_b32_e32 v7, v13, v7
	v_cndmask_b32_e32 v12, v14, v12, vcc_lo
	v_and_b32_e32 v7, 7, v7
	v_cndmask_b32_e32 v7, v11, v7, vcc_lo
	v_lshl_add_u32 v11, v12, 23, 0x3b800000
	v_lshlrev_b32_e32 v7, 20, v7
	v_or3_b32 v7, v10, v11, v7
.LBB15_1472:
	s_or_b32 exec_lo, exec_lo, s11
.LBB15_1473:
	s_mov_b32 s10, -1
.LBB15_1474:
	s_mov_b32 s11, 0
.LBB15_1475:
	s_and_b32 vcc_lo, exec_lo, s11
	s_cbranch_vccz .LBB15_1508
; %bb.1476:
	s_cmp_gt_i32 s0, 22
	s_cbranch_scc0 .LBB15_1486
; %bb.1477:
	s_cmp_lt_i32 s0, 24
	s_cbranch_scc1 .LBB15_1489
; %bb.1478:
	s_cmp_gt_i32 s0, 24
	s_cbranch_scc0 .LBB15_1490
; %bb.1479:
	global_load_ubyte v10, v[0:1], off
	s_mov_b32 s10, exec_lo
	s_waitcnt vmcnt(0)
	v_cmpx_lt_i16_e32 0x7f, v10
	s_xor_b32 s10, exec_lo, s10
	s_cbranch_execz .LBB15_1502
; %bb.1480:
	s_mov_b32 s5, -1
	s_mov_b32 s11, exec_lo
	v_cmpx_eq_u16_e32 0x80, v10
; %bb.1481:
	s_xor_b32 s5, exec_lo, -1
; %bb.1482:
	s_or_b32 exec_lo, exec_lo, s11
	s_and_b32 s5, s5, exec_lo
	s_or_saveexec_b32 s10, s10
	v_mov_b32_e32 v7, 0x7f800001
	s_xor_b32 exec_lo, exec_lo, s10
	s_cbranch_execnz .LBB15_1503
.LBB15_1483:
	s_or_b32 exec_lo, exec_lo, s10
	s_and_saveexec_b32 s10, s5
	s_cbranch_execz .LBB15_1485
.LBB15_1484:
	v_and_b32_e32 v7, 0xffff, v10
	v_lshlrev_b32_e32 v10, 24, v10
	v_and_b32_e32 v11, 3, v7
	v_bfe_u32 v14, v7, 2, 5
	v_and_b32_e32 v10, 0x80000000, v10
	v_ffbh_u32_e32 v12, v11
	v_cmp_eq_u32_e32 vcc_lo, 0, v14
	v_min_u32_e32 v12, 32, v12
	v_subrev_nc_u32_e32 v13, 29, v12
	v_sub_nc_u32_e32 v12, 30, v12
	v_lshlrev_b32_e32 v7, v13, v7
	v_cndmask_b32_e32 v12, v14, v12, vcc_lo
	v_and_b32_e32 v7, 3, v7
	v_cndmask_b32_e32 v7, v11, v7, vcc_lo
	v_lshl_add_u32 v11, v12, 23, 0x37800000
	v_lshlrev_b32_e32 v7, 21, v7
	v_or3_b32 v7, v10, v11, v7
.LBB15_1485:
	s_or_b32 exec_lo, exec_lo, s10
	s_mov_b32 s5, 0
	s_branch .LBB15_1491
.LBB15_1486:
	s_mov_b32 s5, -1
                                        ; implicit-def: $vgpr7
	s_branch .LBB15_1497
.LBB15_1487:
	s_or_saveexec_b32 s11, s11
	v_mov_b32_e32 v7, 0x7f800001
	s_xor_b32 exec_lo, exec_lo, s11
	s_cbranch_execz .LBB15_1470
.LBB15_1488:
	v_cmp_ne_u16_e32 vcc_lo, 0, v10
	v_mov_b32_e32 v7, 0
	s_andn2_b32 s10, s10, exec_lo
	s_and_b32 s16, vcc_lo, exec_lo
	s_or_b32 s10, s10, s16
	s_or_b32 exec_lo, exec_lo, s11
	s_and_saveexec_b32 s11, s10
	s_cbranch_execnz .LBB15_1471
	s_branch .LBB15_1472
.LBB15_1489:
	s_mov_b32 s5, -1
                                        ; implicit-def: $vgpr7
	s_branch .LBB15_1494
.LBB15_1490:
	s_mov_b32 s5, -1
                                        ; implicit-def: $vgpr7
.LBB15_1491:
	s_and_b32 vcc_lo, exec_lo, s5
	s_cbranch_vccz .LBB15_1493
; %bb.1492:
	global_load_ubyte v7, v[0:1], off
	s_waitcnt vmcnt(0)
	v_lshlrev_b32_e32 v7, 24, v7
	v_and_b32_e32 v10, 0x7f000000, v7
	v_ffbh_u32_e32 v11, v10
	v_add_nc_u32_e32 v13, 0x1000000, v10
	v_cmp_ne_u32_e32 vcc_lo, 0, v10
	v_min_u32_e32 v11, 32, v11
	v_sub_nc_u32_e64 v11, v11, 4 clamp
	v_lshlrev_b32_e32 v12, v11, v10
	v_lshlrev_b32_e32 v11, 23, v11
	v_lshrrev_b32_e32 v12, 4, v12
	v_sub_nc_u32_e32 v11, v12, v11
	v_ashrrev_i32_e32 v12, 8, v13
	v_add_nc_u32_e32 v11, 0x3c000000, v11
	v_and_or_b32 v11, 0x7f800000, v12, v11
	v_cndmask_b32_e32 v10, 0, v11, vcc_lo
	v_and_or_b32 v7, 0x80000000, v7, v10
.LBB15_1493:
	s_mov_b32 s5, 0
.LBB15_1494:
	s_andn2_b32 vcc_lo, exec_lo, s5
	s_cbranch_vccnz .LBB15_1496
; %bb.1495:
	global_load_ubyte v7, v[0:1], off
	s_waitcnt vmcnt(0)
	v_lshlrev_b32_e32 v10, 25, v7
	v_lshlrev_b16 v7, 8, v7
	v_lshrrev_b32_e32 v11, 4, v10
	v_and_or_b32 v12, 0x7f00, v7, 0.5
	v_cmp_gt_u32_e32 vcc_lo, 0x8000000, v10
	v_bfe_i32 v7, v7, 0, 16
	v_or_b32_e32 v11, 0x70000000, v11
	v_add_f32_e32 v12, -0.5, v12
	v_mul_f32_e32 v11, 0x7800000, v11
	v_cndmask_b32_e32 v10, v11, v12, vcc_lo
	v_and_or_b32 v7, 0x80000000, v7, v10
.LBB15_1496:
	s_mov_b32 s5, 0
	s_mov_b32 s10, -1
.LBB15_1497:
	s_andn2_b32 vcc_lo, exec_lo, s5
	s_mov_b32 s5, 0
	s_cbranch_vccnz .LBB15_1508
; %bb.1498:
	s_cmp_gt_i32 s0, 14
	s_cbranch_scc0 .LBB15_1501
; %bb.1499:
	s_cmp_eq_u32 s0, 15
	s_cbranch_scc0 .LBB15_1504
; %bb.1500:
	global_load_ushort v7, v[0:1], off
	s_mov_b32 s3, 0
	s_mov_b32 s10, -1
	s_waitcnt vmcnt(0)
	v_lshlrev_b32_e32 v7, 16, v7
	s_branch .LBB15_1506
.LBB15_1501:
	s_mov_b32 s5, -1
	s_branch .LBB15_1505
.LBB15_1502:
	s_or_saveexec_b32 s10, s10
	v_mov_b32_e32 v7, 0x7f800001
	s_xor_b32 exec_lo, exec_lo, s10
	s_cbranch_execz .LBB15_1483
.LBB15_1503:
	v_cmp_ne_u16_e32 vcc_lo, 0, v10
	v_mov_b32_e32 v7, 0
	s_andn2_b32 s5, s5, exec_lo
	s_and_b32 s11, vcc_lo, exec_lo
	s_or_b32 s5, s5, s11
	s_or_b32 exec_lo, exec_lo, s10
	s_and_saveexec_b32 s10, s5
	s_cbranch_execnz .LBB15_1484
	s_branch .LBB15_1485
.LBB15_1504:
	s_mov_b32 s3, -1
.LBB15_1505:
                                        ; implicit-def: $vgpr7
.LBB15_1506:
	s_and_b32 vcc_lo, exec_lo, s5
	s_mov_b32 s5, 0
	s_cbranch_vccz .LBB15_1508
; %bb.1507:
	s_cmp_lg_u32 s0, 11
	s_mov_b32 s5, -1
	s_cselect_b32 s3, -1, 0
.LBB15_1508:
	s_and_b32 vcc_lo, exec_lo, s3
	s_cbranch_vccnz .LBB15_2043
; %bb.1509:
	s_andn2_b32 vcc_lo, exec_lo, s5
	s_cbranch_vccnz .LBB15_1511
.LBB15_1510:
	global_load_ubyte v7, v[0:1], off
	s_mov_b32 s10, -1
	s_waitcnt vmcnt(0)
	v_cmp_ne_u16_e32 vcc_lo, 0, v7
	v_cndmask_b32_e64 v7, 0, 1.0, vcc_lo
.LBB15_1511:
	s_mov_b32 s3, 0
.LBB15_1512:
	s_and_b32 vcc_lo, exec_lo, s3
	s_cbranch_vccz .LBB15_1561
; %bb.1513:
	s_cmp_lt_i32 s0, 5
	s_cbranch_scc1 .LBB15_1518
; %bb.1514:
	s_cmp_lt_i32 s0, 8
	s_cbranch_scc1 .LBB15_1519
	;; [unrolled: 3-line block ×3, first 2 shown]
; %bb.1516:
	s_cmp_gt_i32 s0, 9
	s_cbranch_scc0 .LBB15_1521
; %bb.1517:
	global_load_dwordx2 v[10:11], v[0:1], off
	s_mov_b32 s3, 0
	s_waitcnt vmcnt(0)
	v_cvt_f32_f64_e32 v7, v[10:11]
	s_branch .LBB15_1522
.LBB15_1518:
	s_mov_b32 s3, -1
                                        ; implicit-def: $vgpr7
	s_branch .LBB15_1540
.LBB15_1519:
	s_mov_b32 s3, -1
                                        ; implicit-def: $vgpr7
	s_branch .LBB15_1528
.LBB15_1520:
	s_mov_b32 s3, -1
                                        ; implicit-def: $vgpr7
	s_branch .LBB15_1525
.LBB15_1521:
	s_mov_b32 s3, -1
                                        ; implicit-def: $vgpr7
.LBB15_1522:
	s_andn2_b32 vcc_lo, exec_lo, s3
	s_cbranch_vccnz .LBB15_1524
; %bb.1523:
	global_load_dword v7, v[0:1], off
.LBB15_1524:
	s_mov_b32 s3, 0
.LBB15_1525:
	s_andn2_b32 vcc_lo, exec_lo, s3
	s_cbranch_vccnz .LBB15_1527
; %bb.1526:
	global_load_dword v7, v[0:1], off
	s_waitcnt vmcnt(0)
	v_cvt_f32_f16_e32 v7, v7
.LBB15_1527:
	s_mov_b32 s3, 0
.LBB15_1528:
	s_andn2_b32 vcc_lo, exec_lo, s3
	s_cbranch_vccnz .LBB15_1539
; %bb.1529:
	s_cmp_lt_i32 s0, 6
	s_cbranch_scc1 .LBB15_1532
; %bb.1530:
	s_cmp_gt_i32 s0, 6
	s_cbranch_scc0 .LBB15_1533
; %bb.1531:
	global_load_dwordx2 v[10:11], v[0:1], off
	s_mov_b32 s3, 0
	s_waitcnt vmcnt(0)
	v_cvt_f32_f64_e32 v7, v[10:11]
	s_branch .LBB15_1534
.LBB15_1532:
	s_mov_b32 s3, -1
                                        ; implicit-def: $vgpr7
	s_branch .LBB15_1537
.LBB15_1533:
	s_mov_b32 s3, -1
                                        ; implicit-def: $vgpr7
.LBB15_1534:
	s_andn2_b32 vcc_lo, exec_lo, s3
	s_cbranch_vccnz .LBB15_1536
; %bb.1535:
	global_load_dword v7, v[0:1], off
.LBB15_1536:
	s_mov_b32 s3, 0
.LBB15_1537:
	s_andn2_b32 vcc_lo, exec_lo, s3
	s_cbranch_vccnz .LBB15_1539
; %bb.1538:
	global_load_ushort v7, v[0:1], off
	s_waitcnt vmcnt(0)
	v_cvt_f32_f16_e32 v7, v7
.LBB15_1539:
	s_mov_b32 s3, 0
.LBB15_1540:
	s_andn2_b32 vcc_lo, exec_lo, s3
	s_cbranch_vccnz .LBB15_1560
; %bb.1541:
	s_cmp_lt_i32 s0, 2
	s_cbranch_scc1 .LBB15_1545
; %bb.1542:
	s_cmp_lt_i32 s0, 3
	s_cbranch_scc1 .LBB15_1546
; %bb.1543:
	s_cmp_gt_i32 s0, 3
	s_cbranch_scc0 .LBB15_1547
; %bb.1544:
	global_load_dwordx2 v[10:11], v[0:1], off
	s_mov_b32 s3, 0
	s_waitcnt vmcnt(0)
	v_xor_b32_e32 v7, v10, v11
	v_ffbh_i32_e32 v12, v11
	v_ashrrev_i32_e32 v7, 31, v7
	v_add_nc_u32_e32 v12, -1, v12
	v_add_nc_u32_e32 v7, 32, v7
	v_min_u32_e32 v7, v12, v7
	v_lshlrev_b64 v[10:11], v7, v[10:11]
	v_sub_nc_u32_e32 v7, 32, v7
	v_min_u32_e32 v10, 1, v10
	v_or_b32_e32 v10, v11, v10
	v_cvt_f32_i32_e32 v10, v10
	v_ldexp_f32 v7, v10, v7
	s_branch .LBB15_1548
.LBB15_1545:
	s_mov_b32 s3, -1
                                        ; implicit-def: $vgpr7
	s_branch .LBB15_1554
.LBB15_1546:
	s_mov_b32 s3, -1
                                        ; implicit-def: $vgpr7
	s_branch .LBB15_1551
.LBB15_1547:
	s_mov_b32 s3, -1
                                        ; implicit-def: $vgpr7
.LBB15_1548:
	s_andn2_b32 vcc_lo, exec_lo, s3
	s_cbranch_vccnz .LBB15_1550
; %bb.1549:
	global_load_dword v7, v[0:1], off
	s_waitcnt vmcnt(0)
	v_cvt_f32_i32_e32 v7, v7
.LBB15_1550:
	s_mov_b32 s3, 0
.LBB15_1551:
	s_andn2_b32 vcc_lo, exec_lo, s3
	s_cbranch_vccnz .LBB15_1553
; %bb.1552:
	global_load_sshort v7, v[0:1], off
	s_waitcnt vmcnt(0)
	v_cvt_f32_i32_e32 v7, v7
.LBB15_1553:
	s_mov_b32 s3, 0
.LBB15_1554:
	s_andn2_b32 vcc_lo, exec_lo, s3
	s_cbranch_vccnz .LBB15_1560
; %bb.1555:
	s_cmp_gt_i32 s0, 0
	s_mov_b32 s0, 0
	s_cbranch_scc0 .LBB15_1557
; %bb.1556:
	global_load_sbyte v7, v[0:1], off
	s_waitcnt vmcnt(0)
	v_cvt_f32_i32_e32 v7, v7
	s_branch .LBB15_1558
.LBB15_1557:
	s_mov_b32 s0, -1
                                        ; implicit-def: $vgpr7
.LBB15_1558:
	s_andn2_b32 vcc_lo, exec_lo, s0
	s_cbranch_vccnz .LBB15_1560
; %bb.1559:
	global_load_ubyte v0, v[0:1], off
	s_waitcnt vmcnt(0)
	v_cvt_f32_ubyte0_e32 v7, v0
.LBB15_1560:
	s_mov_b32 s10, -1
.LBB15_1561:
	s_andn2_b32 vcc_lo, exec_lo, s10
	s_cbranch_vccnz .LBB15_1997
; %bb.1562:
	s_waitcnt vmcnt(0)
	v_mov_b32_e32 v10, v9
	s_mov_b32 s0, exec_lo
	v_cmpx_nlg_f32_e64 0x7f800000, |v7|
	s_cbranch_execz .LBB15_1564
; %bb.1563:
	v_mov_b32_e32 v0, 0
	v_mov_b32_e32 v1, 1.0
	global_store_dword v0, v1, s[12:13]
	global_load_dword v10, v0, s[14:15]
.LBB15_1564:
	s_or_b32 exec_lo, exec_lo, s0
	v_mul_lo_u32 v4, s2, v4
	v_mul_f32_e32 v0, v2, v3
	v_cmp_eq_f32_e32 vcc_lo, 1.0, v3
	s_and_b32 s16, s1, 0xff
	s_cmp_lt_i32 s16, 11
	v_cndmask_b32_e32 v2, v0, v2, vcc_lo
	v_ashrrev_i32_e32 v1, 31, v4
	v_add_co_u32 v0, vcc_lo, s8, v4
	v_add_co_ci_u32_e64 v1, null, s9, v1, vcc_lo
	s_cbranch_scc1 .LBB15_1642
; %bb.1565:
	s_and_b32 s1, 0xffff, s16
	s_mov_b32 s10, -1
	s_mov_b32 s3, 0
	s_cmp_gt_i32 s1, 25
	s_mov_b32 s5, 0
	s_mov_b32 s0, 0
	s_cbranch_scc0 .LBB15_1598
; %bb.1566:
	s_cmp_gt_i32 s1, 28
	s_cbranch_scc0 .LBB15_1581
; %bb.1567:
	s_cmp_gt_i32 s1, 43
	;; [unrolled: 3-line block ×3, first 2 shown]
	s_cbranch_scc0 .LBB15_1571
; %bb.1569:
	s_mov_b32 s0, -1
	s_mov_b32 s10, 0
	s_cmp_eq_u32 s1, 46
	s_cbranch_scc0 .LBB15_1571
; %bb.1570:
	v_bfe_u32 v3, v2, 16, 1
	v_cmp_o_f32_e32 vcc_lo, v2, v2
	v_mov_b32_e32 v11, 0x7fc0
	s_mov_b32 s0, 0
	s_mov_b32 s5, -1
	v_add3_u32 v3, v2, v3, 0x7fff
	v_cndmask_b32_sdwa v3, v11, v3, vcc_lo dst_sel:DWORD dst_unused:UNUSED_PAD src0_sel:DWORD src1_sel:WORD_1
	global_store_dword v[0:1], v3, off
.LBB15_1571:
	s_and_b32 vcc_lo, exec_lo, s10
	s_cbranch_vccz .LBB15_1576
; %bb.1572:
	s_cmp_eq_u32 s1, 44
	s_mov_b32 s0, -1
	s_cbranch_scc0 .LBB15_1576
; %bb.1573:
	v_bfe_u32 v11, v2, 23, 8
	v_mov_b32_e32 v3, 0xff
	s_mov_b32 s5, exec_lo
	v_cmpx_ne_u32_e32 0xff, v11
	s_cbranch_execz .LBB15_1575
; %bb.1574:
	v_and_b32_e32 v3, 0x400000, v2
	v_and_or_b32 v11, 0x3fffff, v2, v11
	v_cmp_ne_u32_e32 vcc_lo, 0, v3
	v_cmp_ne_u32_e64 s0, 0, v11
	v_lshrrev_b32_e32 v3, 23, v2
	s_and_b32 s0, vcc_lo, s0
	v_cndmask_b32_e64 v11, 0, 1, s0
	v_add_nc_u32_e32 v3, v3, v11
.LBB15_1575:
	s_or_b32 exec_lo, exec_lo, s5
	s_mov_b32 s0, 0
	s_mov_b32 s5, -1
	global_store_byte v[0:1], v3, off
.LBB15_1576:
	s_mov_b32 s10, 0
.LBB15_1577:
	s_and_b32 vcc_lo, exec_lo, s10
	s_cbranch_vccz .LBB15_1580
; %bb.1578:
	s_cmp_eq_u32 s1, 29
	s_mov_b32 s0, -1
	s_cbranch_scc0 .LBB15_1580
; %bb.1579:
	v_trunc_f32_e32 v3, v2
	s_mov_b32 s0, 0
	s_mov_b32 s5, -1
	v_mul_f32_e32 v11, 0x2f800000, v3
	v_floor_f32_e32 v11, v11
	v_fmamk_f32 v3, v11, 0xcf800000, v3
	v_cvt_u32_f32_e32 v12, v11
	v_cvt_u32_f32_e32 v11, v3
	global_store_dwordx2 v[0:1], v[11:12], off
.LBB15_1580:
	s_mov_b32 s10, 0
.LBB15_1581:
	s_and_b32 vcc_lo, exec_lo, s10
	s_cbranch_vccz .LBB15_1597
; %bb.1582:
	s_cmp_lt_i32 s1, 27
	s_mov_b32 s5, -1
	s_cbranch_scc1 .LBB15_1588
; %bb.1583:
	v_cvt_u32_f32_e32 v3, v2
	s_cmp_gt_i32 s1, 27
	s_cbranch_scc0 .LBB15_1585
; %bb.1584:
	s_mov_b32 s5, 0
	global_store_dword v[0:1], v3, off
.LBB15_1585:
	s_andn2_b32 vcc_lo, exec_lo, s5
	s_cbranch_vccnz .LBB15_1587
; %bb.1586:
	global_store_short v[0:1], v3, off
.LBB15_1587:
	s_mov_b32 s5, 0
.LBB15_1588:
	s_andn2_b32 vcc_lo, exec_lo, s5
	s_cbranch_vccnz .LBB15_1596
; %bb.1589:
	v_and_b32_e32 v3, 0x7fffffff, v2
	v_mov_b32_e32 v11, 0x80
	s_mov_b32 s5, exec_lo
	v_cmpx_gt_u32_e32 0x43800000, v3
	s_cbranch_execz .LBB15_1595
; %bb.1590:
	v_cmp_lt_u32_e32 vcc_lo, 0x3bffffff, v3
	s_mov_b32 s10, 0
                                        ; implicit-def: $vgpr3
	s_and_saveexec_b32 s11, vcc_lo
	s_xor_b32 s11, exec_lo, s11
	s_cbranch_execz .LBB15_2044
; %bb.1591:
	v_bfe_u32 v3, v2, 20, 1
	s_mov_b32 s10, exec_lo
	v_add3_u32 v3, v2, v3, 0x487ffff
	v_lshrrev_b32_e32 v3, 20, v3
	s_andn2_saveexec_b32 s11, s11
	s_cbranch_execnz .LBB15_2045
.LBB15_1592:
	s_or_b32 exec_lo, exec_lo, s11
	v_mov_b32_e32 v11, 0
	s_and_saveexec_b32 s11, s10
.LBB15_1593:
	v_lshrrev_b32_e32 v11, 24, v2
	v_and_or_b32 v11, 0x80, v11, v3
.LBB15_1594:
	s_or_b32 exec_lo, exec_lo, s11
.LBB15_1595:
	s_or_b32 exec_lo, exec_lo, s5
	global_store_byte v[0:1], v11, off
.LBB15_1596:
	s_mov_b32 s5, -1
.LBB15_1597:
	s_mov_b32 s10, 0
.LBB15_1598:
	s_and_b32 vcc_lo, exec_lo, s10
	s_cbranch_vccz .LBB15_1638
; %bb.1599:
	s_cmp_gt_i32 s1, 22
	s_mov_b32 s3, -1
	s_cbranch_scc0 .LBB15_1631
; %bb.1600:
	s_cmp_lt_i32 s1, 24
	s_cbranch_scc1 .LBB15_1620
; %bb.1601:
	s_cmp_gt_i32 s1, 24
	s_cbranch_scc0 .LBB15_1609
; %bb.1602:
	v_and_b32_e32 v3, 0x7fffffff, v2
	v_mov_b32_e32 v11, 0x80
	s_mov_b32 s3, exec_lo
	v_cmpx_gt_u32_e32 0x47800000, v3
	s_cbranch_execz .LBB15_1608
; %bb.1603:
	v_cmp_lt_u32_e32 vcc_lo, 0x37ffffff, v3
	s_mov_b32 s5, 0
                                        ; implicit-def: $vgpr3
	s_and_saveexec_b32 s10, vcc_lo
	s_xor_b32 s10, exec_lo, s10
	s_cbranch_execz .LBB15_2047
; %bb.1604:
	v_bfe_u32 v3, v2, 21, 1
	s_mov_b32 s5, exec_lo
	v_add3_u32 v3, v2, v3, 0x88fffff
	v_lshrrev_b32_e32 v3, 21, v3
	s_andn2_saveexec_b32 s10, s10
	s_cbranch_execnz .LBB15_2048
.LBB15_1605:
	s_or_b32 exec_lo, exec_lo, s10
	v_mov_b32_e32 v11, 0
	s_and_saveexec_b32 s10, s5
.LBB15_1606:
	v_lshrrev_b32_e32 v11, 24, v2
	v_and_or_b32 v11, 0x80, v11, v3
.LBB15_1607:
	s_or_b32 exec_lo, exec_lo, s10
.LBB15_1608:
	s_or_b32 exec_lo, exec_lo, s3
	s_mov_b32 s3, 0
	global_store_byte v[0:1], v11, off
.LBB15_1609:
	s_and_b32 vcc_lo, exec_lo, s3
	s_cbranch_vccz .LBB15_1619
; %bb.1610:
	v_and_b32_e32 v11, 0x7fffffff, v2
	s_mov_b32 s3, exec_lo
                                        ; implicit-def: $vgpr3
	v_cmpx_gt_u32_e32 0x43f00000, v11
	s_xor_b32 s3, exec_lo, s3
	s_cbranch_execz .LBB15_1616
; %bb.1611:
	s_mov_b32 s5, exec_lo
                                        ; implicit-def: $vgpr3
	v_cmpx_lt_u32_e32 0x3c7fffff, v11
	s_xor_b32 s5, exec_lo, s5
; %bb.1612:
	v_bfe_u32 v3, v2, 20, 1
	v_add3_u32 v3, v2, v3, 0x407ffff
	v_and_b32_e32 v11, 0xff00000, v3
	v_lshrrev_b32_e32 v3, 20, v3
	v_cmp_ne_u32_e32 vcc_lo, 0x7f00000, v11
	v_cndmask_b32_e32 v3, 0x7e, v3, vcc_lo
; %bb.1613:
	s_andn2_saveexec_b32 s5, s5
; %bb.1614:
	v_add_f32_e64 v3, 0x46800000, |v2|
; %bb.1615:
	s_or_b32 exec_lo, exec_lo, s5
                                        ; implicit-def: $vgpr11
.LBB15_1616:
	s_andn2_saveexec_b32 s3, s3
; %bb.1617:
	v_mov_b32_e32 v3, 0x7f
	v_cmp_lt_u32_e32 vcc_lo, 0x7f800000, v11
	v_cndmask_b32_e32 v3, 0x7e, v3, vcc_lo
; %bb.1618:
	s_or_b32 exec_lo, exec_lo, s3
	v_lshrrev_b32_e32 v11, 24, v2
	v_and_or_b32 v3, 0x80, v11, v3
	global_store_byte v[0:1], v3, off
.LBB15_1619:
	s_mov_b32 s3, 0
.LBB15_1620:
	s_andn2_b32 vcc_lo, exec_lo, s3
	s_cbranch_vccnz .LBB15_1630
; %bb.1621:
	v_and_b32_e32 v11, 0x7fffffff, v2
	s_mov_b32 s3, exec_lo
                                        ; implicit-def: $vgpr3
	v_cmpx_gt_u32_e32 0x47800000, v11
	s_xor_b32 s3, exec_lo, s3
	s_cbranch_execz .LBB15_1627
; %bb.1622:
	s_mov_b32 s5, exec_lo
                                        ; implicit-def: $vgpr3
	v_cmpx_lt_u32_e32 0x387fffff, v11
	s_xor_b32 s5, exec_lo, s5
; %bb.1623:
	v_bfe_u32 v3, v2, 21, 1
	v_add3_u32 v3, v2, v3, 0x80fffff
	v_lshrrev_b32_e32 v3, 21, v3
; %bb.1624:
	s_andn2_saveexec_b32 s5, s5
; %bb.1625:
	v_add_f32_e64 v3, 0x43000000, |v2|
; %bb.1626:
	s_or_b32 exec_lo, exec_lo, s5
                                        ; implicit-def: $vgpr11
.LBB15_1627:
	s_andn2_saveexec_b32 s3, s3
; %bb.1628:
	v_mov_b32_e32 v3, 0x7f
	v_cmp_lt_u32_e32 vcc_lo, 0x7f800000, v11
	v_cndmask_b32_e32 v3, 0x7c, v3, vcc_lo
; %bb.1629:
	s_or_b32 exec_lo, exec_lo, s3
	v_lshrrev_b32_e32 v11, 24, v2
	v_and_or_b32 v3, 0x80, v11, v3
	global_store_byte v[0:1], v3, off
.LBB15_1630:
	s_mov_b32 s3, 0
	s_mov_b32 s5, -1
.LBB15_1631:
	s_andn2_b32 vcc_lo, exec_lo, s3
	s_mov_b32 s3, 0
	s_cbranch_vccnz .LBB15_1638
; %bb.1632:
	s_cmp_gt_i32 s1, 14
	s_mov_b32 s3, -1
	s_cbranch_scc0 .LBB15_1636
; %bb.1633:
	s_cmp_eq_u32 s1, 15
	s_mov_b32 s0, -1
	s_cbranch_scc0 .LBB15_1635
; %bb.1634:
	v_bfe_u32 v3, v2, 16, 1
	v_cmp_o_f32_e32 vcc_lo, v2, v2
	v_mov_b32_e32 v11, 0x7fc0
	s_mov_b32 s0, 0
	s_mov_b32 s5, -1
	v_add3_u32 v3, v2, v3, 0x7fff
	v_cndmask_b32_sdwa v3, v11, v3, vcc_lo dst_sel:DWORD dst_unused:UNUSED_PAD src0_sel:DWORD src1_sel:WORD_1
	global_store_short v[0:1], v3, off
.LBB15_1635:
	s_mov_b32 s3, 0
.LBB15_1636:
	s_and_b32 vcc_lo, exec_lo, s3
	s_mov_b32 s3, 0
	s_cbranch_vccz .LBB15_1638
; %bb.1637:
	s_cmp_lg_u32 s1, 11
	s_mov_b32 s3, -1
	s_cselect_b32 s0, -1, 0
.LBB15_1638:
	s_and_b32 vcc_lo, exec_lo, s0
	s_cbranch_vccnz .LBB15_2046
; %bb.1639:
	s_andn2_b32 vcc_lo, exec_lo, s3
	s_cbranch_vccnz .LBB15_1641
.LBB15_1640:
	v_cmp_neq_f32_e32 vcc_lo, 0, v2
	s_mov_b32 s5, -1
	v_cndmask_b32_e64 v3, 0, 1, vcc_lo
	global_store_byte v[0:1], v3, off
.LBB15_1641:
	s_mov_b32 s0, 0
	s_branch .LBB15_1643
.LBB15_1642:
	s_mov_b32 s0, -1
	s_mov_b32 s5, 0
.LBB15_1643:
	s_and_b32 vcc_lo, exec_lo, s0
	s_cbranch_vccz .LBB15_1682
; %bb.1644:
	s_and_b32 s0, 0xffff, s16
	s_mov_b32 s1, -1
	s_cmp_lt_i32 s0, 5
	s_cbranch_scc1 .LBB15_1665
; %bb.1645:
	s_cmp_lt_i32 s0, 8
	s_cbranch_scc1 .LBB15_1655
; %bb.1646:
	;; [unrolled: 3-line block ×3, first 2 shown]
	s_cmp_gt_i32 s0, 9
	s_cbranch_scc0 .LBB15_1649
; %bb.1648:
	v_cvt_f64_f32_e32 v[11:12], v2
	v_mov_b32_e32 v13, 0
	s_mov_b32 s1, 0
	v_mov_b32_e32 v14, v13
	global_store_dwordx4 v[0:1], v[11:14], off
.LBB15_1649:
	s_andn2_b32 vcc_lo, exec_lo, s1
	s_cbranch_vccnz .LBB15_1651
; %bb.1650:
	v_mov_b32_e32 v3, 0
	global_store_dwordx2 v[0:1], v[2:3], off
.LBB15_1651:
	s_mov_b32 s1, 0
.LBB15_1652:
	s_andn2_b32 vcc_lo, exec_lo, s1
	s_cbranch_vccnz .LBB15_1654
; %bb.1653:
	v_cvt_f16_f32_e32 v3, v2
	v_and_b32_e32 v3, 0xffff, v3
	global_store_dword v[0:1], v3, off
.LBB15_1654:
	s_mov_b32 s1, 0
.LBB15_1655:
	s_andn2_b32 vcc_lo, exec_lo, s1
	s_cbranch_vccnz .LBB15_1664
; %bb.1656:
	s_cmp_lt_i32 s0, 6
	s_mov_b32 s1, -1
	s_cbranch_scc1 .LBB15_1662
; %bb.1657:
	s_cmp_gt_i32 s0, 6
	s_cbranch_scc0 .LBB15_1659
; %bb.1658:
	v_cvt_f64_f32_e32 v[11:12], v2
	s_mov_b32 s1, 0
	global_store_dwordx2 v[0:1], v[11:12], off
.LBB15_1659:
	s_andn2_b32 vcc_lo, exec_lo, s1
	s_cbranch_vccnz .LBB15_1661
; %bb.1660:
	global_store_dword v[0:1], v2, off
.LBB15_1661:
	s_mov_b32 s1, 0
.LBB15_1662:
	s_andn2_b32 vcc_lo, exec_lo, s1
	s_cbranch_vccnz .LBB15_1664
; %bb.1663:
	v_cvt_f16_f32_e32 v3, v2
	global_store_short v[0:1], v3, off
.LBB15_1664:
	s_mov_b32 s1, 0
.LBB15_1665:
	s_andn2_b32 vcc_lo, exec_lo, s1
	s_cbranch_vccnz .LBB15_1681
; %bb.1666:
	s_cmp_lt_i32 s0, 2
	s_mov_b32 s1, -1
	s_cbranch_scc1 .LBB15_1676
; %bb.1667:
	s_cmp_lt_i32 s0, 3
	s_cbranch_scc1 .LBB15_1673
; %bb.1668:
	s_cmp_gt_i32 s0, 3
	s_cbranch_scc0 .LBB15_1670
; %bb.1669:
	v_trunc_f32_e32 v3, v2
	s_mov_b32 s1, 0
	v_mul_f32_e64 v11, 0x2f800000, |v3|
	v_floor_f32_e32 v11, v11
	v_fma_f32 v12, 0xcf800000, v11, |v3|
	v_ashrrev_i32_e32 v3, 31, v3
	v_cvt_u32_f32_e32 v11, v11
	v_cvt_u32_f32_e32 v12, v12
	v_xor_b32_e32 v13, v11, v3
	v_xor_b32_e32 v12, v12, v3
	v_sub_co_u32 v11, vcc_lo, v12, v3
	v_sub_co_ci_u32_e64 v12, null, v13, v3, vcc_lo
	global_store_dwordx2 v[0:1], v[11:12], off
.LBB15_1670:
	s_andn2_b32 vcc_lo, exec_lo, s1
	s_cbranch_vccnz .LBB15_1672
; %bb.1671:
	v_cvt_i32_f32_e32 v3, v2
	global_store_dword v[0:1], v3, off
.LBB15_1672:
	s_mov_b32 s1, 0
.LBB15_1673:
	s_andn2_b32 vcc_lo, exec_lo, s1
	s_cbranch_vccnz .LBB15_1675
; %bb.1674:
	v_cvt_i32_f32_e32 v3, v2
	global_store_short v[0:1], v3, off
.LBB15_1675:
	s_mov_b32 s1, 0
.LBB15_1676:
	s_andn2_b32 vcc_lo, exec_lo, s1
	s_cbranch_vccnz .LBB15_1681
; %bb.1677:
	s_cmp_gt_i32 s0, 0
	s_mov_b32 s0, -1
	s_cbranch_scc0 .LBB15_1679
; %bb.1678:
	v_cvt_i32_f32_e32 v3, v2
	s_mov_b32 s0, 0
	global_store_byte v[0:1], v3, off
.LBB15_1679:
	s_andn2_b32 vcc_lo, exec_lo, s0
	s_cbranch_vccnz .LBB15_1681
; %bb.1680:
	v_trunc_f32_e32 v2, v2
	v_mul_f32_e64 v3, 0x2f800000, |v2|
	v_floor_f32_e32 v3, v3
	v_fma_f32 v3, 0xcf800000, v3, |v2|
	v_ashrrev_i32_e32 v2, 31, v2
	v_cvt_u32_f32_e32 v3, v3
	v_xor_b32_e32 v3, v3, v2
	v_sub_nc_u32_e32 v2, v3, v2
	global_store_byte v[0:1], v2, off
.LBB15_1681:
	s_mov_b32 s5, -1
.LBB15_1682:
	s_andn2_b32 vcc_lo, exec_lo, s5
	s_cbranch_vccnz .LBB15_1997
; %bb.1683:
	s_lshl_b32 s1, s2, 7
	v_mul_f32_e32 v0, v5, v8
	v_add_nc_u32_e32 v4, s1, v4
	v_cmp_eq_f32_e32 vcc_lo, 1.0, v8
	s_cmp_lt_i32 s16, 11
	v_ashrrev_i32_e32 v1, 31, v4
	v_cndmask_b32_e32 v2, v0, v5, vcc_lo
	v_add_co_u32 v0, vcc_lo, s8, v4
	v_add_co_ci_u32_e64 v1, null, s9, v1, vcc_lo
	s_cbranch_scc1 .LBB15_1761
; %bb.1684:
	s_and_b32 s2, 0xffff, s16
	s_mov_b32 s10, -1
	s_mov_b32 s3, 0
	s_cmp_gt_i32 s2, 25
	s_mov_b32 s5, 0
	s_mov_b32 s0, 0
	s_cbranch_scc0 .LBB15_1717
; %bb.1685:
	s_cmp_gt_i32 s2, 28
	s_cbranch_scc0 .LBB15_1700
; %bb.1686:
	s_cmp_gt_i32 s2, 43
	;; [unrolled: 3-line block ×3, first 2 shown]
	s_cbranch_scc0 .LBB15_1690
; %bb.1688:
	s_mov_b32 s0, -1
	s_mov_b32 s10, 0
	s_cmp_eq_u32 s2, 46
	s_cbranch_scc0 .LBB15_1690
; %bb.1689:
	v_bfe_u32 v3, v2, 16, 1
	v_cmp_o_f32_e32 vcc_lo, v2, v2
	v_mov_b32_e32 v5, 0x7fc0
	s_mov_b32 s0, 0
	s_mov_b32 s5, -1
	v_add3_u32 v3, v2, v3, 0x7fff
	v_cndmask_b32_sdwa v3, v5, v3, vcc_lo dst_sel:DWORD dst_unused:UNUSED_PAD src0_sel:DWORD src1_sel:WORD_1
	global_store_dword v[0:1], v3, off
.LBB15_1690:
	s_and_b32 vcc_lo, exec_lo, s10
	s_cbranch_vccz .LBB15_1695
; %bb.1691:
	s_cmp_eq_u32 s2, 44
	s_mov_b32 s0, -1
	s_cbranch_scc0 .LBB15_1695
; %bb.1692:
	v_bfe_u32 v5, v2, 23, 8
	v_mov_b32_e32 v3, 0xff
	s_mov_b32 s5, exec_lo
	v_cmpx_ne_u32_e32 0xff, v5
	s_cbranch_execz .LBB15_1694
; %bb.1693:
	v_and_b32_e32 v3, 0x400000, v2
	v_and_or_b32 v5, 0x3fffff, v2, v5
	v_cmp_ne_u32_e32 vcc_lo, 0, v3
	v_cmp_ne_u32_e64 s0, 0, v5
	v_lshrrev_b32_e32 v3, 23, v2
	s_and_b32 s0, vcc_lo, s0
	v_cndmask_b32_e64 v5, 0, 1, s0
	v_add_nc_u32_e32 v3, v3, v5
.LBB15_1694:
	s_or_b32 exec_lo, exec_lo, s5
	s_mov_b32 s0, 0
	s_mov_b32 s5, -1
	global_store_byte v[0:1], v3, off
.LBB15_1695:
	s_mov_b32 s10, 0
.LBB15_1696:
	s_and_b32 vcc_lo, exec_lo, s10
	s_cbranch_vccz .LBB15_1699
; %bb.1697:
	s_cmp_eq_u32 s2, 29
	s_mov_b32 s0, -1
	s_cbranch_scc0 .LBB15_1699
; %bb.1698:
	v_trunc_f32_e32 v3, v2
	s_mov_b32 s0, 0
	s_mov_b32 s5, -1
	v_mul_f32_e32 v5, 0x2f800000, v3
	v_floor_f32_e32 v5, v5
	v_fmamk_f32 v3, v5, 0xcf800000, v3
	v_cvt_u32_f32_e32 v12, v5
	v_cvt_u32_f32_e32 v11, v3
	global_store_dwordx2 v[0:1], v[11:12], off
.LBB15_1699:
	s_mov_b32 s10, 0
.LBB15_1700:
	s_and_b32 vcc_lo, exec_lo, s10
	s_cbranch_vccz .LBB15_1716
; %bb.1701:
	s_cmp_lt_i32 s2, 27
	s_mov_b32 s5, -1
	s_cbranch_scc1 .LBB15_1707
; %bb.1702:
	v_cvt_u32_f32_e32 v3, v2
	s_cmp_gt_i32 s2, 27
	s_cbranch_scc0 .LBB15_1704
; %bb.1703:
	s_mov_b32 s5, 0
	global_store_dword v[0:1], v3, off
.LBB15_1704:
	s_andn2_b32 vcc_lo, exec_lo, s5
	s_cbranch_vccnz .LBB15_1706
; %bb.1705:
	global_store_short v[0:1], v3, off
.LBB15_1706:
	s_mov_b32 s5, 0
.LBB15_1707:
	s_andn2_b32 vcc_lo, exec_lo, s5
	s_cbranch_vccnz .LBB15_1715
; %bb.1708:
	v_and_b32_e32 v3, 0x7fffffff, v2
	v_mov_b32_e32 v5, 0x80
	s_mov_b32 s5, exec_lo
	v_cmpx_gt_u32_e32 0x43800000, v3
	s_cbranch_execz .LBB15_1714
; %bb.1709:
	v_cmp_lt_u32_e32 vcc_lo, 0x3bffffff, v3
	s_mov_b32 s10, 0
                                        ; implicit-def: $vgpr3
	s_and_saveexec_b32 s11, vcc_lo
	s_xor_b32 s11, exec_lo, s11
	s_cbranch_execz .LBB15_2049
; %bb.1710:
	v_bfe_u32 v3, v2, 20, 1
	s_mov_b32 s10, exec_lo
	v_add3_u32 v3, v2, v3, 0x487ffff
	v_lshrrev_b32_e32 v3, 20, v3
	s_andn2_saveexec_b32 s11, s11
	s_cbranch_execnz .LBB15_2050
.LBB15_1711:
	s_or_b32 exec_lo, exec_lo, s11
	v_mov_b32_e32 v5, 0
	s_and_saveexec_b32 s11, s10
.LBB15_1712:
	v_lshrrev_b32_e32 v5, 24, v2
	v_and_or_b32 v5, 0x80, v5, v3
.LBB15_1713:
	s_or_b32 exec_lo, exec_lo, s11
.LBB15_1714:
	s_or_b32 exec_lo, exec_lo, s5
	global_store_byte v[0:1], v5, off
.LBB15_1715:
	s_mov_b32 s5, -1
.LBB15_1716:
	s_mov_b32 s10, 0
.LBB15_1717:
	s_and_b32 vcc_lo, exec_lo, s10
	s_cbranch_vccz .LBB15_1757
; %bb.1718:
	s_cmp_gt_i32 s2, 22
	s_mov_b32 s3, -1
	s_cbranch_scc0 .LBB15_1750
; %bb.1719:
	s_cmp_lt_i32 s2, 24
	s_cbranch_scc1 .LBB15_1739
; %bb.1720:
	s_cmp_gt_i32 s2, 24
	s_cbranch_scc0 .LBB15_1728
; %bb.1721:
	v_and_b32_e32 v3, 0x7fffffff, v2
	v_mov_b32_e32 v5, 0x80
	s_mov_b32 s3, exec_lo
	v_cmpx_gt_u32_e32 0x47800000, v3
	s_cbranch_execz .LBB15_1727
; %bb.1722:
	v_cmp_lt_u32_e32 vcc_lo, 0x37ffffff, v3
	s_mov_b32 s5, 0
                                        ; implicit-def: $vgpr3
	s_and_saveexec_b32 s10, vcc_lo
	s_xor_b32 s10, exec_lo, s10
	s_cbranch_execz .LBB15_2052
; %bb.1723:
	v_bfe_u32 v3, v2, 21, 1
	s_mov_b32 s5, exec_lo
	v_add3_u32 v3, v2, v3, 0x88fffff
	v_lshrrev_b32_e32 v3, 21, v3
	s_andn2_saveexec_b32 s10, s10
	s_cbranch_execnz .LBB15_2053
.LBB15_1724:
	s_or_b32 exec_lo, exec_lo, s10
	v_mov_b32_e32 v5, 0
	s_and_saveexec_b32 s10, s5
.LBB15_1725:
	v_lshrrev_b32_e32 v5, 24, v2
	v_and_or_b32 v5, 0x80, v5, v3
.LBB15_1726:
	s_or_b32 exec_lo, exec_lo, s10
.LBB15_1727:
	s_or_b32 exec_lo, exec_lo, s3
	s_mov_b32 s3, 0
	global_store_byte v[0:1], v5, off
.LBB15_1728:
	s_and_b32 vcc_lo, exec_lo, s3
	s_cbranch_vccz .LBB15_1738
; %bb.1729:
	v_and_b32_e32 v5, 0x7fffffff, v2
	s_mov_b32 s3, exec_lo
                                        ; implicit-def: $vgpr3
	v_cmpx_gt_u32_e32 0x43f00000, v5
	s_xor_b32 s3, exec_lo, s3
	s_cbranch_execz .LBB15_1735
; %bb.1730:
	s_mov_b32 s5, exec_lo
                                        ; implicit-def: $vgpr3
	v_cmpx_lt_u32_e32 0x3c7fffff, v5
	s_xor_b32 s5, exec_lo, s5
; %bb.1731:
	v_bfe_u32 v3, v2, 20, 1
	v_add3_u32 v3, v2, v3, 0x407ffff
	v_and_b32_e32 v5, 0xff00000, v3
	v_lshrrev_b32_e32 v3, 20, v3
	v_cmp_ne_u32_e32 vcc_lo, 0x7f00000, v5
	v_cndmask_b32_e32 v3, 0x7e, v3, vcc_lo
; %bb.1732:
	s_andn2_saveexec_b32 s5, s5
; %bb.1733:
	v_add_f32_e64 v3, 0x46800000, |v2|
; %bb.1734:
	s_or_b32 exec_lo, exec_lo, s5
                                        ; implicit-def: $vgpr5
.LBB15_1735:
	s_andn2_saveexec_b32 s3, s3
; %bb.1736:
	v_mov_b32_e32 v3, 0x7f
	v_cmp_lt_u32_e32 vcc_lo, 0x7f800000, v5
	v_cndmask_b32_e32 v3, 0x7e, v3, vcc_lo
; %bb.1737:
	s_or_b32 exec_lo, exec_lo, s3
	v_lshrrev_b32_e32 v5, 24, v2
	v_and_or_b32 v3, 0x80, v5, v3
	global_store_byte v[0:1], v3, off
.LBB15_1738:
	s_mov_b32 s3, 0
.LBB15_1739:
	s_andn2_b32 vcc_lo, exec_lo, s3
	s_cbranch_vccnz .LBB15_1749
; %bb.1740:
	v_and_b32_e32 v5, 0x7fffffff, v2
	s_mov_b32 s3, exec_lo
                                        ; implicit-def: $vgpr3
	v_cmpx_gt_u32_e32 0x47800000, v5
	s_xor_b32 s3, exec_lo, s3
	s_cbranch_execz .LBB15_1746
; %bb.1741:
	s_mov_b32 s5, exec_lo
                                        ; implicit-def: $vgpr3
	v_cmpx_lt_u32_e32 0x387fffff, v5
	s_xor_b32 s5, exec_lo, s5
; %bb.1742:
	v_bfe_u32 v3, v2, 21, 1
	v_add3_u32 v3, v2, v3, 0x80fffff
	v_lshrrev_b32_e32 v3, 21, v3
; %bb.1743:
	s_andn2_saveexec_b32 s5, s5
; %bb.1744:
	v_add_f32_e64 v3, 0x43000000, |v2|
; %bb.1745:
	s_or_b32 exec_lo, exec_lo, s5
                                        ; implicit-def: $vgpr5
.LBB15_1746:
	s_andn2_saveexec_b32 s3, s3
; %bb.1747:
	v_mov_b32_e32 v3, 0x7f
	v_cmp_lt_u32_e32 vcc_lo, 0x7f800000, v5
	v_cndmask_b32_e32 v3, 0x7c, v3, vcc_lo
; %bb.1748:
	s_or_b32 exec_lo, exec_lo, s3
	v_lshrrev_b32_e32 v5, 24, v2
	v_and_or_b32 v3, 0x80, v5, v3
	global_store_byte v[0:1], v3, off
.LBB15_1749:
	s_mov_b32 s3, 0
	s_mov_b32 s5, -1
.LBB15_1750:
	s_andn2_b32 vcc_lo, exec_lo, s3
	s_mov_b32 s3, 0
	s_cbranch_vccnz .LBB15_1757
; %bb.1751:
	s_cmp_gt_i32 s2, 14
	s_mov_b32 s3, -1
	s_cbranch_scc0 .LBB15_1755
; %bb.1752:
	s_cmp_eq_u32 s2, 15
	s_mov_b32 s0, -1
	s_cbranch_scc0 .LBB15_1754
; %bb.1753:
	v_bfe_u32 v3, v2, 16, 1
	v_cmp_o_f32_e32 vcc_lo, v2, v2
	v_mov_b32_e32 v5, 0x7fc0
	s_mov_b32 s0, 0
	s_mov_b32 s5, -1
	v_add3_u32 v3, v2, v3, 0x7fff
	v_cndmask_b32_sdwa v3, v5, v3, vcc_lo dst_sel:DWORD dst_unused:UNUSED_PAD src0_sel:DWORD src1_sel:WORD_1
	global_store_short v[0:1], v3, off
.LBB15_1754:
	s_mov_b32 s3, 0
.LBB15_1755:
	s_and_b32 vcc_lo, exec_lo, s3
	s_mov_b32 s3, 0
	s_cbranch_vccz .LBB15_1757
; %bb.1756:
	s_cmp_lg_u32 s2, 11
	s_mov_b32 s3, -1
	s_cselect_b32 s0, -1, 0
.LBB15_1757:
	s_and_b32 vcc_lo, exec_lo, s0
	s_cbranch_vccnz .LBB15_2051
; %bb.1758:
	s_andn2_b32 vcc_lo, exec_lo, s3
	s_cbranch_vccnz .LBB15_1760
.LBB15_1759:
	v_cmp_neq_f32_e32 vcc_lo, 0, v2
	s_mov_b32 s5, -1
	v_cndmask_b32_e64 v3, 0, 1, vcc_lo
	global_store_byte v[0:1], v3, off
.LBB15_1760:
	s_mov_b32 s0, 0
	s_branch .LBB15_1762
.LBB15_1761:
	s_mov_b32 s0, -1
	s_mov_b32 s5, 0
.LBB15_1762:
	s_and_b32 vcc_lo, exec_lo, s0
	s_cbranch_vccz .LBB15_1801
; %bb.1763:
	s_and_b32 s0, 0xffff, s16
	s_mov_b32 s2, -1
	s_cmp_lt_i32 s0, 5
	s_cbranch_scc1 .LBB15_1784
; %bb.1764:
	s_cmp_lt_i32 s0, 8
	s_cbranch_scc1 .LBB15_1774
; %bb.1765:
	s_cmp_lt_i32 s0, 9
	s_cbranch_scc1 .LBB15_1771
; %bb.1766:
	s_cmp_gt_i32 s0, 9
	s_cbranch_scc0 .LBB15_1768
; %bb.1767:
	v_cvt_f64_f32_e32 v[11:12], v2
	v_mov_b32_e32 v13, 0
	s_mov_b32 s2, 0
	v_mov_b32_e32 v14, v13
	global_store_dwordx4 v[0:1], v[11:14], off
.LBB15_1768:
	s_andn2_b32 vcc_lo, exec_lo, s2
	s_cbranch_vccnz .LBB15_1770
; %bb.1769:
	v_mov_b32_e32 v3, 0
	global_store_dwordx2 v[0:1], v[2:3], off
.LBB15_1770:
	s_mov_b32 s2, 0
.LBB15_1771:
	s_andn2_b32 vcc_lo, exec_lo, s2
	s_cbranch_vccnz .LBB15_1773
; %bb.1772:
	v_cvt_f16_f32_e32 v3, v2
	v_and_b32_e32 v3, 0xffff, v3
	global_store_dword v[0:1], v3, off
.LBB15_1773:
	s_mov_b32 s2, 0
.LBB15_1774:
	s_andn2_b32 vcc_lo, exec_lo, s2
	s_cbranch_vccnz .LBB15_1783
; %bb.1775:
	s_cmp_lt_i32 s0, 6
	s_mov_b32 s2, -1
	s_cbranch_scc1 .LBB15_1781
; %bb.1776:
	s_cmp_gt_i32 s0, 6
	s_cbranch_scc0 .LBB15_1778
; %bb.1777:
	v_cvt_f64_f32_e32 v[11:12], v2
	s_mov_b32 s2, 0
	global_store_dwordx2 v[0:1], v[11:12], off
.LBB15_1778:
	s_andn2_b32 vcc_lo, exec_lo, s2
	s_cbranch_vccnz .LBB15_1780
; %bb.1779:
	global_store_dword v[0:1], v2, off
.LBB15_1780:
	s_mov_b32 s2, 0
.LBB15_1781:
	s_andn2_b32 vcc_lo, exec_lo, s2
	s_cbranch_vccnz .LBB15_1783
; %bb.1782:
	v_cvt_f16_f32_e32 v3, v2
	global_store_short v[0:1], v3, off
.LBB15_1783:
	s_mov_b32 s2, 0
.LBB15_1784:
	s_andn2_b32 vcc_lo, exec_lo, s2
	s_cbranch_vccnz .LBB15_1800
; %bb.1785:
	s_cmp_lt_i32 s0, 2
	s_mov_b32 s2, -1
	s_cbranch_scc1 .LBB15_1795
; %bb.1786:
	s_cmp_lt_i32 s0, 3
	s_cbranch_scc1 .LBB15_1792
; %bb.1787:
	s_cmp_gt_i32 s0, 3
	s_cbranch_scc0 .LBB15_1789
; %bb.1788:
	v_trunc_f32_e32 v3, v2
	s_mov_b32 s2, 0
	v_mul_f32_e64 v5, 0x2f800000, |v3|
	v_floor_f32_e32 v5, v5
	v_fma_f32 v8, 0xcf800000, v5, |v3|
	v_ashrrev_i32_e32 v3, 31, v3
	v_cvt_u32_f32_e32 v5, v5
	v_cvt_u32_f32_e32 v8, v8
	v_xor_b32_e32 v5, v5, v3
	v_xor_b32_e32 v8, v8, v3
	v_sub_co_u32 v11, vcc_lo, v8, v3
	v_sub_co_ci_u32_e64 v12, null, v5, v3, vcc_lo
	global_store_dwordx2 v[0:1], v[11:12], off
.LBB15_1789:
	s_andn2_b32 vcc_lo, exec_lo, s2
	s_cbranch_vccnz .LBB15_1791
; %bb.1790:
	v_cvt_i32_f32_e32 v3, v2
	global_store_dword v[0:1], v3, off
.LBB15_1791:
	s_mov_b32 s2, 0
.LBB15_1792:
	s_andn2_b32 vcc_lo, exec_lo, s2
	s_cbranch_vccnz .LBB15_1794
; %bb.1793:
	v_cvt_i32_f32_e32 v3, v2
	global_store_short v[0:1], v3, off
.LBB15_1794:
	s_mov_b32 s2, 0
.LBB15_1795:
	s_andn2_b32 vcc_lo, exec_lo, s2
	s_cbranch_vccnz .LBB15_1800
; %bb.1796:
	s_cmp_gt_i32 s0, 0
	s_mov_b32 s0, -1
	s_cbranch_scc0 .LBB15_1798
; %bb.1797:
	v_cvt_i32_f32_e32 v3, v2
	s_mov_b32 s0, 0
	global_store_byte v[0:1], v3, off
.LBB15_1798:
	s_andn2_b32 vcc_lo, exec_lo, s0
	s_cbranch_vccnz .LBB15_1800
; %bb.1799:
	v_trunc_f32_e32 v2, v2
	v_mul_f32_e64 v3, 0x2f800000, |v2|
	v_floor_f32_e32 v3, v3
	v_fma_f32 v3, 0xcf800000, v3, |v2|
	v_ashrrev_i32_e32 v2, 31, v2
	v_cvt_u32_f32_e32 v3, v3
	v_xor_b32_e32 v3, v3, v2
	v_sub_nc_u32_e32 v2, v3, v2
	global_store_byte v[0:1], v2, off
.LBB15_1800:
	s_mov_b32 s5, -1
.LBB15_1801:
	s_andn2_b32 vcc_lo, exec_lo, s5
	s_cbranch_vccnz .LBB15_1997
; %bb.1802:
	v_add_nc_u32_e32 v4, s1, v4
	v_mul_f32_e32 v0, v6, v9
	v_cmp_eq_f32_e32 vcc_lo, 1.0, v9
	s_cmp_lt_i32 s16, 11
	v_ashrrev_i32_e32 v1, 31, v4
	v_cndmask_b32_e32 v2, v0, v6, vcc_lo
	v_add_co_u32 v0, vcc_lo, s8, v4
	v_add_co_ci_u32_e64 v1, null, s9, v1, vcc_lo
	s_cbranch_scc1 .LBB15_1880
; %bb.1803:
	s_and_b32 s2, 0xffff, s16
	s_mov_b32 s10, -1
	s_mov_b32 s3, 0
	s_cmp_gt_i32 s2, 25
	s_mov_b32 s5, 0
	s_mov_b32 s0, 0
	s_cbranch_scc0 .LBB15_1836
; %bb.1804:
	s_cmp_gt_i32 s2, 28
	s_cbranch_scc0 .LBB15_1819
; %bb.1805:
	s_cmp_gt_i32 s2, 43
	s_cbranch_scc0 .LBB15_1815
; %bb.1806:
	s_cmp_gt_i32 s2, 45
	s_cbranch_scc0 .LBB15_1809
; %bb.1807:
	s_mov_b32 s0, -1
	s_mov_b32 s10, 0
	s_cmp_eq_u32 s2, 46
	s_cbranch_scc0 .LBB15_1809
; %bb.1808:
	v_bfe_u32 v3, v2, 16, 1
	v_cmp_o_f32_e32 vcc_lo, v2, v2
	v_mov_b32_e32 v5, 0x7fc0
	s_mov_b32 s0, 0
	s_mov_b32 s5, -1
	v_add3_u32 v3, v2, v3, 0x7fff
	v_cndmask_b32_sdwa v3, v5, v3, vcc_lo dst_sel:DWORD dst_unused:UNUSED_PAD src0_sel:DWORD src1_sel:WORD_1
	global_store_dword v[0:1], v3, off
.LBB15_1809:
	s_and_b32 vcc_lo, exec_lo, s10
	s_cbranch_vccz .LBB15_1814
; %bb.1810:
	s_cmp_eq_u32 s2, 44
	s_mov_b32 s0, -1
	s_cbranch_scc0 .LBB15_1814
; %bb.1811:
	v_bfe_u32 v5, v2, 23, 8
	v_mov_b32_e32 v3, 0xff
	s_mov_b32 s5, exec_lo
	v_cmpx_ne_u32_e32 0xff, v5
	s_cbranch_execz .LBB15_1813
; %bb.1812:
	v_and_b32_e32 v3, 0x400000, v2
	v_and_or_b32 v5, 0x3fffff, v2, v5
	v_cmp_ne_u32_e32 vcc_lo, 0, v3
	v_cmp_ne_u32_e64 s0, 0, v5
	v_lshrrev_b32_e32 v3, 23, v2
	s_and_b32 s0, vcc_lo, s0
	v_cndmask_b32_e64 v5, 0, 1, s0
	v_add_nc_u32_e32 v3, v3, v5
.LBB15_1813:
	s_or_b32 exec_lo, exec_lo, s5
	s_mov_b32 s0, 0
	s_mov_b32 s5, -1
	global_store_byte v[0:1], v3, off
.LBB15_1814:
	s_mov_b32 s10, 0
.LBB15_1815:
	s_and_b32 vcc_lo, exec_lo, s10
	s_cbranch_vccz .LBB15_1818
; %bb.1816:
	s_cmp_eq_u32 s2, 29
	s_mov_b32 s0, -1
	s_cbranch_scc0 .LBB15_1818
; %bb.1817:
	v_trunc_f32_e32 v3, v2
	s_mov_b32 s0, 0
	s_mov_b32 s5, -1
	v_mul_f32_e32 v5, 0x2f800000, v3
	v_floor_f32_e32 v5, v5
	v_fmamk_f32 v3, v5, 0xcf800000, v3
	v_cvt_u32_f32_e32 v6, v5
	v_cvt_u32_f32_e32 v5, v3
	global_store_dwordx2 v[0:1], v[5:6], off
.LBB15_1818:
	s_mov_b32 s10, 0
.LBB15_1819:
	s_and_b32 vcc_lo, exec_lo, s10
	s_cbranch_vccz .LBB15_1835
; %bb.1820:
	s_cmp_lt_i32 s2, 27
	s_mov_b32 s5, -1
	s_cbranch_scc1 .LBB15_1826
; %bb.1821:
	v_cvt_u32_f32_e32 v3, v2
	s_cmp_gt_i32 s2, 27
	s_cbranch_scc0 .LBB15_1823
; %bb.1822:
	s_mov_b32 s5, 0
	global_store_dword v[0:1], v3, off
.LBB15_1823:
	s_andn2_b32 vcc_lo, exec_lo, s5
	s_cbranch_vccnz .LBB15_1825
; %bb.1824:
	global_store_short v[0:1], v3, off
.LBB15_1825:
	s_mov_b32 s5, 0
.LBB15_1826:
	s_andn2_b32 vcc_lo, exec_lo, s5
	s_cbranch_vccnz .LBB15_1834
; %bb.1827:
	v_and_b32_e32 v3, 0x7fffffff, v2
	v_mov_b32_e32 v5, 0x80
	s_mov_b32 s5, exec_lo
	v_cmpx_gt_u32_e32 0x43800000, v3
	s_cbranch_execz .LBB15_1833
; %bb.1828:
	v_cmp_lt_u32_e32 vcc_lo, 0x3bffffff, v3
	s_mov_b32 s10, 0
                                        ; implicit-def: $vgpr3
	s_and_saveexec_b32 s11, vcc_lo
	s_xor_b32 s11, exec_lo, s11
	s_cbranch_execz .LBB15_2054
; %bb.1829:
	v_bfe_u32 v3, v2, 20, 1
	s_mov_b32 s10, exec_lo
	v_add3_u32 v3, v2, v3, 0x487ffff
	v_lshrrev_b32_e32 v3, 20, v3
	s_andn2_saveexec_b32 s11, s11
	s_cbranch_execnz .LBB15_2055
.LBB15_1830:
	s_or_b32 exec_lo, exec_lo, s11
	v_mov_b32_e32 v5, 0
	s_and_saveexec_b32 s11, s10
.LBB15_1831:
	v_lshrrev_b32_e32 v5, 24, v2
	v_and_or_b32 v5, 0x80, v5, v3
.LBB15_1832:
	s_or_b32 exec_lo, exec_lo, s11
.LBB15_1833:
	s_or_b32 exec_lo, exec_lo, s5
	global_store_byte v[0:1], v5, off
.LBB15_1834:
	s_mov_b32 s5, -1
.LBB15_1835:
	s_mov_b32 s10, 0
.LBB15_1836:
	s_and_b32 vcc_lo, exec_lo, s10
	s_cbranch_vccz .LBB15_1876
; %bb.1837:
	s_cmp_gt_i32 s2, 22
	s_mov_b32 s3, -1
	s_cbranch_scc0 .LBB15_1869
; %bb.1838:
	s_cmp_lt_i32 s2, 24
	s_cbranch_scc1 .LBB15_1858
; %bb.1839:
	s_cmp_gt_i32 s2, 24
	s_cbranch_scc0 .LBB15_1847
; %bb.1840:
	v_and_b32_e32 v3, 0x7fffffff, v2
	v_mov_b32_e32 v5, 0x80
	s_mov_b32 s3, exec_lo
	v_cmpx_gt_u32_e32 0x47800000, v3
	s_cbranch_execz .LBB15_1846
; %bb.1841:
	v_cmp_lt_u32_e32 vcc_lo, 0x37ffffff, v3
	s_mov_b32 s5, 0
                                        ; implicit-def: $vgpr3
	s_and_saveexec_b32 s10, vcc_lo
	s_xor_b32 s10, exec_lo, s10
	s_cbranch_execz .LBB15_2057
; %bb.1842:
	v_bfe_u32 v3, v2, 21, 1
	s_mov_b32 s5, exec_lo
	v_add3_u32 v3, v2, v3, 0x88fffff
	v_lshrrev_b32_e32 v3, 21, v3
	s_andn2_saveexec_b32 s10, s10
	s_cbranch_execnz .LBB15_2058
.LBB15_1843:
	s_or_b32 exec_lo, exec_lo, s10
	v_mov_b32_e32 v5, 0
	s_and_saveexec_b32 s10, s5
.LBB15_1844:
	v_lshrrev_b32_e32 v5, 24, v2
	v_and_or_b32 v5, 0x80, v5, v3
.LBB15_1845:
	s_or_b32 exec_lo, exec_lo, s10
.LBB15_1846:
	s_or_b32 exec_lo, exec_lo, s3
	s_mov_b32 s3, 0
	global_store_byte v[0:1], v5, off
.LBB15_1847:
	s_and_b32 vcc_lo, exec_lo, s3
	s_cbranch_vccz .LBB15_1857
; %bb.1848:
	v_and_b32_e32 v5, 0x7fffffff, v2
	s_mov_b32 s3, exec_lo
                                        ; implicit-def: $vgpr3
	v_cmpx_gt_u32_e32 0x43f00000, v5
	s_xor_b32 s3, exec_lo, s3
	s_cbranch_execz .LBB15_1854
; %bb.1849:
	s_mov_b32 s5, exec_lo
                                        ; implicit-def: $vgpr3
	v_cmpx_lt_u32_e32 0x3c7fffff, v5
	s_xor_b32 s5, exec_lo, s5
; %bb.1850:
	v_bfe_u32 v3, v2, 20, 1
	v_add3_u32 v3, v2, v3, 0x407ffff
	v_and_b32_e32 v5, 0xff00000, v3
	v_lshrrev_b32_e32 v3, 20, v3
	v_cmp_ne_u32_e32 vcc_lo, 0x7f00000, v5
	v_cndmask_b32_e32 v3, 0x7e, v3, vcc_lo
; %bb.1851:
	s_andn2_saveexec_b32 s5, s5
; %bb.1852:
	v_add_f32_e64 v3, 0x46800000, |v2|
; %bb.1853:
	s_or_b32 exec_lo, exec_lo, s5
                                        ; implicit-def: $vgpr5
.LBB15_1854:
	s_andn2_saveexec_b32 s3, s3
; %bb.1855:
	v_mov_b32_e32 v3, 0x7f
	v_cmp_lt_u32_e32 vcc_lo, 0x7f800000, v5
	v_cndmask_b32_e32 v3, 0x7e, v3, vcc_lo
; %bb.1856:
	s_or_b32 exec_lo, exec_lo, s3
	v_lshrrev_b32_e32 v5, 24, v2
	v_and_or_b32 v3, 0x80, v5, v3
	global_store_byte v[0:1], v3, off
.LBB15_1857:
	s_mov_b32 s3, 0
.LBB15_1858:
	s_andn2_b32 vcc_lo, exec_lo, s3
	s_cbranch_vccnz .LBB15_1868
; %bb.1859:
	v_and_b32_e32 v5, 0x7fffffff, v2
	s_mov_b32 s3, exec_lo
                                        ; implicit-def: $vgpr3
	v_cmpx_gt_u32_e32 0x47800000, v5
	s_xor_b32 s3, exec_lo, s3
	s_cbranch_execz .LBB15_1865
; %bb.1860:
	s_mov_b32 s5, exec_lo
                                        ; implicit-def: $vgpr3
	v_cmpx_lt_u32_e32 0x387fffff, v5
	s_xor_b32 s5, exec_lo, s5
; %bb.1861:
	v_bfe_u32 v3, v2, 21, 1
	v_add3_u32 v3, v2, v3, 0x80fffff
	v_lshrrev_b32_e32 v3, 21, v3
; %bb.1862:
	s_andn2_saveexec_b32 s5, s5
; %bb.1863:
	v_add_f32_e64 v3, 0x43000000, |v2|
; %bb.1864:
	s_or_b32 exec_lo, exec_lo, s5
                                        ; implicit-def: $vgpr5
.LBB15_1865:
	s_andn2_saveexec_b32 s3, s3
; %bb.1866:
	v_mov_b32_e32 v3, 0x7f
	v_cmp_lt_u32_e32 vcc_lo, 0x7f800000, v5
	v_cndmask_b32_e32 v3, 0x7c, v3, vcc_lo
; %bb.1867:
	s_or_b32 exec_lo, exec_lo, s3
	v_lshrrev_b32_e32 v5, 24, v2
	v_and_or_b32 v3, 0x80, v5, v3
	global_store_byte v[0:1], v3, off
.LBB15_1868:
	s_mov_b32 s3, 0
	s_mov_b32 s5, -1
.LBB15_1869:
	s_andn2_b32 vcc_lo, exec_lo, s3
	s_mov_b32 s3, 0
	s_cbranch_vccnz .LBB15_1876
; %bb.1870:
	s_cmp_gt_i32 s2, 14
	s_mov_b32 s3, -1
	s_cbranch_scc0 .LBB15_1874
; %bb.1871:
	s_cmp_eq_u32 s2, 15
	s_mov_b32 s0, -1
	s_cbranch_scc0 .LBB15_1873
; %bb.1872:
	v_bfe_u32 v3, v2, 16, 1
	v_cmp_o_f32_e32 vcc_lo, v2, v2
	v_mov_b32_e32 v5, 0x7fc0
	s_mov_b32 s0, 0
	s_mov_b32 s5, -1
	v_add3_u32 v3, v2, v3, 0x7fff
	v_cndmask_b32_sdwa v3, v5, v3, vcc_lo dst_sel:DWORD dst_unused:UNUSED_PAD src0_sel:DWORD src1_sel:WORD_1
	global_store_short v[0:1], v3, off
.LBB15_1873:
	s_mov_b32 s3, 0
.LBB15_1874:
	s_and_b32 vcc_lo, exec_lo, s3
	s_mov_b32 s3, 0
	s_cbranch_vccz .LBB15_1876
; %bb.1875:
	s_cmp_lg_u32 s2, 11
	s_mov_b32 s3, -1
	s_cselect_b32 s0, -1, 0
.LBB15_1876:
	s_and_b32 vcc_lo, exec_lo, s0
	s_cbranch_vccnz .LBB15_2056
; %bb.1877:
	s_andn2_b32 vcc_lo, exec_lo, s3
	s_cbranch_vccnz .LBB15_1879
.LBB15_1878:
	v_cmp_neq_f32_e32 vcc_lo, 0, v2
	s_mov_b32 s5, -1
	v_cndmask_b32_e64 v3, 0, 1, vcc_lo
	global_store_byte v[0:1], v3, off
.LBB15_1879:
	s_mov_b32 s0, 0
	s_branch .LBB15_1881
.LBB15_1880:
	s_mov_b32 s0, -1
	s_mov_b32 s5, 0
.LBB15_1881:
	s_and_b32 vcc_lo, exec_lo, s0
	s_cbranch_vccz .LBB15_1920
; %bb.1882:
	s_and_b32 s0, 0xffff, s16
	s_mov_b32 s2, -1
	s_cmp_lt_i32 s0, 5
	s_cbranch_scc1 .LBB15_1903
; %bb.1883:
	s_cmp_lt_i32 s0, 8
	s_cbranch_scc1 .LBB15_1893
; %bb.1884:
	;; [unrolled: 3-line block ×3, first 2 shown]
	s_cmp_gt_i32 s0, 9
	s_cbranch_scc0 .LBB15_1887
; %bb.1886:
	v_cvt_f64_f32_e32 v[11:12], v2
	v_mov_b32_e32 v13, 0
	s_mov_b32 s2, 0
	v_mov_b32_e32 v14, v13
	global_store_dwordx4 v[0:1], v[11:14], off
.LBB15_1887:
	s_andn2_b32 vcc_lo, exec_lo, s2
	s_cbranch_vccnz .LBB15_1889
; %bb.1888:
	v_mov_b32_e32 v3, 0
	global_store_dwordx2 v[0:1], v[2:3], off
.LBB15_1889:
	s_mov_b32 s2, 0
.LBB15_1890:
	s_andn2_b32 vcc_lo, exec_lo, s2
	s_cbranch_vccnz .LBB15_1892
; %bb.1891:
	v_cvt_f16_f32_e32 v3, v2
	v_and_b32_e32 v3, 0xffff, v3
	global_store_dword v[0:1], v3, off
.LBB15_1892:
	s_mov_b32 s2, 0
.LBB15_1893:
	s_andn2_b32 vcc_lo, exec_lo, s2
	s_cbranch_vccnz .LBB15_1902
; %bb.1894:
	s_cmp_lt_i32 s0, 6
	s_mov_b32 s2, -1
	s_cbranch_scc1 .LBB15_1900
; %bb.1895:
	s_cmp_gt_i32 s0, 6
	s_cbranch_scc0 .LBB15_1897
; %bb.1896:
	v_cvt_f64_f32_e32 v[5:6], v2
	s_mov_b32 s2, 0
	global_store_dwordx2 v[0:1], v[5:6], off
.LBB15_1897:
	s_andn2_b32 vcc_lo, exec_lo, s2
	s_cbranch_vccnz .LBB15_1899
; %bb.1898:
	global_store_dword v[0:1], v2, off
.LBB15_1899:
	s_mov_b32 s2, 0
.LBB15_1900:
	s_andn2_b32 vcc_lo, exec_lo, s2
	s_cbranch_vccnz .LBB15_1902
; %bb.1901:
	v_cvt_f16_f32_e32 v3, v2
	global_store_short v[0:1], v3, off
.LBB15_1902:
	s_mov_b32 s2, 0
.LBB15_1903:
	s_andn2_b32 vcc_lo, exec_lo, s2
	s_cbranch_vccnz .LBB15_1919
; %bb.1904:
	s_cmp_lt_i32 s0, 2
	s_mov_b32 s2, -1
	s_cbranch_scc1 .LBB15_1914
; %bb.1905:
	s_cmp_lt_i32 s0, 3
	s_cbranch_scc1 .LBB15_1911
; %bb.1906:
	s_cmp_gt_i32 s0, 3
	s_cbranch_scc0 .LBB15_1908
; %bb.1907:
	v_trunc_f32_e32 v3, v2
	s_mov_b32 s2, 0
	v_mul_f32_e64 v5, 0x2f800000, |v3|
	v_floor_f32_e32 v5, v5
	v_fma_f32 v6, 0xcf800000, v5, |v3|
	v_ashrrev_i32_e32 v3, 31, v3
	v_cvt_u32_f32_e32 v5, v5
	v_cvt_u32_f32_e32 v6, v6
	v_xor_b32_e32 v8, v5, v3
	v_xor_b32_e32 v6, v6, v3
	v_sub_co_u32 v5, vcc_lo, v6, v3
	v_sub_co_ci_u32_e64 v6, null, v8, v3, vcc_lo
	global_store_dwordx2 v[0:1], v[5:6], off
.LBB15_1908:
	s_andn2_b32 vcc_lo, exec_lo, s2
	s_cbranch_vccnz .LBB15_1910
; %bb.1909:
	v_cvt_i32_f32_e32 v3, v2
	global_store_dword v[0:1], v3, off
.LBB15_1910:
	s_mov_b32 s2, 0
.LBB15_1911:
	s_andn2_b32 vcc_lo, exec_lo, s2
	s_cbranch_vccnz .LBB15_1913
; %bb.1912:
	v_cvt_i32_f32_e32 v3, v2
	global_store_short v[0:1], v3, off
.LBB15_1913:
	s_mov_b32 s2, 0
.LBB15_1914:
	s_andn2_b32 vcc_lo, exec_lo, s2
	s_cbranch_vccnz .LBB15_1919
; %bb.1915:
	s_cmp_gt_i32 s0, 0
	s_mov_b32 s0, -1
	s_cbranch_scc0 .LBB15_1917
; %bb.1916:
	v_cvt_i32_f32_e32 v3, v2
	s_mov_b32 s0, 0
	global_store_byte v[0:1], v3, off
.LBB15_1917:
	s_andn2_b32 vcc_lo, exec_lo, s0
	s_cbranch_vccnz .LBB15_1919
; %bb.1918:
	v_trunc_f32_e32 v2, v2
	v_mul_f32_e64 v3, 0x2f800000, |v2|
	v_floor_f32_e32 v3, v3
	v_fma_f32 v3, 0xcf800000, v3, |v2|
	v_ashrrev_i32_e32 v2, 31, v2
	v_cvt_u32_f32_e32 v3, v3
	v_xor_b32_e32 v3, v3, v2
	v_sub_nc_u32_e32 v2, v3, v2
	global_store_byte v[0:1], v2, off
.LBB15_1919:
	s_mov_b32 s5, -1
.LBB15_1920:
	s_andn2_b32 vcc_lo, exec_lo, s5
	s_cbranch_vccnz .LBB15_1997
; %bb.1921:
	v_add_nc_u32_e32 v0, s1, v4
	s_waitcnt vmcnt(0)
	v_mul_f32_e32 v1, v7, v10
	v_cmp_eq_f32_e32 vcc_lo, 1.0, v10
	s_cmp_lt_i32 s16, 11
	v_ashrrev_i32_e32 v3, 31, v0
	v_cndmask_b32_e32 v2, v1, v7, vcc_lo
	v_add_co_u32 v0, vcc_lo, s8, v0
	v_add_co_ci_u32_e64 v1, null, s9, v3, vcc_lo
	s_cbranch_scc1 .LBB15_2042
; %bb.1922:
	s_and_b32 s1, 0xffff, s16
	s_mov_b32 s3, -1
	s_mov_b32 s2, 0
	s_cmp_gt_i32 s1, 25
	s_mov_b32 s0, 0
	s_cbranch_scc0 .LBB15_1955
; %bb.1923:
	s_cmp_gt_i32 s1, 28
	s_cbranch_scc0 .LBB15_1939
; %bb.1924:
	s_cmp_gt_i32 s1, 43
	s_cbranch_scc0 .LBB15_1935
; %bb.1925:
	s_cmp_gt_i32 s1, 45
	s_cbranch_scc0 .LBB15_1929
; %bb.1926:
	s_cmp_eq_u32 s1, 46
	s_mov_b32 s0, -1
	s_cbranch_scc0 .LBB15_1928
; %bb.1927:
	v_bfe_u32 v3, v2, 16, 1
	v_cmp_o_f32_e32 vcc_lo, v2, v2
	v_mov_b32_e32 v4, 0x7fc0
	s_mov_b32 s0, 0
	v_add3_u32 v3, v2, v3, 0x7fff
	v_cndmask_b32_sdwa v3, v4, v3, vcc_lo dst_sel:DWORD dst_unused:UNUSED_PAD src0_sel:DWORD src1_sel:WORD_1
	global_store_dword v[0:1], v3, off
.LBB15_1928:
	s_mov_b32 s3, 0
.LBB15_1929:
	s_and_b32 vcc_lo, exec_lo, s3
	s_cbranch_vccz .LBB15_1934
; %bb.1930:
	s_cmp_eq_u32 s1, 44
	s_mov_b32 s0, -1
	s_cbranch_scc0 .LBB15_1934
; %bb.1931:
	v_bfe_u32 v4, v2, 23, 8
	v_mov_b32_e32 v3, 0xff
	s_mov_b32 s3, exec_lo
	v_cmpx_ne_u32_e32 0xff, v4
	s_cbranch_execz .LBB15_1933
; %bb.1932:
	v_and_b32_e32 v3, 0x400000, v2
	v_and_or_b32 v4, 0x3fffff, v2, v4
	v_cmp_ne_u32_e32 vcc_lo, 0, v3
	v_cmp_ne_u32_e64 s0, 0, v4
	v_lshrrev_b32_e32 v3, 23, v2
	s_and_b32 s0, vcc_lo, s0
	v_cndmask_b32_e64 v4, 0, 1, s0
	v_add_nc_u32_e32 v3, v3, v4
.LBB15_1933:
	s_or_b32 exec_lo, exec_lo, s3
	s_mov_b32 s0, 0
	global_store_byte v[0:1], v3, off
.LBB15_1934:
	s_mov_b32 s3, 0
.LBB15_1935:
	s_and_b32 vcc_lo, exec_lo, s3
	s_cbranch_vccz .LBB15_1938
; %bb.1936:
	s_cmp_eq_u32 s1, 29
	s_mov_b32 s0, -1
	s_cbranch_scc0 .LBB15_1938
; %bb.1937:
	v_trunc_f32_e32 v3, v2
	s_mov_b32 s0, 0
	v_mul_f32_e32 v4, 0x2f800000, v3
	v_floor_f32_e32 v4, v4
	v_fmamk_f32 v3, v4, 0xcf800000, v3
	v_cvt_u32_f32_e32 v4, v4
	v_cvt_u32_f32_e32 v3, v3
	global_store_dwordx2 v[0:1], v[3:4], off
.LBB15_1938:
	s_mov_b32 s3, 0
.LBB15_1939:
	s_and_b32 vcc_lo, exec_lo, s3
	s_cbranch_vccz .LBB15_1954
; %bb.1940:
	s_cmp_lt_i32 s1, 27
	s_mov_b32 s3, -1
	s_cbranch_scc1 .LBB15_1946
; %bb.1941:
	v_cvt_u32_f32_e32 v3, v2
	s_cmp_gt_i32 s1, 27
	s_cbranch_scc0 .LBB15_1943
; %bb.1942:
	s_mov_b32 s3, 0
	global_store_dword v[0:1], v3, off
.LBB15_1943:
	s_andn2_b32 vcc_lo, exec_lo, s3
	s_cbranch_vccnz .LBB15_1945
; %bb.1944:
	global_store_short v[0:1], v3, off
.LBB15_1945:
	s_mov_b32 s3, 0
.LBB15_1946:
	s_andn2_b32 vcc_lo, exec_lo, s3
	s_cbranch_vccnz .LBB15_1954
; %bb.1947:
	v_and_b32_e32 v3, 0x7fffffff, v2
	v_mov_b32_e32 v4, 0x80
	s_mov_b32 s3, exec_lo
	v_cmpx_gt_u32_e32 0x43800000, v3
	s_cbranch_execz .LBB15_1953
; %bb.1948:
	v_cmp_lt_u32_e32 vcc_lo, 0x3bffffff, v3
	s_mov_b32 s5, 0
                                        ; implicit-def: $vgpr3
	s_and_saveexec_b32 s8, vcc_lo
	s_xor_b32 s8, exec_lo, s8
	s_cbranch_execz .LBB15_2059
; %bb.1949:
	v_bfe_u32 v3, v2, 20, 1
	s_mov_b32 s5, exec_lo
	v_add3_u32 v3, v2, v3, 0x487ffff
	v_lshrrev_b32_e32 v3, 20, v3
	s_andn2_saveexec_b32 s8, s8
	s_cbranch_execnz .LBB15_2060
.LBB15_1950:
	s_or_b32 exec_lo, exec_lo, s8
	v_mov_b32_e32 v4, 0
	s_and_saveexec_b32 s8, s5
.LBB15_1951:
	v_lshrrev_b32_e32 v4, 24, v2
	v_and_or_b32 v4, 0x80, v4, v3
.LBB15_1952:
	s_or_b32 exec_lo, exec_lo, s8
.LBB15_1953:
	s_or_b32 exec_lo, exec_lo, s3
	global_store_byte v[0:1], v4, off
.LBB15_1954:
	s_mov_b32 s3, 0
.LBB15_1955:
	s_and_b32 vcc_lo, exec_lo, s3
	s_cbranch_vccz .LBB15_1995
; %bb.1956:
	s_cmp_gt_i32 s1, 22
	s_mov_b32 s2, -1
	s_cbranch_scc0 .LBB15_1988
; %bb.1957:
	s_cmp_lt_i32 s1, 24
	s_cbranch_scc1 .LBB15_1977
; %bb.1958:
	s_cmp_gt_i32 s1, 24
	s_cbranch_scc0 .LBB15_1966
; %bb.1959:
	v_and_b32_e32 v3, 0x7fffffff, v2
	v_mov_b32_e32 v4, 0x80
	s_mov_b32 s2, exec_lo
	v_cmpx_gt_u32_e32 0x47800000, v3
	s_cbranch_execz .LBB15_1965
; %bb.1960:
	v_cmp_lt_u32_e32 vcc_lo, 0x37ffffff, v3
	s_mov_b32 s3, 0
                                        ; implicit-def: $vgpr3
	s_and_saveexec_b32 s5, vcc_lo
	s_xor_b32 s5, exec_lo, s5
	s_cbranch_execz .LBB15_2062
; %bb.1961:
	v_bfe_u32 v3, v2, 21, 1
	s_mov_b32 s3, exec_lo
	v_add3_u32 v3, v2, v3, 0x88fffff
	v_lshrrev_b32_e32 v3, 21, v3
	s_andn2_saveexec_b32 s5, s5
	s_cbranch_execnz .LBB15_2063
.LBB15_1962:
	s_or_b32 exec_lo, exec_lo, s5
	v_mov_b32_e32 v4, 0
	s_and_saveexec_b32 s5, s3
.LBB15_1963:
	v_lshrrev_b32_e32 v4, 24, v2
	v_and_or_b32 v4, 0x80, v4, v3
.LBB15_1964:
	s_or_b32 exec_lo, exec_lo, s5
.LBB15_1965:
	s_or_b32 exec_lo, exec_lo, s2
	s_mov_b32 s2, 0
	global_store_byte v[0:1], v4, off
.LBB15_1966:
	s_and_b32 vcc_lo, exec_lo, s2
	s_cbranch_vccz .LBB15_1976
; %bb.1967:
	v_and_b32_e32 v4, 0x7fffffff, v2
	s_mov_b32 s2, exec_lo
                                        ; implicit-def: $vgpr3
	v_cmpx_gt_u32_e32 0x43f00000, v4
	s_xor_b32 s2, exec_lo, s2
	s_cbranch_execz .LBB15_1973
; %bb.1968:
	s_mov_b32 s3, exec_lo
                                        ; implicit-def: $vgpr3
	v_cmpx_lt_u32_e32 0x3c7fffff, v4
	s_xor_b32 s3, exec_lo, s3
; %bb.1969:
	v_bfe_u32 v3, v2, 20, 1
	v_add3_u32 v3, v2, v3, 0x407ffff
	v_and_b32_e32 v4, 0xff00000, v3
	v_lshrrev_b32_e32 v3, 20, v3
	v_cmp_ne_u32_e32 vcc_lo, 0x7f00000, v4
	v_cndmask_b32_e32 v3, 0x7e, v3, vcc_lo
; %bb.1970:
	s_andn2_saveexec_b32 s3, s3
; %bb.1971:
	v_add_f32_e64 v3, 0x46800000, |v2|
; %bb.1972:
	s_or_b32 exec_lo, exec_lo, s3
                                        ; implicit-def: $vgpr4
.LBB15_1973:
	s_andn2_saveexec_b32 s2, s2
; %bb.1974:
	v_mov_b32_e32 v3, 0x7f
	v_cmp_lt_u32_e32 vcc_lo, 0x7f800000, v4
	v_cndmask_b32_e32 v3, 0x7e, v3, vcc_lo
; %bb.1975:
	s_or_b32 exec_lo, exec_lo, s2
	v_lshrrev_b32_e32 v4, 24, v2
	v_and_or_b32 v3, 0x80, v4, v3
	global_store_byte v[0:1], v3, off
.LBB15_1976:
	s_mov_b32 s2, 0
.LBB15_1977:
	s_andn2_b32 vcc_lo, exec_lo, s2
	s_cbranch_vccnz .LBB15_1987
; %bb.1978:
	v_and_b32_e32 v4, 0x7fffffff, v2
	s_mov_b32 s2, exec_lo
                                        ; implicit-def: $vgpr3
	v_cmpx_gt_u32_e32 0x47800000, v4
	s_xor_b32 s2, exec_lo, s2
	s_cbranch_execz .LBB15_1984
; %bb.1979:
	s_mov_b32 s3, exec_lo
                                        ; implicit-def: $vgpr3
	v_cmpx_lt_u32_e32 0x387fffff, v4
	s_xor_b32 s3, exec_lo, s3
; %bb.1980:
	v_bfe_u32 v3, v2, 21, 1
	v_add3_u32 v3, v2, v3, 0x80fffff
	v_lshrrev_b32_e32 v3, 21, v3
; %bb.1981:
	s_andn2_saveexec_b32 s3, s3
; %bb.1982:
	v_add_f32_e64 v3, 0x43000000, |v2|
; %bb.1983:
	s_or_b32 exec_lo, exec_lo, s3
                                        ; implicit-def: $vgpr4
.LBB15_1984:
	s_andn2_saveexec_b32 s2, s2
; %bb.1985:
	v_mov_b32_e32 v3, 0x7f
	v_cmp_lt_u32_e32 vcc_lo, 0x7f800000, v4
	v_cndmask_b32_e32 v3, 0x7c, v3, vcc_lo
; %bb.1986:
	s_or_b32 exec_lo, exec_lo, s2
	v_lshrrev_b32_e32 v4, 24, v2
	v_and_or_b32 v3, 0x80, v4, v3
	global_store_byte v[0:1], v3, off
.LBB15_1987:
	s_mov_b32 s2, 0
.LBB15_1988:
	s_andn2_b32 vcc_lo, exec_lo, s2
	s_mov_b32 s2, 0
	s_cbranch_vccnz .LBB15_1995
; %bb.1989:
	s_cmp_gt_i32 s1, 14
	s_mov_b32 s2, -1
	s_cbranch_scc0 .LBB15_1993
; %bb.1990:
	s_cmp_eq_u32 s1, 15
	s_mov_b32 s0, -1
	s_cbranch_scc0 .LBB15_1992
; %bb.1991:
	v_bfe_u32 v3, v2, 16, 1
	v_cmp_o_f32_e32 vcc_lo, v2, v2
	v_mov_b32_e32 v4, 0x7fc0
	s_mov_b32 s0, 0
	v_add3_u32 v3, v2, v3, 0x7fff
	v_cndmask_b32_sdwa v3, v4, v3, vcc_lo dst_sel:DWORD dst_unused:UNUSED_PAD src0_sel:DWORD src1_sel:WORD_1
	global_store_short v[0:1], v3, off
.LBB15_1992:
	s_mov_b32 s2, 0
.LBB15_1993:
	s_and_b32 vcc_lo, exec_lo, s2
	s_mov_b32 s2, 0
	s_cbranch_vccz .LBB15_1995
; %bb.1994:
	s_cmp_lg_u32 s1, 11
	s_mov_b32 s2, -1
	s_cselect_b32 s0, -1, 0
.LBB15_1995:
	s_and_b32 vcc_lo, exec_lo, s0
	s_cbranch_vccnz .LBB15_2061
.LBB15_1996:
	s_mov_b32 s0, 0
	s_branch .LBB15_1998
.LBB15_1997:
	s_mov_b32 s0, 0
	s_mov_b32 s2, 0
                                        ; implicit-def: $sgpr16
                                        ; implicit-def: $vgpr0_vgpr1
                                        ; implicit-def: $vgpr2
.LBB15_1998:
	s_andn2_b32 s1, s7, exec_lo
	s_and_b32 s3, s4, exec_lo
	s_and_b32 s0, s0, exec_lo
	;; [unrolled: 1-line block ×3, first 2 shown]
	s_or_b32 s7, s1, s3
.LBB15_1999:
	s_or_b32 exec_lo, exec_lo, s6
	s_and_saveexec_b32 s1, s7
	s_cbranch_execz .LBB15_2002
; %bb.2000:
	; divergent unreachable
	s_or_b32 exec_lo, exec_lo, s1
	s_and_saveexec_b32 s1, s4
	s_xor_b32 s1, exec_lo, s1
	s_cbranch_execnz .LBB15_2003
.LBB15_2001:
	s_or_b32 exec_lo, exec_lo, s1
	s_and_saveexec_b32 s1, s0
	s_cbranch_execnz .LBB15_2004
	s_branch .LBB15_2041
.LBB15_2002:
	s_or_b32 exec_lo, exec_lo, s1
	s_and_saveexec_b32 s1, s4
	s_xor_b32 s1, exec_lo, s1
	s_cbranch_execz .LBB15_2001
.LBB15_2003:
	s_waitcnt vmcnt(0)
	v_cmp_neq_f32_e32 vcc_lo, 0, v2
	v_cndmask_b32_e64 v3, 0, 1, vcc_lo
	global_store_byte v[0:1], v3, off
	s_or_b32 exec_lo, exec_lo, s1
	s_and_saveexec_b32 s1, s0
	s_cbranch_execz .LBB15_2041
.LBB15_2004:
	s_sext_i32_i16 s1, s16
	s_mov_b32 s0, -1
	s_cmp_lt_i32 s1, 5
	s_cbranch_scc1 .LBB15_2025
; %bb.2005:
	s_cmp_lt_i32 s1, 8
	s_cbranch_scc1 .LBB15_2015
; %bb.2006:
	;; [unrolled: 3-line block ×3, first 2 shown]
	s_cmp_gt_i32 s1, 9
	s_cbranch_scc0 .LBB15_2009
; %bb.2008:
	s_waitcnt vmcnt(0)
	v_cvt_f64_f32_e32 v[3:4], v2
	v_mov_b32_e32 v5, 0
	s_mov_b32 s0, 0
	v_mov_b32_e32 v6, v5
	global_store_dwordx4 v[0:1], v[3:6], off
.LBB15_2009:
	s_andn2_b32 vcc_lo, exec_lo, s0
	s_cbranch_vccnz .LBB15_2011
; %bb.2010:
	s_waitcnt vmcnt(0)
	v_mov_b32_e32 v3, 0
	global_store_dwordx2 v[0:1], v[2:3], off
.LBB15_2011:
	s_mov_b32 s0, 0
.LBB15_2012:
	s_andn2_b32 vcc_lo, exec_lo, s0
	s_cbranch_vccnz .LBB15_2014
; %bb.2013:
	s_waitcnt vmcnt(0)
	v_cvt_f16_f32_e32 v3, v2
	v_and_b32_e32 v3, 0xffff, v3
	global_store_dword v[0:1], v3, off
.LBB15_2014:
	s_mov_b32 s0, 0
.LBB15_2015:
	s_andn2_b32 vcc_lo, exec_lo, s0
	s_cbranch_vccnz .LBB15_2024
; %bb.2016:
	s_sext_i32_i16 s1, s16
	s_mov_b32 s0, -1
	s_cmp_lt_i32 s1, 6
	s_cbranch_scc1 .LBB15_2022
; %bb.2017:
	s_cmp_gt_i32 s1, 6
	s_cbranch_scc0 .LBB15_2019
; %bb.2018:
	s_waitcnt vmcnt(0)
	v_cvt_f64_f32_e32 v[3:4], v2
	s_mov_b32 s0, 0
	global_store_dwordx2 v[0:1], v[3:4], off
.LBB15_2019:
	s_andn2_b32 vcc_lo, exec_lo, s0
	s_cbranch_vccnz .LBB15_2021
; %bb.2020:
	s_waitcnt vmcnt(0)
	global_store_dword v[0:1], v2, off
.LBB15_2021:
	s_mov_b32 s0, 0
.LBB15_2022:
	s_andn2_b32 vcc_lo, exec_lo, s0
	s_cbranch_vccnz .LBB15_2024
; %bb.2023:
	s_waitcnt vmcnt(0)
	v_cvt_f16_f32_e32 v3, v2
	global_store_short v[0:1], v3, off
.LBB15_2024:
	s_mov_b32 s0, 0
.LBB15_2025:
	s_andn2_b32 vcc_lo, exec_lo, s0
	s_cbranch_vccnz .LBB15_2041
; %bb.2026:
	s_sext_i32_i16 s1, s16
	s_mov_b32 s0, -1
	s_cmp_lt_i32 s1, 2
	s_cbranch_scc1 .LBB15_2036
; %bb.2027:
	s_cmp_lt_i32 s1, 3
	s_cbranch_scc1 .LBB15_2033
; %bb.2028:
	s_cmp_gt_i32 s1, 3
	s_cbranch_scc0 .LBB15_2030
; %bb.2029:
	s_waitcnt vmcnt(0)
	v_trunc_f32_e32 v3, v2
	s_mov_b32 s0, 0
	v_mul_f32_e64 v4, 0x2f800000, |v3|
	v_ashrrev_i32_e32 v6, 31, v3
	v_floor_f32_e32 v4, v4
	v_fma_f32 v5, 0xcf800000, v4, |v3|
	v_cvt_u32_f32_e32 v4, v4
	v_cvt_u32_f32_e32 v3, v5
	v_xor_b32_e32 v4, v4, v6
	v_xor_b32_e32 v3, v3, v6
	v_sub_co_u32 v3, vcc_lo, v3, v6
	v_sub_co_ci_u32_e64 v4, null, v4, v6, vcc_lo
	global_store_dwordx2 v[0:1], v[3:4], off
.LBB15_2030:
	s_andn2_b32 vcc_lo, exec_lo, s0
	s_cbranch_vccnz .LBB15_2032
; %bb.2031:
	s_waitcnt vmcnt(0)
	v_cvt_i32_f32_e32 v3, v2
	global_store_dword v[0:1], v3, off
.LBB15_2032:
	s_mov_b32 s0, 0
.LBB15_2033:
	s_andn2_b32 vcc_lo, exec_lo, s0
	s_cbranch_vccnz .LBB15_2035
; %bb.2034:
	s_waitcnt vmcnt(0)
	v_cvt_i32_f32_e32 v3, v2
	global_store_short v[0:1], v3, off
.LBB15_2035:
	s_mov_b32 s0, 0
.LBB15_2036:
	s_andn2_b32 vcc_lo, exec_lo, s0
	s_cbranch_vccnz .LBB15_2041
; %bb.2037:
	s_sext_i32_i16 s0, s16
	s_cmp_gt_i32 s0, 0
	s_mov_b32 s0, -1
	s_cbranch_scc0 .LBB15_2039
; %bb.2038:
	s_waitcnt vmcnt(0)
	v_cvt_i32_f32_e32 v3, v2
	s_mov_b32 s0, 0
	global_store_byte v[0:1], v3, off
.LBB15_2039:
	s_andn2_b32 vcc_lo, exec_lo, s0
	s_cbranch_vccnz .LBB15_2041
; %bb.2040:
	s_waitcnt vmcnt(0)
	v_trunc_f32_e32 v2, v2
	v_mul_f32_e64 v3, 0x2f800000, |v2|
	v_floor_f32_e32 v3, v3
	v_fma_f32 v3, 0xcf800000, v3, |v2|
	v_ashrrev_i32_e32 v2, 31, v2
	v_cvt_u32_f32_e32 v3, v3
	v_xor_b32_e32 v3, v3, v2
	v_sub_nc_u32_e32 v2, v3, v2
	global_store_byte v[0:1], v2, off
	s_endpgm
.LBB15_2041:
	s_endpgm
.LBB15_2042:
	s_mov_b32 s2, 0
	s_mov_b32 s0, -1
	s_branch .LBB15_1998
.LBB15_2043:
	s_or_b32 s4, s4, exec_lo
	s_trap 2
	s_cbranch_execz .LBB15_1510
	s_branch .LBB15_1511
.LBB15_2044:
	s_andn2_saveexec_b32 s11, s11
	s_cbranch_execz .LBB15_1592
.LBB15_2045:
	v_add_f32_e64 v3, 0x46000000, |v2|
	s_andn2_b32 s10, s10, exec_lo
	v_and_b32_e32 v3, 0xff, v3
	v_cmp_ne_u32_e32 vcc_lo, 0, v3
	s_and_b32 s12, vcc_lo, exec_lo
	s_or_b32 s10, s10, s12
	s_or_b32 exec_lo, exec_lo, s11
	v_mov_b32_e32 v11, 0
	s_and_saveexec_b32 s11, s10
	s_cbranch_execnz .LBB15_1593
	s_branch .LBB15_1594
.LBB15_2046:
	s_or_b32 s4, s4, exec_lo
	s_trap 2
	s_cbranch_execz .LBB15_1640
	s_branch .LBB15_1641
.LBB15_2047:
	s_andn2_saveexec_b32 s10, s10
	s_cbranch_execz .LBB15_1605
.LBB15_2048:
	v_add_f32_e64 v3, 0x42800000, |v2|
	s_andn2_b32 s5, s5, exec_lo
	v_and_b32_e32 v3, 0xff, v3
	v_cmp_ne_u32_e32 vcc_lo, 0, v3
	s_and_b32 s11, vcc_lo, exec_lo
	s_or_b32 s5, s5, s11
	s_or_b32 exec_lo, exec_lo, s10
	v_mov_b32_e32 v11, 0
	s_and_saveexec_b32 s10, s5
	s_cbranch_execnz .LBB15_1606
	s_branch .LBB15_1607
.LBB15_2049:
	s_andn2_saveexec_b32 s11, s11
	s_cbranch_execz .LBB15_1711
.LBB15_2050:
	v_add_f32_e64 v3, 0x46000000, |v2|
	s_andn2_b32 s10, s10, exec_lo
	v_and_b32_e32 v3, 0xff, v3
	v_cmp_ne_u32_e32 vcc_lo, 0, v3
	s_and_b32 s12, vcc_lo, exec_lo
	s_or_b32 s10, s10, s12
	s_or_b32 exec_lo, exec_lo, s11
	v_mov_b32_e32 v5, 0
	s_and_saveexec_b32 s11, s10
	s_cbranch_execnz .LBB15_1712
	s_branch .LBB15_1713
.LBB15_2051:
	s_or_b32 s4, s4, exec_lo
	s_trap 2
	s_cbranch_execz .LBB15_1759
	s_branch .LBB15_1760
.LBB15_2052:
	s_andn2_saveexec_b32 s10, s10
	s_cbranch_execz .LBB15_1724
.LBB15_2053:
	v_add_f32_e64 v3, 0x42800000, |v2|
	s_andn2_b32 s5, s5, exec_lo
	v_and_b32_e32 v3, 0xff, v3
	v_cmp_ne_u32_e32 vcc_lo, 0, v3
	s_and_b32 s11, vcc_lo, exec_lo
	s_or_b32 s5, s5, s11
	s_or_b32 exec_lo, exec_lo, s10
	v_mov_b32_e32 v5, 0
	s_and_saveexec_b32 s10, s5
	s_cbranch_execnz .LBB15_1725
	s_branch .LBB15_1726
.LBB15_2054:
	s_andn2_saveexec_b32 s11, s11
	s_cbranch_execz .LBB15_1830
.LBB15_2055:
	v_add_f32_e64 v3, 0x46000000, |v2|
	s_andn2_b32 s10, s10, exec_lo
	v_and_b32_e32 v3, 0xff, v3
	v_cmp_ne_u32_e32 vcc_lo, 0, v3
	s_and_b32 s12, vcc_lo, exec_lo
	s_or_b32 s10, s10, s12
	s_or_b32 exec_lo, exec_lo, s11
	v_mov_b32_e32 v5, 0
	s_and_saveexec_b32 s11, s10
	s_cbranch_execnz .LBB15_1831
	s_branch .LBB15_1832
.LBB15_2056:
	s_or_b32 s4, s4, exec_lo
	s_trap 2
	s_cbranch_execz .LBB15_1878
	s_branch .LBB15_1879
.LBB15_2057:
	s_andn2_saveexec_b32 s10, s10
	s_cbranch_execz .LBB15_1843
.LBB15_2058:
	v_add_f32_e64 v3, 0x42800000, |v2|
	s_andn2_b32 s5, s5, exec_lo
	v_and_b32_e32 v3, 0xff, v3
	v_cmp_ne_u32_e32 vcc_lo, 0, v3
	s_and_b32 s11, vcc_lo, exec_lo
	s_or_b32 s5, s5, s11
	s_or_b32 exec_lo, exec_lo, s10
	v_mov_b32_e32 v5, 0
	s_and_saveexec_b32 s10, s5
	s_cbranch_execnz .LBB15_1844
	s_branch .LBB15_1845
.LBB15_2059:
	s_andn2_saveexec_b32 s8, s8
	s_cbranch_execz .LBB15_1950
.LBB15_2060:
	v_add_f32_e64 v3, 0x46000000, |v2|
	s_andn2_b32 s5, s5, exec_lo
	v_and_b32_e32 v3, 0xff, v3
	v_cmp_ne_u32_e32 vcc_lo, 0, v3
	s_and_b32 s9, vcc_lo, exec_lo
	s_or_b32 s5, s5, s9
	s_or_b32 exec_lo, exec_lo, s8
	v_mov_b32_e32 v4, 0
	s_and_saveexec_b32 s8, s5
	s_cbranch_execnz .LBB15_1951
	s_branch .LBB15_1952
.LBB15_2061:
	s_mov_b32 s2, 0
	s_or_b32 s4, s4, exec_lo
	s_trap 2
	s_branch .LBB15_1996
.LBB15_2062:
	s_andn2_saveexec_b32 s5, s5
	s_cbranch_execz .LBB15_1962
.LBB15_2063:
	v_add_f32_e64 v3, 0x42800000, |v2|
	s_andn2_b32 s3, s3, exec_lo
	v_and_b32_e32 v3, 0xff, v3
	v_cmp_ne_u32_e32 vcc_lo, 0, v3
	s_and_b32 s8, vcc_lo, exec_lo
	s_or_b32 s3, s3, s8
	s_or_b32 exec_lo, exec_lo, s5
	v_mov_b32_e32 v4, 0
	s_and_saveexec_b32 s5, s3
	s_cbranch_execnz .LBB15_1963
	s_branch .LBB15_1964
	.section	.rodata,"a",@progbits
	.p2align	6, 0x0
	.amdhsa_kernel _ZN2at6native32elementwise_kernel_manual_unrollILi128ELi4EZNS0_15gpu_kernel_implIZZZNS0_12_GLOBAL__N_139_amp_non_finite_check_and_unscale_cuda_ERNS_6TensorES5_RKS4_ENKUlvE_clEvENKUlvE0_clEvEUlfE_EEvRNS_18TensorIteratorBaseERKT_EUlibE_EEviT1_
		.amdhsa_group_segment_fixed_size 0
		.amdhsa_private_segment_fixed_size 0
		.amdhsa_kernarg_size 56
		.amdhsa_user_sgpr_count 6
		.amdhsa_user_sgpr_private_segment_buffer 1
		.amdhsa_user_sgpr_dispatch_ptr 0
		.amdhsa_user_sgpr_queue_ptr 0
		.amdhsa_user_sgpr_kernarg_segment_ptr 1
		.amdhsa_user_sgpr_dispatch_id 0
		.amdhsa_user_sgpr_flat_scratch_init 0
		.amdhsa_user_sgpr_private_segment_size 0
		.amdhsa_wavefront_size32 1
		.amdhsa_uses_dynamic_stack 0
		.amdhsa_system_sgpr_private_segment_wavefront_offset 0
		.amdhsa_system_sgpr_workgroup_id_x 1
		.amdhsa_system_sgpr_workgroup_id_y 0
		.amdhsa_system_sgpr_workgroup_id_z 0
		.amdhsa_system_sgpr_workgroup_info 0
		.amdhsa_system_vgpr_workitem_id 0
		.amdhsa_next_free_vgpr 15
		.amdhsa_next_free_sgpr 30
		.amdhsa_reserve_vcc 1
		.amdhsa_reserve_flat_scratch 0
		.amdhsa_float_round_mode_32 0
		.amdhsa_float_round_mode_16_64 0
		.amdhsa_float_denorm_mode_32 3
		.amdhsa_float_denorm_mode_16_64 3
		.amdhsa_dx10_clamp 1
		.amdhsa_ieee_mode 1
		.amdhsa_fp16_overflow 0
		.amdhsa_workgroup_processor_mode 1
		.amdhsa_memory_ordered 1
		.amdhsa_forward_progress 1
		.amdhsa_shared_vgpr_count 0
		.amdhsa_exception_fp_ieee_invalid_op 0
		.amdhsa_exception_fp_denorm_src 0
		.amdhsa_exception_fp_ieee_div_zero 0
		.amdhsa_exception_fp_ieee_overflow 0
		.amdhsa_exception_fp_ieee_underflow 0
		.amdhsa_exception_fp_ieee_inexact 0
		.amdhsa_exception_int_div_zero 0
	.end_amdhsa_kernel
	.section	.text._ZN2at6native32elementwise_kernel_manual_unrollILi128ELi4EZNS0_15gpu_kernel_implIZZZNS0_12_GLOBAL__N_139_amp_non_finite_check_and_unscale_cuda_ERNS_6TensorES5_RKS4_ENKUlvE_clEvENKUlvE0_clEvEUlfE_EEvRNS_18TensorIteratorBaseERKT_EUlibE_EEviT1_,"axG",@progbits,_ZN2at6native32elementwise_kernel_manual_unrollILi128ELi4EZNS0_15gpu_kernel_implIZZZNS0_12_GLOBAL__N_139_amp_non_finite_check_and_unscale_cuda_ERNS_6TensorES5_RKS4_ENKUlvE_clEvENKUlvE0_clEvEUlfE_EEvRNS_18TensorIteratorBaseERKT_EUlibE_EEviT1_,comdat
.Lfunc_end15:
	.size	_ZN2at6native32elementwise_kernel_manual_unrollILi128ELi4EZNS0_15gpu_kernel_implIZZZNS0_12_GLOBAL__N_139_amp_non_finite_check_and_unscale_cuda_ERNS_6TensorES5_RKS4_ENKUlvE_clEvENKUlvE0_clEvEUlfE_EEvRNS_18TensorIteratorBaseERKT_EUlibE_EEviT1_, .Lfunc_end15-_ZN2at6native32elementwise_kernel_manual_unrollILi128ELi4EZNS0_15gpu_kernel_implIZZZNS0_12_GLOBAL__N_139_amp_non_finite_check_and_unscale_cuda_ERNS_6TensorES5_RKS4_ENKUlvE_clEvENKUlvE0_clEvEUlfE_EEvRNS_18TensorIteratorBaseERKT_EUlibE_EEviT1_
                                        ; -- End function
	.set _ZN2at6native32elementwise_kernel_manual_unrollILi128ELi4EZNS0_15gpu_kernel_implIZZZNS0_12_GLOBAL__N_139_amp_non_finite_check_and_unscale_cuda_ERNS_6TensorES5_RKS4_ENKUlvE_clEvENKUlvE0_clEvEUlfE_EEvRNS_18TensorIteratorBaseERKT_EUlibE_EEviT1_.num_vgpr, 15
	.set _ZN2at6native32elementwise_kernel_manual_unrollILi128ELi4EZNS0_15gpu_kernel_implIZZZNS0_12_GLOBAL__N_139_amp_non_finite_check_and_unscale_cuda_ERNS_6TensorES5_RKS4_ENKUlvE_clEvENKUlvE0_clEvEUlfE_EEvRNS_18TensorIteratorBaseERKT_EUlibE_EEviT1_.num_agpr, 0
	.set _ZN2at6native32elementwise_kernel_manual_unrollILi128ELi4EZNS0_15gpu_kernel_implIZZZNS0_12_GLOBAL__N_139_amp_non_finite_check_and_unscale_cuda_ERNS_6TensorES5_RKS4_ENKUlvE_clEvENKUlvE0_clEvEUlfE_EEvRNS_18TensorIteratorBaseERKT_EUlibE_EEviT1_.numbered_sgpr, 30
	.set _ZN2at6native32elementwise_kernel_manual_unrollILi128ELi4EZNS0_15gpu_kernel_implIZZZNS0_12_GLOBAL__N_139_amp_non_finite_check_and_unscale_cuda_ERNS_6TensorES5_RKS4_ENKUlvE_clEvENKUlvE0_clEvEUlfE_EEvRNS_18TensorIteratorBaseERKT_EUlibE_EEviT1_.num_named_barrier, 0
	.set _ZN2at6native32elementwise_kernel_manual_unrollILi128ELi4EZNS0_15gpu_kernel_implIZZZNS0_12_GLOBAL__N_139_amp_non_finite_check_and_unscale_cuda_ERNS_6TensorES5_RKS4_ENKUlvE_clEvENKUlvE0_clEvEUlfE_EEvRNS_18TensorIteratorBaseERKT_EUlibE_EEviT1_.private_seg_size, 0
	.set _ZN2at6native32elementwise_kernel_manual_unrollILi128ELi4EZNS0_15gpu_kernel_implIZZZNS0_12_GLOBAL__N_139_amp_non_finite_check_and_unscale_cuda_ERNS_6TensorES5_RKS4_ENKUlvE_clEvENKUlvE0_clEvEUlfE_EEvRNS_18TensorIteratorBaseERKT_EUlibE_EEviT1_.uses_vcc, 1
	.set _ZN2at6native32elementwise_kernel_manual_unrollILi128ELi4EZNS0_15gpu_kernel_implIZZZNS0_12_GLOBAL__N_139_amp_non_finite_check_and_unscale_cuda_ERNS_6TensorES5_RKS4_ENKUlvE_clEvENKUlvE0_clEvEUlfE_EEvRNS_18TensorIteratorBaseERKT_EUlibE_EEviT1_.uses_flat_scratch, 0
	.set _ZN2at6native32elementwise_kernel_manual_unrollILi128ELi4EZNS0_15gpu_kernel_implIZZZNS0_12_GLOBAL__N_139_amp_non_finite_check_and_unscale_cuda_ERNS_6TensorES5_RKS4_ENKUlvE_clEvENKUlvE0_clEvEUlfE_EEvRNS_18TensorIteratorBaseERKT_EUlibE_EEviT1_.has_dyn_sized_stack, 0
	.set _ZN2at6native32elementwise_kernel_manual_unrollILi128ELi4EZNS0_15gpu_kernel_implIZZZNS0_12_GLOBAL__N_139_amp_non_finite_check_and_unscale_cuda_ERNS_6TensorES5_RKS4_ENKUlvE_clEvENKUlvE0_clEvEUlfE_EEvRNS_18TensorIteratorBaseERKT_EUlibE_EEviT1_.has_recursion, 0
	.set _ZN2at6native32elementwise_kernel_manual_unrollILi128ELi4EZNS0_15gpu_kernel_implIZZZNS0_12_GLOBAL__N_139_amp_non_finite_check_and_unscale_cuda_ERNS_6TensorES5_RKS4_ENKUlvE_clEvENKUlvE0_clEvEUlfE_EEvRNS_18TensorIteratorBaseERKT_EUlibE_EEviT1_.has_indirect_call, 0
	.section	.AMDGPU.csdata,"",@progbits
; Kernel info:
; codeLenInByte = 31948
; TotalNumSgprs: 32
; NumVgprs: 15
; ScratchSize: 0
; MemoryBound: 1
; FloatMode: 240
; IeeeMode: 1
; LDSByteSize: 0 bytes/workgroup (compile time only)
; SGPRBlocks: 0
; VGPRBlocks: 1
; NumSGPRsForWavesPerEU: 32
; NumVGPRsForWavesPerEU: 15
; Occupancy: 16
; WaveLimiterHint : 0
; COMPUTE_PGM_RSRC2:SCRATCH_EN: 0
; COMPUTE_PGM_RSRC2:USER_SGPR: 6
; COMPUTE_PGM_RSRC2:TRAP_HANDLER: 0
; COMPUTE_PGM_RSRC2:TGID_X_EN: 1
; COMPUTE_PGM_RSRC2:TGID_Y_EN: 0
; COMPUTE_PGM_RSRC2:TGID_Z_EN: 0
; COMPUTE_PGM_RSRC2:TIDIG_COMP_CNT: 0
	.section	.text._ZN2at6native32elementwise_kernel_manual_unrollILi128ELi4EZNS0_15gpu_kernel_implIZZZNS0_12_GLOBAL__N_139_amp_non_finite_check_and_unscale_cuda_ERNS_6TensorES5_RKS4_ENKUlvE_clEvENKUlvE0_clEvEUlfE_EEvRNS_18TensorIteratorBaseERKT_EUlibE0_EEviT1_,"axG",@progbits,_ZN2at6native32elementwise_kernel_manual_unrollILi128ELi4EZNS0_15gpu_kernel_implIZZZNS0_12_GLOBAL__N_139_amp_non_finite_check_and_unscale_cuda_ERNS_6TensorES5_RKS4_ENKUlvE_clEvENKUlvE0_clEvEUlfE_EEvRNS_18TensorIteratorBaseERKT_EUlibE0_EEviT1_,comdat
	.globl	_ZN2at6native32elementwise_kernel_manual_unrollILi128ELi4EZNS0_15gpu_kernel_implIZZZNS0_12_GLOBAL__N_139_amp_non_finite_check_and_unscale_cuda_ERNS_6TensorES5_RKS4_ENKUlvE_clEvENKUlvE0_clEvEUlfE_EEvRNS_18TensorIteratorBaseERKT_EUlibE0_EEviT1_ ; -- Begin function _ZN2at6native32elementwise_kernel_manual_unrollILi128ELi4EZNS0_15gpu_kernel_implIZZZNS0_12_GLOBAL__N_139_amp_non_finite_check_and_unscale_cuda_ERNS_6TensorES5_RKS4_ENKUlvE_clEvENKUlvE0_clEvEUlfE_EEvRNS_18TensorIteratorBaseERKT_EUlibE0_EEviT1_
	.p2align	8
	.type	_ZN2at6native32elementwise_kernel_manual_unrollILi128ELi4EZNS0_15gpu_kernel_implIZZZNS0_12_GLOBAL__N_139_amp_non_finite_check_and_unscale_cuda_ERNS_6TensorES5_RKS4_ENKUlvE_clEvENKUlvE0_clEvEUlfE_EEvRNS_18TensorIteratorBaseERKT_EUlibE0_EEviT1_,@function
_ZN2at6native32elementwise_kernel_manual_unrollILi128ELi4EZNS0_15gpu_kernel_implIZZZNS0_12_GLOBAL__N_139_amp_non_finite_check_and_unscale_cuda_ERNS_6TensorES5_RKS4_ENKUlvE_clEvENKUlvE0_clEvEUlfE_EEvRNS_18TensorIteratorBaseERKT_EUlibE0_EEviT1_: ; @_ZN2at6native32elementwise_kernel_manual_unrollILi128ELi4EZNS0_15gpu_kernel_implIZZZNS0_12_GLOBAL__N_139_amp_non_finite_check_and_unscale_cuda_ERNS_6TensorES5_RKS4_ENKUlvE_clEvENKUlvE0_clEvEUlfE_EEvRNS_18TensorIteratorBaseERKT_EUlibE0_EEviT1_
; %bb.0:
	s_clause 0x1
	s_load_dword s28, s[4:5], 0x8
	s_load_dword s37, s[4:5], 0x0
	v_lshl_or_b32 v8, s6, 9, v0
	s_add_u32 s2, s4, 8
	s_addc_u32 s3, s5, 0
	s_mov_b32 s1, -1
	s_mov_b32 s30, 0
	v_or_b32_e32 v15, 0x180, v8
	s_mov_b32 s16, 0
	s_mov_b32 s0, exec_lo
	s_waitcnt lgkmcnt(0)
	s_add_i32 s29, s28, -1
	s_cmp_gt_u32 s29, 1
	s_cselect_b32 s31, -1, 0
	v_cmpx_le_i32_e64 s37, v15
	s_xor_b32 s33, exec_lo, s0
	s_cbranch_execz .LBB16_1097
; %bb.1:
	s_clause 0x4
	s_load_dword s34, s[2:3], 0x168
	s_load_dwordx4 s[20:23], s[2:3], 0x4
	s_load_dwordx2 s[6:7], s[2:3], 0x14
	s_load_dwordx4 s[16:19], s[2:3], 0xc4
	s_load_dwordx8 s[8:15], s[2:3], 0x148
	s_cmp_lg_u32 s28, 0
	s_mov_b32 s43, 0
	s_cselect_b32 s39, -1, 0
	s_add_u32 s24, s2, 0xc4
	s_addc_u32 s25, s3, 0
	s_min_u32 s38, s29, 15
	s_cmp_gt_u32 s28, 1
	s_mov_b32 s41, 0
	s_cselect_b32 s36, -1, 0
	s_mov_b32 s40, 0
	s_mov_b32 s42, exec_lo
	s_waitcnt lgkmcnt(0)
	s_bfe_u32 s35, s34, 0x80008
	v_cmpx_gt_i32_e64 s37, v8
	s_cbranch_execz .LBB16_268
; %bb.2:
	s_andn2_b32 vcc_lo, exec_lo, s31
	s_cbranch_vccnz .LBB16_7
; %bb.3:
	s_andn2_b32 vcc_lo, exec_lo, s39
	s_cbranch_vccnz .LBB16_8
; %bb.4:
	s_add_i32 s41, s38, 1
	s_cmp_eq_u32 s29, 2
	s_cbranch_scc1 .LBB16_9
; %bb.5:
	v_mov_b32_e32 v2, 0
	v_mov_b32_e32 v0, 0
	v_mov_b32_e32 v1, v8
	s_and_b32 s40, s41, 28
	s_mov_b32 s44, 0
	s_mov_b64 s[0:1], s[2:3]
	s_mov_b64 s[26:27], s[24:25]
.LBB16_6:                               ; =>This Inner Loop Header: Depth=1
	s_clause 0x1
	s_load_dwordx8 s[48:55], s[0:1], 0x4
	s_load_dwordx4 s[64:67], s[0:1], 0x24
	s_load_dwordx8 s[56:63], s[26:27], 0x0
	s_add_u32 s0, s0, 48
	s_addc_u32 s1, s1, 0
	s_add_i32 s44, s44, 4
	s_add_u32 s26, s26, 32
	s_addc_u32 s27, s27, 0
	s_cmp_lg_u32 s40, s44
	s_waitcnt lgkmcnt(0)
	v_mul_hi_u32 v3, s49, v1
	v_add_nc_u32_e32 v3, v1, v3
	v_lshrrev_b32_e32 v3, s50, v3
	v_mul_hi_u32 v4, s52, v3
	v_mul_lo_u32 v6, v3, s48
	v_add_nc_u32_e32 v4, v3, v4
	v_sub_nc_u32_e32 v1, v1, v6
	v_lshrrev_b32_e32 v4, s53, v4
	v_mul_lo_u32 v6, v1, s56
	v_mul_lo_u32 v9, v1, s57
	v_mul_hi_u32 v5, s55, v4
	v_add_nc_u32_e32 v5, v4, v5
	v_lshrrev_b32_e32 v5, s64, v5
	v_mul_hi_u32 v7, s66, v5
	v_mul_lo_u32 v10, v5, s54
	v_add_nc_u32_e32 v1, v5, v7
	v_mul_lo_u32 v7, v4, s51
	v_sub_nc_u32_e32 v4, v4, v10
	v_lshrrev_b32_e32 v1, s67, v1
	v_mul_lo_u32 v10, v4, s60
	v_mul_lo_u32 v4, v4, s61
	v_sub_nc_u32_e32 v3, v3, v7
	v_mul_lo_u32 v11, v1, s65
	v_mul_lo_u32 v7, v3, s58
	;; [unrolled: 1-line block ×3, first 2 shown]
	v_sub_nc_u32_e32 v5, v5, v11
	v_add3_u32 v0, v6, v0, v7
	v_mul_lo_u32 v11, v5, s62
	v_mul_lo_u32 v5, v5, s63
	v_add3_u32 v2, v9, v2, v3
	v_add3_u32 v0, v10, v0, v11
	;; [unrolled: 1-line block ×3, first 2 shown]
	s_cbranch_scc1 .LBB16_6
	s_branch .LBB16_10
.LBB16_7:
                                        ; implicit-def: $vgpr0
                                        ; implicit-def: $vgpr2
	s_branch .LBB16_14
.LBB16_8:
	v_mov_b32_e32 v0, 0
	v_mov_b32_e32 v2, 0
	s_branch .LBB16_13
.LBB16_9:
	v_mov_b32_e32 v0, 0
	v_mov_b32_e32 v2, 0
	;; [unrolled: 1-line block ×3, first 2 shown]
.LBB16_10:
	s_and_b32 s41, s41, 3
	s_cmp_eq_u32 s41, 0
	s_cbranch_scc1 .LBB16_13
; %bb.11:
	s_lshl_b32 s0, s40, 3
	s_mul_i32 s26, s40, 12
	s_add_u32 s0, s2, s0
	s_addc_u32 s1, s3, 0
	s_add_u32 s0, s0, 0xc4
	s_addc_u32 s1, s1, 0
	;; [unrolled: 2-line block ×3, first 2 shown]
	.p2align	6
.LBB16_12:                              ; =>This Inner Loop Header: Depth=1
	s_clause 0x1
	s_load_dwordx2 s[44:45], s[26:27], 0x4
	s_load_dword s40, s[26:27], 0xc
	s_load_dwordx2 s[46:47], s[0:1], 0x0
	s_add_u32 s26, s26, 12
	s_addc_u32 s27, s27, 0
	s_add_u32 s0, s0, 8
	s_addc_u32 s1, s1, 0
	s_add_i32 s41, s41, -1
	s_cmp_lg_u32 s41, 0
	s_waitcnt lgkmcnt(0)
	v_mul_hi_u32 v3, s45, v1
	v_add_nc_u32_e32 v3, v1, v3
	v_lshrrev_b32_e32 v4, s40, v3
	v_mul_lo_u32 v3, v4, s44
	v_sub_nc_u32_e32 v3, v1, v3
	v_mad_u64_u32 v[0:1], null, v3, s46, v[0:1]
	v_mad_u64_u32 v[2:3], null, v3, s47, v[2:3]
	v_mov_b32_e32 v1, v4
	s_cbranch_scc1 .LBB16_12
.LBB16_13:
	s_cbranch_execnz .LBB16_16
.LBB16_14:
	v_mul_hi_u32 v0, s21, v8
	s_andn2_b32 vcc_lo, exec_lo, s36
	v_add_nc_u32_e32 v0, v8, v0
	v_lshrrev_b32_e32 v1, s22, v0
	v_mul_lo_u32 v0, v1, s20
	v_sub_nc_u32_e32 v2, v8, v0
	v_mul_lo_u32 v0, v2, s16
	v_mul_lo_u32 v2, v2, s17
	s_cbranch_vccnz .LBB16_16
; %bb.15:
	v_mul_hi_u32 v3, s6, v1
	v_add_nc_u32_e32 v3, v1, v3
	v_lshrrev_b32_e32 v3, s7, v3
	v_mul_lo_u32 v3, v3, s23
	v_sub_nc_u32_e32 v3, v1, v3
	v_mad_u64_u32 v[0:1], null, v3, s18, v[0:1]
	v_mad_u64_u32 v[2:3], null, v3, s19, v[2:3]
.LBB16_16:
	v_add_co_u32 v1, s0, s10, v2
	v_add_co_ci_u32_e64 v2, null, s11, 0, s0
	s_and_b32 s0, 0xffff, s35
	s_cmp_lt_i32 s0, 11
	s_cbranch_scc1 .LBB16_23
; %bb.17:
	s_cmp_gt_i32 s0, 25
	s_cbranch_scc0 .LBB16_34
; %bb.18:
	s_cmp_gt_i32 s0, 28
	s_cbranch_scc0 .LBB16_37
	;; [unrolled: 3-line block ×4, first 2 shown]
; %bb.21:
	s_cmp_eq_u32 s0, 46
	s_mov_b32 s27, 0
	s_cbranch_scc0 .LBB16_43
; %bb.22:
	global_load_dword v3, v[1:2], off
	s_mov_b32 s26, -1
	s_mov_b32 s1, 0
	s_waitcnt vmcnt(0)
	v_lshlrev_b32_e32 v3, 16, v3
	s_branch .LBB16_45
.LBB16_23:
	s_mov_b32 s1, 0
	s_mov_b32 s26, 0
                                        ; implicit-def: $vgpr3
	s_cbranch_execnz .LBB16_218
.LBB16_24:
	s_andn2_b32 vcc_lo, exec_lo, s26
	s_cbranch_vccnz .LBB16_265
.LBB16_25:
	s_mov_b32 s0, exec_lo
	s_waitcnt vmcnt(0)
	v_cmpx_nlg_f32_e64 0x7f800000, |v3|
	s_cbranch_execz .LBB16_27
; %bb.26:
	v_mov_b32_e32 v1, 0
	v_mov_b32_e32 v2, 1.0
	global_store_dword v1, v2, s[12:13]
.LBB16_27:
	s_or_b32 exec_lo, exec_lo, s0
	v_mov_b32_e32 v1, 0
	v_add_co_u32 v0, s0, s8, v0
	s_and_b32 s26, s34, 0xff
	s_cmp_lt_i32 s26, 11
	global_load_dword v2, v1, s[14:15]
	v_add_co_ci_u32_e64 v1, null, s9, 0, s0
	s_waitcnt vmcnt(0)
	v_mul_f32_e32 v4, v3, v2
	v_cmp_eq_f32_e32 vcc_lo, 1.0, v2
	v_cndmask_b32_e32 v2, v4, v3, vcc_lo
	s_cbranch_scc1 .LBB16_35
; %bb.28:
	s_and_b32 s27, 0xffff, s26
	s_cmp_gt_i32 s27, 25
	s_cbranch_scc0 .LBB16_38
; %bb.29:
	s_cmp_gt_i32 s27, 28
	s_cbranch_scc0 .LBB16_40
; %bb.30:
	;; [unrolled: 3-line block ×4, first 2 shown]
	s_mov_b32 s41, 0
	s_mov_b32 s0, -1
	s_cmp_eq_u32 s27, 46
	s_mov_b32 s40, 0
	s_cbranch_scc0 .LBB16_49
; %bb.33:
	v_bfe_u32 v3, v2, 16, 1
	v_cmp_o_f32_e32 vcc_lo, v2, v2
	v_mov_b32_e32 v4, 0x7fc0
	s_mov_b32 s40, -1
	s_mov_b32 s0, 0
	v_add3_u32 v3, v2, v3, 0x7fff
	v_cndmask_b32_sdwa v3, v4, v3, vcc_lo dst_sel:DWORD dst_unused:UNUSED_PAD src0_sel:DWORD src1_sel:WORD_1
	global_store_dword v[0:1], v3, off
	s_branch .LBB16_49
.LBB16_34:
	s_mov_b32 s1, 0
	s_mov_b32 s26, 0
                                        ; implicit-def: $vgpr3
	s_cbranch_execnz .LBB16_183
	s_branch .LBB16_217
.LBB16_35:
	s_mov_b32 s0, 0
	s_mov_b32 s40, 0
	s_cbranch_execnz .LBB16_118
.LBB16_36:
	s_andn2_b32 vcc_lo, exec_lo, s40
	s_cbranch_vccz .LBB16_156
	s_branch .LBB16_266
.LBB16_37:
	s_mov_b32 s27, -1
	s_mov_b32 s1, 0
	s_mov_b32 s26, 0
                                        ; implicit-def: $vgpr3
	s_branch .LBB16_164
.LBB16_38:
	s_mov_b32 s41, -1
	s_mov_b32 s0, 0
	s_mov_b32 s40, 0
	s_branch .LBB16_76
.LBB16_39:
	s_mov_b32 s27, -1
	s_mov_b32 s1, 0
	s_mov_b32 s26, 0
                                        ; implicit-def: $vgpr3
	s_branch .LBB16_159
.LBB16_40:
	s_mov_b32 s41, -1
	s_mov_b32 s0, 0
	s_mov_b32 s40, 0
	s_branch .LBB16_59
.LBB16_41:
	s_mov_b32 s27, -1
	s_mov_b32 s1, 0
	s_branch .LBB16_44
.LBB16_42:
	s_mov_b32 s41, -1
	s_mov_b32 s0, 0
	s_mov_b32 s40, 0
	s_branch .LBB16_55
.LBB16_43:
	s_mov_b32 s1, -1
.LBB16_44:
	s_mov_b32 s26, 0
                                        ; implicit-def: $vgpr3
.LBB16_45:
	s_and_b32 vcc_lo, exec_lo, s27
	s_cbranch_vccz .LBB16_158
; %bb.46:
	s_cmp_eq_u32 s0, 44
	s_cbranch_scc0 .LBB16_157
; %bb.47:
	global_load_ubyte v3, v[1:2], off
	s_mov_b32 s1, 0
	s_mov_b32 s26, -1
	s_waitcnt vmcnt(0)
	v_lshlrev_b32_e32 v4, 23, v3
	v_cmp_ne_u32_e32 vcc_lo, 0xff, v3
	v_cndmask_b32_e32 v4, 0x7f800001, v4, vcc_lo
	v_cmp_ne_u32_e32 vcc_lo, 0, v3
	v_cndmask_b32_e32 v3, 0x400000, v4, vcc_lo
	s_branch .LBB16_158
.LBB16_48:
	s_mov_b32 s41, -1
	s_mov_b32 s0, 0
	s_mov_b32 s40, 0
.LBB16_49:
	s_and_b32 vcc_lo, exec_lo, s41
	s_cbranch_vccz .LBB16_54
; %bb.50:
	s_cmp_eq_u32 s27, 44
	s_mov_b32 s0, -1
	s_cbranch_scc0 .LBB16_54
; %bb.51:
	v_bfe_u32 v4, v2, 23, 8
	v_mov_b32_e32 v3, 0xff
	s_mov_b32 s40, exec_lo
	v_cmpx_ne_u32_e32 0xff, v4
	s_cbranch_execz .LBB16_53
; %bb.52:
	v_and_b32_e32 v3, 0x400000, v2
	v_and_or_b32 v4, 0x3fffff, v2, v4
	v_cmp_ne_u32_e32 vcc_lo, 0, v3
	v_cmp_ne_u32_e64 s0, 0, v4
	v_lshrrev_b32_e32 v3, 23, v2
	s_and_b32 s0, vcc_lo, s0
	v_cndmask_b32_e64 v4, 0, 1, s0
	v_add_nc_u32_e32 v3, v3, v4
.LBB16_53:
	s_or_b32 exec_lo, exec_lo, s40
	s_mov_b32 s40, -1
	s_mov_b32 s0, 0
	global_store_byte v[0:1], v3, off
.LBB16_54:
	s_mov_b32 s41, 0
.LBB16_55:
	s_and_b32 vcc_lo, exec_lo, s41
	s_cbranch_vccz .LBB16_58
; %bb.56:
	s_cmp_eq_u32 s27, 29
	s_mov_b32 s0, -1
	s_cbranch_scc0 .LBB16_58
; %bb.57:
	v_trunc_f32_e32 v3, v2
	s_mov_b32 s40, -1
	s_mov_b32 s0, 0
	s_mov_b32 s41, 0
	v_mul_f32_e32 v4, 0x2f800000, v3
	v_floor_f32_e32 v4, v4
	v_fmamk_f32 v3, v4, 0xcf800000, v3
	v_cvt_u32_f32_e32 v4, v4
	v_cvt_u32_f32_e32 v3, v3
	global_store_dwordx2 v[0:1], v[3:4], off
	s_branch .LBB16_59
.LBB16_58:
	s_mov_b32 s41, 0
.LBB16_59:
	s_and_b32 vcc_lo, exec_lo, s41
	s_cbranch_vccz .LBB16_75
; %bb.60:
	s_cmp_lt_i32 s27, 27
	s_mov_b32 s40, -1
	s_cbranch_scc1 .LBB16_66
; %bb.61:
	v_cvt_u32_f32_e32 v3, v2
	s_cmp_gt_i32 s27, 27
	s_cbranch_scc0 .LBB16_63
; %bb.62:
	s_mov_b32 s40, 0
	global_store_dword v[0:1], v3, off
.LBB16_63:
	s_andn2_b32 vcc_lo, exec_lo, s40
	s_cbranch_vccnz .LBB16_65
; %bb.64:
	global_store_short v[0:1], v3, off
.LBB16_65:
	s_mov_b32 s40, 0
.LBB16_66:
	s_andn2_b32 vcc_lo, exec_lo, s40
	s_cbranch_vccnz .LBB16_74
; %bb.67:
	v_and_b32_e32 v3, 0x7fffffff, v2
	v_mov_b32_e32 v4, 0x80
	s_mov_b32 s40, exec_lo
	v_cmpx_gt_u32_e32 0x43800000, v3
	s_cbranch_execz .LBB16_73
; %bb.68:
	v_cmp_lt_u32_e32 vcc_lo, 0x3bffffff, v3
	s_mov_b32 s41, 0
                                        ; implicit-def: $vgpr3
	s_and_saveexec_b32 s44, vcc_lo
	s_xor_b32 s44, exec_lo, s44
	s_cbranch_execz .LBB16_311
; %bb.69:
	v_bfe_u32 v3, v2, 20, 1
	s_mov_b32 s41, exec_lo
	v_add3_u32 v3, v2, v3, 0x487ffff
	v_lshrrev_b32_e32 v3, 20, v3
	s_andn2_saveexec_b32 s44, s44
	s_cbranch_execnz .LBB16_312
.LBB16_70:
	s_or_b32 exec_lo, exec_lo, s44
	v_mov_b32_e32 v4, 0
	s_and_saveexec_b32 s44, s41
.LBB16_71:
	v_lshrrev_b32_e32 v4, 24, v2
	v_and_or_b32 v4, 0x80, v4, v3
.LBB16_72:
	s_or_b32 exec_lo, exec_lo, s44
.LBB16_73:
	s_or_b32 exec_lo, exec_lo, s40
	global_store_byte v[0:1], v4, off
.LBB16_74:
	s_mov_b32 s40, -1
.LBB16_75:
	s_mov_b32 s41, 0
.LBB16_76:
	s_and_b32 vcc_lo, exec_lo, s41
	s_cbranch_vccz .LBB16_117
; %bb.77:
	s_cmp_gt_i32 s27, 22
	s_mov_b32 s41, -1
	s_cbranch_scc0 .LBB16_109
; %bb.78:
	s_cmp_lt_i32 s27, 24
	s_mov_b32 s40, -1
	s_cbranch_scc1 .LBB16_98
; %bb.79:
	s_cmp_gt_i32 s27, 24
	s_cbranch_scc0 .LBB16_87
; %bb.80:
	v_and_b32_e32 v3, 0x7fffffff, v2
	v_mov_b32_e32 v4, 0x80
	s_mov_b32 s40, exec_lo
	v_cmpx_gt_u32_e32 0x47800000, v3
	s_cbranch_execz .LBB16_86
; %bb.81:
	v_cmp_lt_u32_e32 vcc_lo, 0x37ffffff, v3
	s_mov_b32 s41, 0
                                        ; implicit-def: $vgpr3
	s_and_saveexec_b32 s44, vcc_lo
	s_xor_b32 s44, exec_lo, s44
	s_cbranch_execz .LBB16_315
; %bb.82:
	v_bfe_u32 v3, v2, 21, 1
	s_mov_b32 s41, exec_lo
	v_add3_u32 v3, v2, v3, 0x88fffff
	v_lshrrev_b32_e32 v3, 21, v3
	s_andn2_saveexec_b32 s44, s44
	s_cbranch_execnz .LBB16_316
.LBB16_83:
	s_or_b32 exec_lo, exec_lo, s44
	v_mov_b32_e32 v4, 0
	s_and_saveexec_b32 s44, s41
.LBB16_84:
	v_lshrrev_b32_e32 v4, 24, v2
	v_and_or_b32 v4, 0x80, v4, v3
.LBB16_85:
	s_or_b32 exec_lo, exec_lo, s44
.LBB16_86:
	s_or_b32 exec_lo, exec_lo, s40
	s_mov_b32 s40, 0
	global_store_byte v[0:1], v4, off
.LBB16_87:
	s_and_b32 vcc_lo, exec_lo, s40
	s_cbranch_vccz .LBB16_97
; %bb.88:
	v_and_b32_e32 v4, 0x7fffffff, v2
	s_mov_b32 s40, exec_lo
                                        ; implicit-def: $vgpr3
	v_cmpx_gt_u32_e32 0x43f00000, v4
	s_xor_b32 s40, exec_lo, s40
	s_cbranch_execz .LBB16_94
; %bb.89:
	s_mov_b32 s41, exec_lo
                                        ; implicit-def: $vgpr3
	v_cmpx_lt_u32_e32 0x3c7fffff, v4
	s_xor_b32 s41, exec_lo, s41
; %bb.90:
	v_bfe_u32 v3, v2, 20, 1
	v_add3_u32 v3, v2, v3, 0x407ffff
	v_and_b32_e32 v4, 0xff00000, v3
	v_lshrrev_b32_e32 v3, 20, v3
	v_cmp_ne_u32_e32 vcc_lo, 0x7f00000, v4
	v_cndmask_b32_e32 v3, 0x7e, v3, vcc_lo
; %bb.91:
	s_andn2_saveexec_b32 s41, s41
; %bb.92:
	v_add_f32_e64 v3, 0x46800000, |v2|
; %bb.93:
	s_or_b32 exec_lo, exec_lo, s41
                                        ; implicit-def: $vgpr4
.LBB16_94:
	s_andn2_saveexec_b32 s40, s40
; %bb.95:
	v_mov_b32_e32 v3, 0x7f
	v_cmp_lt_u32_e32 vcc_lo, 0x7f800000, v4
	v_cndmask_b32_e32 v3, 0x7e, v3, vcc_lo
; %bb.96:
	s_or_b32 exec_lo, exec_lo, s40
	v_lshrrev_b32_e32 v4, 24, v2
	v_and_or_b32 v3, 0x80, v4, v3
	global_store_byte v[0:1], v3, off
.LBB16_97:
	s_mov_b32 s40, 0
.LBB16_98:
	s_andn2_b32 vcc_lo, exec_lo, s40
	s_cbranch_vccnz .LBB16_108
; %bb.99:
	v_and_b32_e32 v4, 0x7fffffff, v2
	s_mov_b32 s40, exec_lo
                                        ; implicit-def: $vgpr3
	v_cmpx_gt_u32_e32 0x47800000, v4
	s_xor_b32 s40, exec_lo, s40
	s_cbranch_execz .LBB16_105
; %bb.100:
	s_mov_b32 s41, exec_lo
                                        ; implicit-def: $vgpr3
	v_cmpx_lt_u32_e32 0x387fffff, v4
	s_xor_b32 s41, exec_lo, s41
; %bb.101:
	v_bfe_u32 v3, v2, 21, 1
	v_add3_u32 v3, v2, v3, 0x80fffff
	v_lshrrev_b32_e32 v3, 21, v3
; %bb.102:
	s_andn2_saveexec_b32 s41, s41
; %bb.103:
	v_add_f32_e64 v3, 0x43000000, |v2|
; %bb.104:
	s_or_b32 exec_lo, exec_lo, s41
                                        ; implicit-def: $vgpr4
.LBB16_105:
	s_andn2_saveexec_b32 s40, s40
; %bb.106:
	v_mov_b32_e32 v3, 0x7f
	v_cmp_lt_u32_e32 vcc_lo, 0x7f800000, v4
	v_cndmask_b32_e32 v3, 0x7c, v3, vcc_lo
; %bb.107:
	s_or_b32 exec_lo, exec_lo, s40
	v_lshrrev_b32_e32 v4, 24, v2
	v_and_or_b32 v3, 0x80, v4, v3
	global_store_byte v[0:1], v3, off
.LBB16_108:
	s_mov_b32 s41, 0
	s_mov_b32 s40, -1
.LBB16_109:
	s_andn2_b32 vcc_lo, exec_lo, s41
	s_cbranch_vccnz .LBB16_117
; %bb.110:
	s_cmp_gt_i32 s27, 14
	s_mov_b32 s41, -1
	s_cbranch_scc0 .LBB16_114
; %bb.111:
	s_cmp_eq_u32 s27, 15
	s_mov_b32 s0, -1
	s_cbranch_scc0 .LBB16_113
; %bb.112:
	v_bfe_u32 v3, v2, 16, 1
	v_cmp_o_f32_e32 vcc_lo, v2, v2
	v_mov_b32_e32 v4, 0x7fc0
	s_mov_b32 s40, -1
	s_mov_b32 s0, 0
	v_add3_u32 v3, v2, v3, 0x7fff
	v_cndmask_b32_sdwa v3, v4, v3, vcc_lo dst_sel:DWORD dst_unused:UNUSED_PAD src0_sel:DWORD src1_sel:WORD_1
	global_store_short v[0:1], v3, off
.LBB16_113:
	s_mov_b32 s41, 0
.LBB16_114:
	s_and_b32 vcc_lo, exec_lo, s41
	s_cbranch_vccz .LBB16_117
; %bb.115:
	s_cmp_eq_u32 s27, 11
	s_mov_b32 s0, -1
	s_cbranch_scc0 .LBB16_117
; %bb.116:
	v_cmp_neq_f32_e32 vcc_lo, 0, v2
	s_mov_b32 s0, 0
	s_mov_b32 s40, -1
	v_cndmask_b32_e64 v3, 0, 1, vcc_lo
	global_store_byte v[0:1], v3, off
.LBB16_117:
	s_branch .LBB16_36
.LBB16_118:
	s_and_b32 s26, 0xffff, s26
	s_mov_b32 s27, -1
	s_cmp_lt_i32 s26, 5
	s_cbranch_scc1 .LBB16_139
; %bb.119:
	s_cmp_lt_i32 s26, 8
	s_cbranch_scc1 .LBB16_129
; %bb.120:
	;; [unrolled: 3-line block ×3, first 2 shown]
	s_cmp_gt_i32 s26, 9
	s_cbranch_scc0 .LBB16_123
; %bb.122:
	v_cvt_f64_f32_e32 v[3:4], v2
	v_mov_b32_e32 v5, 0
	s_mov_b32 s27, 0
	v_mov_b32_e32 v6, v5
	global_store_dwordx4 v[0:1], v[3:6], off
.LBB16_123:
	s_andn2_b32 vcc_lo, exec_lo, s27
	s_cbranch_vccnz .LBB16_125
; %bb.124:
	v_mov_b32_e32 v3, 0
	global_store_dwordx2 v[0:1], v[2:3], off
.LBB16_125:
	s_mov_b32 s27, 0
.LBB16_126:
	s_andn2_b32 vcc_lo, exec_lo, s27
	s_cbranch_vccnz .LBB16_128
; %bb.127:
	v_cvt_f16_f32_e32 v3, v2
	v_and_b32_e32 v3, 0xffff, v3
	global_store_dword v[0:1], v3, off
.LBB16_128:
	s_mov_b32 s27, 0
.LBB16_129:
	s_andn2_b32 vcc_lo, exec_lo, s27
	s_cbranch_vccnz .LBB16_138
; %bb.130:
	s_cmp_lt_i32 s26, 6
	s_mov_b32 s27, -1
	s_cbranch_scc1 .LBB16_136
; %bb.131:
	s_cmp_gt_i32 s26, 6
	s_cbranch_scc0 .LBB16_133
; %bb.132:
	v_cvt_f64_f32_e32 v[3:4], v2
	s_mov_b32 s27, 0
	global_store_dwordx2 v[0:1], v[3:4], off
.LBB16_133:
	s_andn2_b32 vcc_lo, exec_lo, s27
	s_cbranch_vccnz .LBB16_135
; %bb.134:
	global_store_dword v[0:1], v2, off
.LBB16_135:
	s_mov_b32 s27, 0
.LBB16_136:
	s_andn2_b32 vcc_lo, exec_lo, s27
	s_cbranch_vccnz .LBB16_138
; %bb.137:
	v_cvt_f16_f32_e32 v3, v2
	global_store_short v[0:1], v3, off
.LBB16_138:
	s_mov_b32 s27, 0
.LBB16_139:
	s_andn2_b32 vcc_lo, exec_lo, s27
	s_cbranch_vccnz .LBB16_155
; %bb.140:
	s_cmp_lt_i32 s26, 2
	s_mov_b32 s27, -1
	s_cbranch_scc1 .LBB16_150
; %bb.141:
	s_cmp_lt_i32 s26, 3
	s_cbranch_scc1 .LBB16_147
; %bb.142:
	s_cmp_gt_i32 s26, 3
	s_cbranch_scc0 .LBB16_144
; %bb.143:
	v_trunc_f32_e32 v3, v2
	s_mov_b32 s27, 0
	v_mul_f32_e64 v4, 0x2f800000, |v3|
	v_ashrrev_i32_e32 v6, 31, v3
	v_floor_f32_e32 v4, v4
	v_fma_f32 v5, 0xcf800000, v4, |v3|
	v_cvt_u32_f32_e32 v4, v4
	v_cvt_u32_f32_e32 v3, v5
	v_xor_b32_e32 v4, v4, v6
	v_xor_b32_e32 v3, v3, v6
	v_sub_co_u32 v3, vcc_lo, v3, v6
	v_sub_co_ci_u32_e64 v4, null, v4, v6, vcc_lo
	global_store_dwordx2 v[0:1], v[3:4], off
.LBB16_144:
	s_andn2_b32 vcc_lo, exec_lo, s27
	s_cbranch_vccnz .LBB16_146
; %bb.145:
	v_cvt_i32_f32_e32 v3, v2
	global_store_dword v[0:1], v3, off
.LBB16_146:
	s_mov_b32 s27, 0
.LBB16_147:
	s_andn2_b32 vcc_lo, exec_lo, s27
	s_cbranch_vccnz .LBB16_149
; %bb.148:
	v_cvt_i32_f32_e32 v3, v2
	global_store_short v[0:1], v3, off
.LBB16_149:
	s_mov_b32 s27, 0
.LBB16_150:
	s_andn2_b32 vcc_lo, exec_lo, s27
	s_cbranch_vccnz .LBB16_155
; %bb.151:
	s_cmp_gt_i32 s26, 0
	s_mov_b32 s26, -1
	s_cbranch_scc0 .LBB16_153
; %bb.152:
	v_cvt_i32_f32_e32 v3, v2
	s_mov_b32 s26, 0
	global_store_byte v[0:1], v3, off
.LBB16_153:
	s_andn2_b32 vcc_lo, exec_lo, s26
	s_cbranch_vccnz .LBB16_155
; %bb.154:
	v_trunc_f32_e32 v2, v2
	v_mul_f32_e64 v3, 0x2f800000, |v2|
	v_floor_f32_e32 v3, v3
	v_fma_f32 v3, 0xcf800000, v3, |v2|
	v_ashrrev_i32_e32 v2, 31, v2
	v_cvt_u32_f32_e32 v3, v3
	v_xor_b32_e32 v3, v3, v2
	v_sub_nc_u32_e32 v2, v3, v2
	global_store_byte v[0:1], v2, off
.LBB16_155:
.LBB16_156:
	v_add_nc_u32_e32 v8, 0x80, v8
	s_mov_b32 s26, -1
	s_branch .LBB16_267
.LBB16_157:
	s_mov_b32 s1, -1
                                        ; implicit-def: $vgpr3
.LBB16_158:
	s_mov_b32 s27, 0
.LBB16_159:
	s_and_b32 vcc_lo, exec_lo, s27
	s_cbranch_vccz .LBB16_163
; %bb.160:
	s_cmp_eq_u32 s0, 29
	s_cbranch_scc0 .LBB16_162
; %bb.161:
	global_load_dwordx2 v[3:4], v[1:2], off
	s_mov_b32 s26, -1
	s_mov_b32 s1, 0
	s_mov_b32 s27, 0
	s_waitcnt vmcnt(0)
	v_ffbh_u32_e32 v5, v4
	v_min_u32_e32 v5, 32, v5
	v_lshlrev_b64 v[3:4], v5, v[3:4]
	v_min_u32_e32 v3, 1, v3
	v_or_b32_e32 v3, v4, v3
	v_sub_nc_u32_e32 v4, 32, v5
	v_cvt_f32_u32_e32 v3, v3
	v_ldexp_f32 v3, v3, v4
	s_branch .LBB16_164
.LBB16_162:
	s_mov_b32 s1, -1
                                        ; implicit-def: $vgpr3
.LBB16_163:
	s_mov_b32 s27, 0
.LBB16_164:
	s_and_b32 vcc_lo, exec_lo, s27
	s_cbranch_vccz .LBB16_182
; %bb.165:
	s_cmp_lt_i32 s0, 27
	s_cbranch_scc1 .LBB16_168
; %bb.166:
	s_cmp_gt_i32 s0, 27
	s_cbranch_scc0 .LBB16_169
; %bb.167:
	global_load_dword v3, v[1:2], off
	s_mov_b32 s26, 0
	s_waitcnt vmcnt(0)
	v_cvt_f32_u32_e32 v3, v3
	s_branch .LBB16_170
.LBB16_168:
	s_mov_b32 s26, -1
                                        ; implicit-def: $vgpr3
	s_branch .LBB16_173
.LBB16_169:
	s_mov_b32 s26, -1
                                        ; implicit-def: $vgpr3
.LBB16_170:
	s_andn2_b32 vcc_lo, exec_lo, s26
	s_cbranch_vccnz .LBB16_172
; %bb.171:
	global_load_ushort v3, v[1:2], off
	s_waitcnt vmcnt(0)
	v_cvt_f32_u32_e32 v3, v3
.LBB16_172:
	s_mov_b32 s26, 0
.LBB16_173:
	s_andn2_b32 vcc_lo, exec_lo, s26
	s_cbranch_vccnz .LBB16_181
; %bb.174:
	global_load_ubyte v4, v[1:2], off
	s_mov_b32 s26, 0
	s_mov_b32 s27, exec_lo
	s_waitcnt vmcnt(0)
	v_cmpx_lt_i16_e32 0x7f, v4
	s_xor_b32 s27, exec_lo, s27
	s_cbranch_execz .LBB16_194
; %bb.175:
	s_mov_b32 s26, -1
	s_mov_b32 s40, exec_lo
	v_cmpx_eq_u16_e32 0x80, v4
; %bb.176:
	s_xor_b32 s26, exec_lo, -1
; %bb.177:
	s_or_b32 exec_lo, exec_lo, s40
	s_and_b32 s26, s26, exec_lo
	s_or_saveexec_b32 s27, s27
	v_mov_b32_e32 v3, 0x7f800001
	s_xor_b32 exec_lo, exec_lo, s27
	s_cbranch_execnz .LBB16_195
.LBB16_178:
	s_or_b32 exec_lo, exec_lo, s27
	s_and_saveexec_b32 s27, s26
	s_cbranch_execz .LBB16_180
.LBB16_179:
	v_and_b32_e32 v3, 0xffff, v4
	v_lshlrev_b32_e32 v4, 24, v4
	v_and_b32_e32 v5, 7, v3
	v_bfe_u32 v9, v3, 3, 4
	v_and_b32_e32 v4, 0x80000000, v4
	v_ffbh_u32_e32 v6, v5
	v_cmp_eq_u32_e32 vcc_lo, 0, v9
	v_min_u32_e32 v6, 32, v6
	v_subrev_nc_u32_e32 v7, 28, v6
	v_sub_nc_u32_e32 v6, 29, v6
	v_lshlrev_b32_e32 v3, v7, v3
	v_cndmask_b32_e32 v6, v9, v6, vcc_lo
	v_and_b32_e32 v3, 7, v3
	v_cndmask_b32_e32 v3, v5, v3, vcc_lo
	v_lshl_add_u32 v5, v6, 23, 0x3b800000
	v_lshlrev_b32_e32 v3, 20, v3
	v_or3_b32 v3, v4, v5, v3
.LBB16_180:
	s_or_b32 exec_lo, exec_lo, s27
.LBB16_181:
	s_mov_b32 s26, -1
.LBB16_182:
	s_branch .LBB16_217
.LBB16_183:
	s_cmp_gt_i32 s0, 22
	s_cbranch_scc0 .LBB16_193
; %bb.184:
	s_cmp_lt_i32 s0, 24
	s_cbranch_scc1 .LBB16_196
; %bb.185:
	s_cmp_gt_i32 s0, 24
	s_cbranch_scc0 .LBB16_197
; %bb.186:
	global_load_ubyte v4, v[1:2], off
	s_mov_b32 s26, 0
	s_mov_b32 s27, exec_lo
	s_waitcnt vmcnt(0)
	v_cmpx_lt_i16_e32 0x7f, v4
	s_xor_b32 s27, exec_lo, s27
	s_cbranch_execz .LBB16_209
; %bb.187:
	s_mov_b32 s26, -1
	s_mov_b32 s40, exec_lo
	v_cmpx_eq_u16_e32 0x80, v4
; %bb.188:
	s_xor_b32 s26, exec_lo, -1
; %bb.189:
	s_or_b32 exec_lo, exec_lo, s40
	s_and_b32 s26, s26, exec_lo
	s_or_saveexec_b32 s27, s27
	v_mov_b32_e32 v3, 0x7f800001
	s_xor_b32 exec_lo, exec_lo, s27
	s_cbranch_execnz .LBB16_210
.LBB16_190:
	s_or_b32 exec_lo, exec_lo, s27
	s_and_saveexec_b32 s27, s26
	s_cbranch_execz .LBB16_192
.LBB16_191:
	v_and_b32_e32 v3, 0xffff, v4
	v_lshlrev_b32_e32 v4, 24, v4
	v_and_b32_e32 v5, 3, v3
	v_bfe_u32 v9, v3, 2, 5
	v_and_b32_e32 v4, 0x80000000, v4
	v_ffbh_u32_e32 v6, v5
	v_cmp_eq_u32_e32 vcc_lo, 0, v9
	v_min_u32_e32 v6, 32, v6
	v_subrev_nc_u32_e32 v7, 29, v6
	v_sub_nc_u32_e32 v6, 30, v6
	v_lshlrev_b32_e32 v3, v7, v3
	v_cndmask_b32_e32 v6, v9, v6, vcc_lo
	v_and_b32_e32 v3, 3, v3
	v_cndmask_b32_e32 v3, v5, v3, vcc_lo
	v_lshl_add_u32 v5, v6, 23, 0x37800000
	v_lshlrev_b32_e32 v3, 21, v3
	v_or3_b32 v3, v4, v5, v3
.LBB16_192:
	s_or_b32 exec_lo, exec_lo, s27
	s_mov_b32 s26, 0
	s_branch .LBB16_198
.LBB16_193:
	s_mov_b32 s27, -1
                                        ; implicit-def: $vgpr3
	s_branch .LBB16_204
.LBB16_194:
	s_or_saveexec_b32 s27, s27
	v_mov_b32_e32 v3, 0x7f800001
	s_xor_b32 exec_lo, exec_lo, s27
	s_cbranch_execz .LBB16_178
.LBB16_195:
	v_cmp_ne_u16_e32 vcc_lo, 0, v4
	v_mov_b32_e32 v3, 0
	s_andn2_b32 s26, s26, exec_lo
	s_and_b32 s40, vcc_lo, exec_lo
	s_or_b32 s26, s26, s40
	s_or_b32 exec_lo, exec_lo, s27
	s_and_saveexec_b32 s27, s26
	s_cbranch_execnz .LBB16_179
	s_branch .LBB16_180
.LBB16_196:
	s_mov_b32 s26, -1
                                        ; implicit-def: $vgpr3
	s_branch .LBB16_201
.LBB16_197:
	s_mov_b32 s26, -1
                                        ; implicit-def: $vgpr3
.LBB16_198:
	s_and_b32 vcc_lo, exec_lo, s26
	s_cbranch_vccz .LBB16_200
; %bb.199:
	global_load_ubyte v3, v[1:2], off
	s_waitcnt vmcnt(0)
	v_lshlrev_b32_e32 v3, 24, v3
	v_and_b32_e32 v4, 0x7f000000, v3
	v_ffbh_u32_e32 v5, v4
	v_add_nc_u32_e32 v7, 0x1000000, v4
	v_cmp_ne_u32_e32 vcc_lo, 0, v4
	v_min_u32_e32 v5, 32, v5
	v_sub_nc_u32_e64 v5, v5, 4 clamp
	v_lshlrev_b32_e32 v6, v5, v4
	v_lshlrev_b32_e32 v5, 23, v5
	v_lshrrev_b32_e32 v6, 4, v6
	v_sub_nc_u32_e32 v5, v6, v5
	v_ashrrev_i32_e32 v6, 8, v7
	v_add_nc_u32_e32 v5, 0x3c000000, v5
	v_and_or_b32 v5, 0x7f800000, v6, v5
	v_cndmask_b32_e32 v4, 0, v5, vcc_lo
	v_and_or_b32 v3, 0x80000000, v3, v4
.LBB16_200:
	s_mov_b32 s26, 0
.LBB16_201:
	s_andn2_b32 vcc_lo, exec_lo, s26
	s_cbranch_vccnz .LBB16_203
; %bb.202:
	global_load_ubyte v3, v[1:2], off
	s_waitcnt vmcnt(0)
	v_lshlrev_b32_e32 v4, 25, v3
	v_lshlrev_b16 v3, 8, v3
	v_lshrrev_b32_e32 v5, 4, v4
	v_and_or_b32 v6, 0x7f00, v3, 0.5
	v_cmp_gt_u32_e32 vcc_lo, 0x8000000, v4
	v_bfe_i32 v3, v3, 0, 16
	v_or_b32_e32 v5, 0x70000000, v5
	v_add_f32_e32 v6, -0.5, v6
	v_mul_f32_e32 v5, 0x7800000, v5
	v_cndmask_b32_e32 v4, v5, v6, vcc_lo
	v_and_or_b32 v3, 0x80000000, v3, v4
.LBB16_203:
	s_mov_b32 s27, 0
	s_mov_b32 s26, -1
.LBB16_204:
	s_andn2_b32 vcc_lo, exec_lo, s27
	s_cbranch_vccnz .LBB16_217
; %bb.205:
	s_cmp_gt_i32 s0, 14
	s_cbranch_scc0 .LBB16_208
; %bb.206:
	s_cmp_eq_u32 s0, 15
	s_cbranch_scc0 .LBB16_211
; %bb.207:
	global_load_ushort v3, v[1:2], off
	s_mov_b32 s26, -1
	s_mov_b32 s1, 0
	s_waitcnt vmcnt(0)
	v_lshlrev_b32_e32 v3, 16, v3
	s_branch .LBB16_212
.LBB16_208:
	s_mov_b32 s27, -1
                                        ; implicit-def: $vgpr3
	s_branch .LBB16_213
.LBB16_209:
	s_or_saveexec_b32 s27, s27
	v_mov_b32_e32 v3, 0x7f800001
	s_xor_b32 exec_lo, exec_lo, s27
	s_cbranch_execz .LBB16_190
.LBB16_210:
	v_cmp_ne_u16_e32 vcc_lo, 0, v4
	v_mov_b32_e32 v3, 0
	s_andn2_b32 s26, s26, exec_lo
	s_and_b32 s40, vcc_lo, exec_lo
	s_or_b32 s26, s26, s40
	s_or_b32 exec_lo, exec_lo, s27
	s_and_saveexec_b32 s27, s26
	s_cbranch_execnz .LBB16_191
	s_branch .LBB16_192
.LBB16_211:
	s_mov_b32 s1, -1
                                        ; implicit-def: $vgpr3
.LBB16_212:
	s_mov_b32 s27, 0
.LBB16_213:
	s_and_b32 vcc_lo, exec_lo, s27
	s_cbranch_vccz .LBB16_217
; %bb.214:
	s_cmp_eq_u32 s0, 11
	s_cbranch_scc0 .LBB16_216
; %bb.215:
	global_load_ubyte v3, v[1:2], off
	s_mov_b32 s1, 0
	s_mov_b32 s26, -1
	s_waitcnt vmcnt(0)
	v_cmp_ne_u16_e32 vcc_lo, 0, v3
	v_cndmask_b32_e64 v3, 0, 1.0, vcc_lo
	s_branch .LBB16_217
.LBB16_216:
	s_mov_b32 s1, -1
                                        ; implicit-def: $vgpr3
.LBB16_217:
	s_branch .LBB16_24
.LBB16_218:
	s_cmp_lt_i32 s0, 5
	s_cbranch_scc1 .LBB16_223
; %bb.219:
	s_cmp_lt_i32 s0, 8
	s_cbranch_scc1 .LBB16_224
; %bb.220:
	;; [unrolled: 3-line block ×3, first 2 shown]
	s_cmp_gt_i32 s0, 9
	s_cbranch_scc0 .LBB16_226
; %bb.222:
	global_load_dwordx2 v[3:4], v[1:2], off
	s_mov_b32 s26, 0
	s_waitcnt vmcnt(0)
	v_cvt_f32_f64_e32 v3, v[3:4]
	s_branch .LBB16_227
.LBB16_223:
                                        ; implicit-def: $vgpr3
	s_branch .LBB16_245
.LBB16_224:
	s_mov_b32 s26, -1
                                        ; implicit-def: $vgpr3
	s_branch .LBB16_233
.LBB16_225:
	s_mov_b32 s26, -1
                                        ; implicit-def: $vgpr3
	s_branch .LBB16_230
.LBB16_226:
	s_mov_b32 s26, -1
                                        ; implicit-def: $vgpr3
.LBB16_227:
	s_andn2_b32 vcc_lo, exec_lo, s26
	s_cbranch_vccnz .LBB16_229
; %bb.228:
	global_load_dword v3, v[1:2], off
.LBB16_229:
	s_mov_b32 s26, 0
.LBB16_230:
	s_andn2_b32 vcc_lo, exec_lo, s26
	s_cbranch_vccnz .LBB16_232
; %bb.231:
	global_load_dword v3, v[1:2], off
	s_waitcnt vmcnt(0)
	v_cvt_f32_f16_e32 v3, v3
.LBB16_232:
	s_mov_b32 s26, 0
.LBB16_233:
	s_andn2_b32 vcc_lo, exec_lo, s26
	s_cbranch_vccnz .LBB16_244
; %bb.234:
	s_cmp_lt_i32 s0, 6
	s_cbranch_scc1 .LBB16_237
; %bb.235:
	s_cmp_gt_i32 s0, 6
	s_cbranch_scc0 .LBB16_238
; %bb.236:
	global_load_dwordx2 v[3:4], v[1:2], off
	s_mov_b32 s26, 0
	s_waitcnt vmcnt(0)
	v_cvt_f32_f64_e32 v3, v[3:4]
	s_branch .LBB16_239
.LBB16_237:
	s_mov_b32 s26, -1
                                        ; implicit-def: $vgpr3
	s_branch .LBB16_242
.LBB16_238:
	s_mov_b32 s26, -1
                                        ; implicit-def: $vgpr3
.LBB16_239:
	s_andn2_b32 vcc_lo, exec_lo, s26
	s_cbranch_vccnz .LBB16_241
; %bb.240:
	global_load_dword v3, v[1:2], off
.LBB16_241:
	s_mov_b32 s26, 0
.LBB16_242:
	s_andn2_b32 vcc_lo, exec_lo, s26
	s_cbranch_vccnz .LBB16_244
; %bb.243:
	global_load_ushort v3, v[1:2], off
	s_waitcnt vmcnt(0)
	v_cvt_f32_f16_e32 v3, v3
.LBB16_244:
	s_cbranch_execnz .LBB16_264
.LBB16_245:
	s_cmp_lt_i32 s0, 2
	s_cbranch_scc1 .LBB16_249
; %bb.246:
	s_cmp_lt_i32 s0, 3
	s_cbranch_scc1 .LBB16_250
; %bb.247:
	s_cmp_gt_i32 s0, 3
	s_cbranch_scc0 .LBB16_251
; %bb.248:
	global_load_dwordx2 v[3:4], v[1:2], off
	s_mov_b32 s26, 0
	s_waitcnt vmcnt(0)
	v_xor_b32_e32 v5, v3, v4
	v_ffbh_i32_e32 v6, v4
	v_ashrrev_i32_e32 v5, 31, v5
	v_add_nc_u32_e32 v6, -1, v6
	v_add_nc_u32_e32 v5, 32, v5
	v_min_u32_e32 v5, v6, v5
	v_lshlrev_b64 v[3:4], v5, v[3:4]
	v_min_u32_e32 v3, 1, v3
	v_or_b32_e32 v3, v4, v3
	v_sub_nc_u32_e32 v4, 32, v5
	v_cvt_f32_i32_e32 v3, v3
	v_ldexp_f32 v3, v3, v4
	s_branch .LBB16_252
.LBB16_249:
	s_mov_b32 s26, -1
                                        ; implicit-def: $vgpr3
	s_branch .LBB16_258
.LBB16_250:
	s_mov_b32 s26, -1
                                        ; implicit-def: $vgpr3
	s_branch .LBB16_255
.LBB16_251:
	s_mov_b32 s26, -1
                                        ; implicit-def: $vgpr3
.LBB16_252:
	s_andn2_b32 vcc_lo, exec_lo, s26
	s_cbranch_vccnz .LBB16_254
; %bb.253:
	global_load_dword v3, v[1:2], off
	s_waitcnt vmcnt(0)
	v_cvt_f32_i32_e32 v3, v3
.LBB16_254:
	s_mov_b32 s26, 0
.LBB16_255:
	s_andn2_b32 vcc_lo, exec_lo, s26
	s_cbranch_vccnz .LBB16_257
; %bb.256:
	global_load_sshort v3, v[1:2], off
	s_waitcnt vmcnt(0)
	v_cvt_f32_i32_e32 v3, v3
.LBB16_257:
	s_mov_b32 s26, 0
.LBB16_258:
	s_andn2_b32 vcc_lo, exec_lo, s26
	s_cbranch_vccnz .LBB16_264
; %bb.259:
	s_cmp_gt_i32 s0, 0
	s_mov_b32 s0, 0
	s_cbranch_scc0 .LBB16_261
; %bb.260:
	global_load_sbyte v3, v[1:2], off
	s_waitcnt vmcnt(0)
	v_cvt_f32_i32_e32 v3, v3
	s_branch .LBB16_262
.LBB16_261:
	s_mov_b32 s0, -1
                                        ; implicit-def: $vgpr3
.LBB16_262:
	s_andn2_b32 vcc_lo, exec_lo, s0
	s_cbranch_vccnz .LBB16_264
; %bb.263:
	global_load_ubyte v1, v[1:2], off
	s_waitcnt vmcnt(0)
	v_cvt_f32_ubyte0_e32 v3, v1
.LBB16_264:
	s_branch .LBB16_25
.LBB16_265:
	s_mov_b32 s0, 0
.LBB16_266:
	s_mov_b32 s26, 0
                                        ; implicit-def: $vgpr8
.LBB16_267:
	s_and_b32 s40, s0, exec_lo
	s_and_b32 s41, s1, exec_lo
	s_orn2_b32 s1, s26, exec_lo
.LBB16_268:
	s_or_b32 exec_lo, exec_lo, s42
	s_mov_b32 s26, 0
	s_mov_b32 s0, 0
                                        ; implicit-def: $vgpr1_vgpr2
                                        ; implicit-def: $vgpr0
                                        ; implicit-def: $vgpr4
	s_and_saveexec_b32 s42, s1
	s_cbranch_execz .LBB16_275
; %bb.269:
	s_mov_b32 s0, -1
	s_mov_b32 s43, s41
	s_mov_b32 s44, s40
	s_mov_b32 s45, exec_lo
	v_cmpx_gt_i32_e64 s37, v8
	s_cbranch_execz .LBB16_547
; %bb.270:
	s_andn2_b32 vcc_lo, exec_lo, s31
	s_cbranch_vccnz .LBB16_278
; %bb.271:
	s_andn2_b32 vcc_lo, exec_lo, s39
	s_cbranch_vccnz .LBB16_279
; %bb.272:
	s_add_i32 s44, s38, 1
	s_cmp_eq_u32 s29, 2
	s_cbranch_scc1 .LBB16_280
; %bb.273:
	v_mov_b32_e32 v2, 0
	v_mov_b32_e32 v0, 0
	;; [unrolled: 1-line block ×3, first 2 shown]
	s_and_b32 s43, s44, 28
	s_mov_b32 s46, 0
	s_mov_b64 s[0:1], s[2:3]
	s_mov_b64 s[26:27], s[24:25]
.LBB16_274:                             ; =>This Inner Loop Header: Depth=1
	s_clause 0x1
	s_load_dwordx8 s[48:55], s[0:1], 0x4
	s_load_dwordx4 s[64:67], s[0:1], 0x24
	s_load_dwordx8 s[56:63], s[26:27], 0x0
	s_add_u32 s0, s0, 48
	s_addc_u32 s1, s1, 0
	s_add_i32 s46, s46, 4
	s_add_u32 s26, s26, 32
	s_addc_u32 s27, s27, 0
	s_cmp_eq_u32 s43, s46
	s_waitcnt vmcnt(0) lgkmcnt(0)
	v_mul_hi_u32 v3, s49, v1
	v_add_nc_u32_e32 v3, v1, v3
	v_lshrrev_b32_e32 v3, s50, v3
	v_mul_hi_u32 v4, s52, v3
	v_mul_lo_u32 v6, v3, s48
	v_add_nc_u32_e32 v4, v3, v4
	v_sub_nc_u32_e32 v1, v1, v6
	v_lshrrev_b32_e32 v4, s53, v4
	v_mul_lo_u32 v6, v1, s56
	v_mul_lo_u32 v9, v1, s57
	v_mul_hi_u32 v5, s55, v4
	v_add_nc_u32_e32 v5, v4, v5
	v_lshrrev_b32_e32 v5, s64, v5
	v_mul_hi_u32 v7, s66, v5
	v_mul_lo_u32 v10, v5, s54
	v_add_nc_u32_e32 v1, v5, v7
	v_mul_lo_u32 v7, v4, s51
	v_sub_nc_u32_e32 v4, v4, v10
	v_lshrrev_b32_e32 v1, s67, v1
	v_mul_lo_u32 v10, v4, s60
	v_mul_lo_u32 v4, v4, s61
	v_sub_nc_u32_e32 v3, v3, v7
	v_mul_lo_u32 v11, v1, s65
	v_mul_lo_u32 v7, v3, s58
	;; [unrolled: 1-line block ×3, first 2 shown]
	v_sub_nc_u32_e32 v5, v5, v11
	v_add3_u32 v0, v6, v0, v7
	v_mul_lo_u32 v11, v5, s62
	v_mul_lo_u32 v5, v5, s63
	v_add3_u32 v2, v9, v2, v3
	v_add3_u32 v0, v10, v0, v11
	;; [unrolled: 1-line block ×3, first 2 shown]
	s_cbranch_scc0 .LBB16_274
	s_branch .LBB16_281
.LBB16_275:
	s_or_b32 exec_lo, exec_lo, s42
	s_mov_b32 s1, 0
	s_and_saveexec_b32 s6, s41
	s_cbranch_execnz .LBB16_927
.LBB16_276:
	s_or_b32 exec_lo, exec_lo, s6
	s_and_saveexec_b32 s6, s43
	s_xor_b32 s6, exec_lo, s6
	s_cbranch_execz .LBB16_928
.LBB16_277:
	global_load_ubyte v3, v[1:2], off
	s_or_b32 s0, s0, exec_lo
	s_waitcnt vmcnt(0)
	v_cmp_ne_u16_e32 vcc_lo, 0, v3
	v_cndmask_b32_e64 v4, 0, 1.0, vcc_lo
	s_or_b32 exec_lo, exec_lo, s6
	s_and_saveexec_b32 s6, s26
	s_cbranch_execz .LBB16_974
	s_branch .LBB16_929
.LBB16_278:
                                        ; implicit-def: $vgpr0
                                        ; implicit-def: $vgpr2
	s_andn2_b32 vcc_lo, exec_lo, s0
	s_cbranch_vccz .LBB16_285
	s_branch .LBB16_287
.LBB16_279:
	v_mov_b32_e32 v0, 0
	v_mov_b32_e32 v2, 0
	s_branch .LBB16_284
.LBB16_280:
	v_mov_b32_e32 v0, 0
	v_mov_b32_e32 v2, 0
	v_mov_b32_e32 v1, v8
	s_mov_b32 s43, 0
.LBB16_281:
	s_and_b32 s44, s44, 3
	s_cmp_eq_u32 s44, 0
	s_cbranch_scc1 .LBB16_284
; %bb.282:
	s_lshl_b32 s0, s43, 3
	s_mul_i32 s26, s43, 12
	s_add_u32 s0, s2, s0
	s_addc_u32 s1, s3, 0
	s_add_u32 s0, s0, 0xc4
	s_addc_u32 s1, s1, 0
	;; [unrolled: 2-line block ×3, first 2 shown]
	.p2align	6
.LBB16_283:                             ; =>This Inner Loop Header: Depth=1
	s_clause 0x1
	s_load_dwordx2 s[46:47], s[26:27], 0x4
	s_load_dword s43, s[26:27], 0xc
	s_load_dwordx2 s[48:49], s[0:1], 0x0
	s_add_u32 s26, s26, 12
	s_addc_u32 s27, s27, 0
	s_add_u32 s0, s0, 8
	s_addc_u32 s1, s1, 0
	s_add_i32 s44, s44, -1
	s_cmp_lg_u32 s44, 0
	s_waitcnt vmcnt(0) lgkmcnt(0)
	v_mul_hi_u32 v3, s47, v1
	v_add_nc_u32_e32 v3, v1, v3
	v_lshrrev_b32_e32 v4, s43, v3
	v_mul_lo_u32 v3, v4, s46
	v_sub_nc_u32_e32 v3, v1, v3
	v_mad_u64_u32 v[0:1], null, v3, s48, v[0:1]
	v_mad_u64_u32 v[2:3], null, v3, s49, v[2:3]
	v_mov_b32_e32 v1, v4
	s_cbranch_scc1 .LBB16_283
.LBB16_284:
	s_cbranch_execnz .LBB16_287
.LBB16_285:
	v_mul_hi_u32 v0, s21, v8
	s_andn2_b32 vcc_lo, exec_lo, s36
	v_add_nc_u32_e32 v0, v8, v0
	v_lshrrev_b32_e32 v1, s22, v0
	v_mul_lo_u32 v0, v1, s20
	v_sub_nc_u32_e32 v2, v8, v0
	v_mul_lo_u32 v0, v2, s16
	v_mul_lo_u32 v2, v2, s17
	s_cbranch_vccnz .LBB16_287
; %bb.286:
	s_waitcnt vmcnt(0)
	v_mul_hi_u32 v3, s6, v1
	v_add_nc_u32_e32 v3, v1, v3
	v_lshrrev_b32_e32 v3, s7, v3
	v_mul_lo_u32 v3, v3, s23
	v_sub_nc_u32_e32 v3, v1, v3
	v_mad_u64_u32 v[0:1], null, v3, s18, v[0:1]
	v_mad_u64_u32 v[2:3], null, v3, s19, v[2:3]
.LBB16_287:
	v_add_co_u32 v1, s0, s10, v2
	v_add_co_ci_u32_e64 v2, null, s11, 0, s0
	s_and_b32 s0, 0xffff, s35
	s_cmp_lt_i32 s0, 11
	s_cbranch_scc1 .LBB16_294
; %bb.288:
	s_cmp_gt_i32 s0, 25
	s_cbranch_scc0 .LBB16_305
; %bb.289:
	s_cmp_gt_i32 s0, 28
	s_cbranch_scc0 .LBB16_307
; %bb.290:
	s_cmp_gt_i32 s0, 43
	s_cbranch_scc0 .LBB16_309
; %bb.291:
	s_cmp_gt_i32 s0, 45
	s_cbranch_scc0 .LBB16_313
; %bb.292:
	s_cmp_eq_u32 s0, 46
	s_mov_b32 s27, 0
	s_cbranch_scc0 .LBB16_317
; %bb.293:
	global_load_dword v3, v[1:2], off
	s_mov_b32 s26, -1
	s_mov_b32 s1, 0
	s_waitcnt vmcnt(0)
	v_lshlrev_b32_e32 v3, 16, v3
	s_branch .LBB16_319
.LBB16_294:
	s_mov_b32 s26, 0
	s_mov_b32 s1, s41
                                        ; implicit-def: $vgpr3
	s_cbranch_execnz .LBB16_496
.LBB16_295:
	s_andn2_b32 vcc_lo, exec_lo, s26
	s_cbranch_vccnz .LBB16_544
.LBB16_296:
	s_mov_b32 s0, exec_lo
	s_waitcnt vmcnt(0)
	v_cmpx_nlg_f32_e64 0x7f800000, |v3|
	s_cbranch_execz .LBB16_298
; %bb.297:
	v_mov_b32_e32 v1, 0
	v_mov_b32_e32 v2, 1.0
	global_store_dword v1, v2, s[12:13]
.LBB16_298:
	s_or_b32 exec_lo, exec_lo, s0
	v_mov_b32_e32 v1, 0
	v_add_co_u32 v0, s0, s8, v0
	s_and_b32 s26, s34, 0xff
	s_cmp_lt_i32 s26, 11
	global_load_dword v2, v1, s[14:15]
	v_add_co_ci_u32_e64 v1, null, s9, 0, s0
	s_waitcnt vmcnt(0)
	v_mul_f32_e32 v4, v3, v2
	v_cmp_eq_f32_e32 vcc_lo, 1.0, v2
	v_cndmask_b32_e32 v2, v4, v3, vcc_lo
	s_cbranch_scc1 .LBB16_306
; %bb.299:
	s_and_b32 s27, 0xffff, s26
	s_cmp_gt_i32 s27, 25
	s_cbranch_scc0 .LBB16_308
; %bb.300:
	s_cmp_gt_i32 s27, 28
	s_cbranch_scc0 .LBB16_310
; %bb.301:
	;; [unrolled: 3-line block ×4, first 2 shown]
	s_mov_b32 s44, 0
	s_mov_b32 s0, -1
	s_cmp_eq_u32 s27, 46
	s_mov_b32 s43, 0
	s_cbranch_scc0 .LBB16_323
; %bb.304:
	v_bfe_u32 v3, v2, 16, 1
	v_cmp_o_f32_e32 vcc_lo, v2, v2
	v_mov_b32_e32 v4, 0x7fc0
	s_mov_b32 s43, -1
	s_mov_b32 s0, 0
	v_add3_u32 v3, v2, v3, 0x7fff
	v_cndmask_b32_sdwa v3, v4, v3, vcc_lo dst_sel:DWORD dst_unused:UNUSED_PAD src0_sel:DWORD src1_sel:WORD_1
	global_store_dword v[0:1], v3, off
	s_branch .LBB16_323
.LBB16_305:
	s_mov_b32 s27, -1
	s_mov_b32 s26, 0
	s_mov_b32 s1, s41
                                        ; implicit-def: $vgpr3
	s_branch .LBB16_460
.LBB16_306:
	s_mov_b32 s27, -1
	s_mov_b32 s43, 0
	s_mov_b32 s0, s40
	s_branch .LBB16_392
.LBB16_307:
	s_mov_b32 s27, -1
	s_mov_b32 s26, 0
	s_mov_b32 s1, s41
                                        ; implicit-def: $vgpr3
	s_branch .LBB16_441
.LBB16_308:
	s_mov_b32 s44, -1
	s_mov_b32 s43, 0
	s_mov_b32 s0, s40
	s_branch .LBB16_350
.LBB16_309:
	s_mov_b32 s27, -1
	s_mov_b32 s26, 0
	s_mov_b32 s1, s41
                                        ; implicit-def: $vgpr3
	s_branch .LBB16_436
.LBB16_310:
	s_mov_b32 s44, -1
	s_mov_b32 s43, 0
	s_mov_b32 s0, s40
	s_branch .LBB16_333
.LBB16_311:
	s_andn2_saveexec_b32 s44, s44
	s_cbranch_execz .LBB16_70
.LBB16_312:
	v_add_f32_e64 v3, 0x46000000, |v2|
	s_andn2_b32 s41, s41, exec_lo
	v_and_b32_e32 v3, 0xff, v3
	v_cmp_ne_u32_e32 vcc_lo, 0, v3
	s_and_b32 s45, vcc_lo, exec_lo
	s_or_b32 s41, s41, s45
	s_or_b32 exec_lo, exec_lo, s44
	v_mov_b32_e32 v4, 0
	s_and_saveexec_b32 s44, s41
	s_cbranch_execnz .LBB16_71
	s_branch .LBB16_72
.LBB16_313:
	s_mov_b32 s27, -1
	s_mov_b32 s26, 0
	s_mov_b32 s1, s41
	s_branch .LBB16_318
.LBB16_314:
	s_mov_b32 s44, -1
	s_mov_b32 s43, 0
	s_mov_b32 s0, s40
	s_branch .LBB16_329
.LBB16_315:
	s_andn2_saveexec_b32 s44, s44
	s_cbranch_execz .LBB16_83
.LBB16_316:
	v_add_f32_e64 v3, 0x42800000, |v2|
	s_andn2_b32 s41, s41, exec_lo
	v_and_b32_e32 v3, 0xff, v3
	v_cmp_ne_u32_e32 vcc_lo, 0, v3
	s_and_b32 s45, vcc_lo, exec_lo
	s_or_b32 s41, s41, s45
	s_or_b32 exec_lo, exec_lo, s44
	v_mov_b32_e32 v4, 0
	s_and_saveexec_b32 s44, s41
	s_cbranch_execnz .LBB16_84
	s_branch .LBB16_85
.LBB16_317:
	s_mov_b32 s1, -1
	s_mov_b32 s26, 0
.LBB16_318:
                                        ; implicit-def: $vgpr3
.LBB16_319:
	s_and_b32 vcc_lo, exec_lo, s27
	s_cbranch_vccz .LBB16_435
; %bb.320:
	s_cmp_eq_u32 s0, 44
	s_cbranch_scc0 .LBB16_434
; %bb.321:
	global_load_ubyte v3, v[1:2], off
	s_mov_b32 s1, 0
	s_mov_b32 s26, -1
	s_waitcnt vmcnt(0)
	v_lshlrev_b32_e32 v4, 23, v3
	v_cmp_ne_u32_e32 vcc_lo, 0xff, v3
	v_cndmask_b32_e32 v4, 0x7f800001, v4, vcc_lo
	v_cmp_ne_u32_e32 vcc_lo, 0, v3
	v_cndmask_b32_e32 v3, 0x400000, v4, vcc_lo
	s_branch .LBB16_435
.LBB16_322:
	s_mov_b32 s44, -1
	s_mov_b32 s43, 0
	s_mov_b32 s0, s40
.LBB16_323:
	s_and_b32 vcc_lo, exec_lo, s44
	s_cbranch_vccz .LBB16_328
; %bb.324:
	s_cmp_eq_u32 s27, 44
	s_mov_b32 s0, -1
	s_cbranch_scc0 .LBB16_328
; %bb.325:
	v_bfe_u32 v4, v2, 23, 8
	v_mov_b32_e32 v3, 0xff
	s_mov_b32 s43, exec_lo
	v_cmpx_ne_u32_e32 0xff, v4
	s_cbranch_execz .LBB16_327
; %bb.326:
	v_and_b32_e32 v3, 0x400000, v2
	v_and_or_b32 v4, 0x3fffff, v2, v4
	v_cmp_ne_u32_e32 vcc_lo, 0, v3
	v_cmp_ne_u32_e64 s0, 0, v4
	v_lshrrev_b32_e32 v3, 23, v2
	s_and_b32 s0, vcc_lo, s0
	v_cndmask_b32_e64 v4, 0, 1, s0
	v_add_nc_u32_e32 v3, v3, v4
.LBB16_327:
	s_or_b32 exec_lo, exec_lo, s43
	s_mov_b32 s43, -1
	s_mov_b32 s0, 0
	global_store_byte v[0:1], v3, off
.LBB16_328:
	s_mov_b32 s44, 0
.LBB16_329:
	s_and_b32 vcc_lo, exec_lo, s44
	s_cbranch_vccz .LBB16_332
; %bb.330:
	s_cmp_eq_u32 s27, 29
	s_mov_b32 s0, -1
	s_cbranch_scc0 .LBB16_332
; %bb.331:
	v_trunc_f32_e32 v3, v2
	s_mov_b32 s43, -1
	s_mov_b32 s0, 0
	s_mov_b32 s44, 0
	v_mul_f32_e32 v4, 0x2f800000, v3
	v_floor_f32_e32 v4, v4
	v_fmamk_f32 v3, v4, 0xcf800000, v3
	v_cvt_u32_f32_e32 v4, v4
	v_cvt_u32_f32_e32 v3, v3
	global_store_dwordx2 v[0:1], v[3:4], off
	s_branch .LBB16_333
.LBB16_332:
	s_mov_b32 s44, 0
.LBB16_333:
	s_and_b32 vcc_lo, exec_lo, s44
	s_cbranch_vccz .LBB16_349
; %bb.334:
	s_cmp_lt_i32 s27, 27
	s_mov_b32 s43, -1
	s_cbranch_scc1 .LBB16_340
; %bb.335:
	v_cvt_u32_f32_e32 v3, v2
	s_cmp_gt_i32 s27, 27
	s_cbranch_scc0 .LBB16_337
; %bb.336:
	s_mov_b32 s43, 0
	global_store_dword v[0:1], v3, off
.LBB16_337:
	s_andn2_b32 vcc_lo, exec_lo, s43
	s_cbranch_vccnz .LBB16_339
; %bb.338:
	global_store_short v[0:1], v3, off
.LBB16_339:
	s_mov_b32 s43, 0
.LBB16_340:
	s_andn2_b32 vcc_lo, exec_lo, s43
	s_cbranch_vccnz .LBB16_348
; %bb.341:
	v_and_b32_e32 v3, 0x7fffffff, v2
	v_mov_b32_e32 v4, 0x80
	s_mov_b32 s43, exec_lo
	v_cmpx_gt_u32_e32 0x43800000, v3
	s_cbranch_execz .LBB16_347
; %bb.342:
	v_cmp_lt_u32_e32 vcc_lo, 0x3bffffff, v3
	s_mov_b32 s44, 0
                                        ; implicit-def: $vgpr3
	s_and_saveexec_b32 s46, vcc_lo
	s_xor_b32 s46, exec_lo, s46
	s_cbranch_execz .LBB16_575
; %bb.343:
	v_bfe_u32 v3, v2, 20, 1
	s_mov_b32 s44, exec_lo
	v_add3_u32 v3, v2, v3, 0x487ffff
	v_lshrrev_b32_e32 v3, 20, v3
	s_andn2_saveexec_b32 s46, s46
	s_cbranch_execnz .LBB16_576
.LBB16_344:
	s_or_b32 exec_lo, exec_lo, s46
	v_mov_b32_e32 v4, 0
	s_and_saveexec_b32 s46, s44
.LBB16_345:
	v_lshrrev_b32_e32 v4, 24, v2
	v_and_or_b32 v4, 0x80, v4, v3
.LBB16_346:
	s_or_b32 exec_lo, exec_lo, s46
.LBB16_347:
	s_or_b32 exec_lo, exec_lo, s43
	global_store_byte v[0:1], v4, off
.LBB16_348:
	s_mov_b32 s43, -1
.LBB16_349:
	s_mov_b32 s44, 0
.LBB16_350:
	s_and_b32 vcc_lo, exec_lo, s44
	s_cbranch_vccz .LBB16_391
; %bb.351:
	s_cmp_gt_i32 s27, 22
	s_mov_b32 s44, -1
	s_cbranch_scc0 .LBB16_383
; %bb.352:
	s_cmp_lt_i32 s27, 24
	s_mov_b32 s43, -1
	s_cbranch_scc1 .LBB16_372
; %bb.353:
	s_cmp_gt_i32 s27, 24
	s_cbranch_scc0 .LBB16_361
; %bb.354:
	v_and_b32_e32 v3, 0x7fffffff, v2
	v_mov_b32_e32 v4, 0x80
	s_mov_b32 s43, exec_lo
	v_cmpx_gt_u32_e32 0x47800000, v3
	s_cbranch_execz .LBB16_360
; %bb.355:
	v_cmp_lt_u32_e32 vcc_lo, 0x37ffffff, v3
	s_mov_b32 s44, 0
                                        ; implicit-def: $vgpr3
	s_and_saveexec_b32 s46, vcc_lo
	s_xor_b32 s46, exec_lo, s46
	s_cbranch_execz .LBB16_578
; %bb.356:
	v_bfe_u32 v3, v2, 21, 1
	s_mov_b32 s44, exec_lo
	v_add3_u32 v3, v2, v3, 0x88fffff
	v_lshrrev_b32_e32 v3, 21, v3
	s_andn2_saveexec_b32 s46, s46
	s_cbranch_execnz .LBB16_579
.LBB16_357:
	s_or_b32 exec_lo, exec_lo, s46
	v_mov_b32_e32 v4, 0
	s_and_saveexec_b32 s46, s44
.LBB16_358:
	v_lshrrev_b32_e32 v4, 24, v2
	v_and_or_b32 v4, 0x80, v4, v3
.LBB16_359:
	s_or_b32 exec_lo, exec_lo, s46
.LBB16_360:
	s_or_b32 exec_lo, exec_lo, s43
	s_mov_b32 s43, 0
	global_store_byte v[0:1], v4, off
.LBB16_361:
	s_and_b32 vcc_lo, exec_lo, s43
	s_cbranch_vccz .LBB16_371
; %bb.362:
	v_and_b32_e32 v4, 0x7fffffff, v2
	s_mov_b32 s43, exec_lo
                                        ; implicit-def: $vgpr3
	v_cmpx_gt_u32_e32 0x43f00000, v4
	s_xor_b32 s43, exec_lo, s43
	s_cbranch_execz .LBB16_368
; %bb.363:
	s_mov_b32 s44, exec_lo
                                        ; implicit-def: $vgpr3
	v_cmpx_lt_u32_e32 0x3c7fffff, v4
	s_xor_b32 s44, exec_lo, s44
; %bb.364:
	v_bfe_u32 v3, v2, 20, 1
	v_add3_u32 v3, v2, v3, 0x407ffff
	v_and_b32_e32 v4, 0xff00000, v3
	v_lshrrev_b32_e32 v3, 20, v3
	v_cmp_ne_u32_e32 vcc_lo, 0x7f00000, v4
	v_cndmask_b32_e32 v3, 0x7e, v3, vcc_lo
; %bb.365:
	s_andn2_saveexec_b32 s44, s44
; %bb.366:
	v_add_f32_e64 v3, 0x46800000, |v2|
; %bb.367:
	s_or_b32 exec_lo, exec_lo, s44
                                        ; implicit-def: $vgpr4
.LBB16_368:
	s_andn2_saveexec_b32 s43, s43
; %bb.369:
	v_mov_b32_e32 v3, 0x7f
	v_cmp_lt_u32_e32 vcc_lo, 0x7f800000, v4
	v_cndmask_b32_e32 v3, 0x7e, v3, vcc_lo
; %bb.370:
	s_or_b32 exec_lo, exec_lo, s43
	v_lshrrev_b32_e32 v4, 24, v2
	v_and_or_b32 v3, 0x80, v4, v3
	global_store_byte v[0:1], v3, off
.LBB16_371:
	s_mov_b32 s43, 0
.LBB16_372:
	s_andn2_b32 vcc_lo, exec_lo, s43
	s_cbranch_vccnz .LBB16_382
; %bb.373:
	v_and_b32_e32 v4, 0x7fffffff, v2
	s_mov_b32 s43, exec_lo
                                        ; implicit-def: $vgpr3
	v_cmpx_gt_u32_e32 0x47800000, v4
	s_xor_b32 s43, exec_lo, s43
	s_cbranch_execz .LBB16_379
; %bb.374:
	s_mov_b32 s44, exec_lo
                                        ; implicit-def: $vgpr3
	v_cmpx_lt_u32_e32 0x387fffff, v4
	s_xor_b32 s44, exec_lo, s44
; %bb.375:
	v_bfe_u32 v3, v2, 21, 1
	v_add3_u32 v3, v2, v3, 0x80fffff
	v_lshrrev_b32_e32 v3, 21, v3
; %bb.376:
	s_andn2_saveexec_b32 s44, s44
; %bb.377:
	v_add_f32_e64 v3, 0x43000000, |v2|
; %bb.378:
	s_or_b32 exec_lo, exec_lo, s44
                                        ; implicit-def: $vgpr4
.LBB16_379:
	s_andn2_saveexec_b32 s43, s43
; %bb.380:
	v_mov_b32_e32 v3, 0x7f
	v_cmp_lt_u32_e32 vcc_lo, 0x7f800000, v4
	v_cndmask_b32_e32 v3, 0x7c, v3, vcc_lo
; %bb.381:
	s_or_b32 exec_lo, exec_lo, s43
	v_lshrrev_b32_e32 v4, 24, v2
	v_and_or_b32 v3, 0x80, v4, v3
	global_store_byte v[0:1], v3, off
.LBB16_382:
	s_mov_b32 s44, 0
	s_mov_b32 s43, -1
.LBB16_383:
	s_andn2_b32 vcc_lo, exec_lo, s44
	s_cbranch_vccnz .LBB16_391
; %bb.384:
	s_cmp_gt_i32 s27, 14
	s_mov_b32 s44, -1
	s_cbranch_scc0 .LBB16_388
; %bb.385:
	s_cmp_eq_u32 s27, 15
	s_mov_b32 s0, -1
	s_cbranch_scc0 .LBB16_387
; %bb.386:
	v_bfe_u32 v3, v2, 16, 1
	v_cmp_o_f32_e32 vcc_lo, v2, v2
	v_mov_b32_e32 v4, 0x7fc0
	s_mov_b32 s43, -1
	s_mov_b32 s0, 0
	v_add3_u32 v3, v2, v3, 0x7fff
	v_cndmask_b32_sdwa v3, v4, v3, vcc_lo dst_sel:DWORD dst_unused:UNUSED_PAD src0_sel:DWORD src1_sel:WORD_1
	global_store_short v[0:1], v3, off
.LBB16_387:
	s_mov_b32 s44, 0
.LBB16_388:
	s_and_b32 vcc_lo, exec_lo, s44
	s_cbranch_vccz .LBB16_391
; %bb.389:
	s_cmp_eq_u32 s27, 11
	s_mov_b32 s0, -1
	s_cbranch_scc0 .LBB16_391
; %bb.390:
	v_cmp_neq_f32_e32 vcc_lo, 0, v2
	s_mov_b32 s0, 0
	s_mov_b32 s43, -1
	v_cndmask_b32_e64 v3, 0, 1, vcc_lo
	global_store_byte v[0:1], v3, off
.LBB16_391:
	s_mov_b32 s27, 0
.LBB16_392:
	s_and_b32 vcc_lo, exec_lo, s27
	s_cbranch_vccz .LBB16_431
; %bb.393:
	s_and_b32 s26, 0xffff, s26
	s_mov_b32 s27, -1
	s_cmp_lt_i32 s26, 5
	s_cbranch_scc1 .LBB16_414
; %bb.394:
	s_cmp_lt_i32 s26, 8
	s_cbranch_scc1 .LBB16_404
; %bb.395:
	;; [unrolled: 3-line block ×3, first 2 shown]
	s_cmp_gt_i32 s26, 9
	s_cbranch_scc0 .LBB16_398
; %bb.397:
	v_cvt_f64_f32_e32 v[3:4], v2
	v_mov_b32_e32 v5, 0
	s_mov_b32 s27, 0
	v_mov_b32_e32 v6, v5
	global_store_dwordx4 v[0:1], v[3:6], off
.LBB16_398:
	s_andn2_b32 vcc_lo, exec_lo, s27
	s_cbranch_vccnz .LBB16_400
; %bb.399:
	v_mov_b32_e32 v3, 0
	global_store_dwordx2 v[0:1], v[2:3], off
.LBB16_400:
	s_mov_b32 s27, 0
.LBB16_401:
	s_andn2_b32 vcc_lo, exec_lo, s27
	s_cbranch_vccnz .LBB16_403
; %bb.402:
	v_cvt_f16_f32_e32 v3, v2
	v_and_b32_e32 v3, 0xffff, v3
	global_store_dword v[0:1], v3, off
.LBB16_403:
	s_mov_b32 s27, 0
.LBB16_404:
	s_andn2_b32 vcc_lo, exec_lo, s27
	s_cbranch_vccnz .LBB16_413
; %bb.405:
	s_cmp_lt_i32 s26, 6
	s_mov_b32 s27, -1
	s_cbranch_scc1 .LBB16_411
; %bb.406:
	s_cmp_gt_i32 s26, 6
	s_cbranch_scc0 .LBB16_408
; %bb.407:
	v_cvt_f64_f32_e32 v[3:4], v2
	s_mov_b32 s27, 0
	global_store_dwordx2 v[0:1], v[3:4], off
.LBB16_408:
	s_andn2_b32 vcc_lo, exec_lo, s27
	s_cbranch_vccnz .LBB16_410
; %bb.409:
	global_store_dword v[0:1], v2, off
.LBB16_410:
	s_mov_b32 s27, 0
.LBB16_411:
	s_andn2_b32 vcc_lo, exec_lo, s27
	s_cbranch_vccnz .LBB16_413
; %bb.412:
	v_cvt_f16_f32_e32 v3, v2
	global_store_short v[0:1], v3, off
.LBB16_413:
	s_mov_b32 s27, 0
.LBB16_414:
	s_andn2_b32 vcc_lo, exec_lo, s27
	s_cbranch_vccnz .LBB16_430
; %bb.415:
	s_cmp_lt_i32 s26, 2
	s_mov_b32 s27, -1
	s_cbranch_scc1 .LBB16_425
; %bb.416:
	s_cmp_lt_i32 s26, 3
	s_cbranch_scc1 .LBB16_422
; %bb.417:
	s_cmp_gt_i32 s26, 3
	s_cbranch_scc0 .LBB16_419
; %bb.418:
	v_trunc_f32_e32 v3, v2
	s_mov_b32 s27, 0
	v_mul_f32_e64 v4, 0x2f800000, |v3|
	v_ashrrev_i32_e32 v6, 31, v3
	v_floor_f32_e32 v4, v4
	v_fma_f32 v5, 0xcf800000, v4, |v3|
	v_cvt_u32_f32_e32 v4, v4
	v_cvt_u32_f32_e32 v3, v5
	v_xor_b32_e32 v4, v4, v6
	v_xor_b32_e32 v3, v3, v6
	v_sub_co_u32 v3, vcc_lo, v3, v6
	v_sub_co_ci_u32_e64 v4, null, v4, v6, vcc_lo
	global_store_dwordx2 v[0:1], v[3:4], off
.LBB16_419:
	s_andn2_b32 vcc_lo, exec_lo, s27
	s_cbranch_vccnz .LBB16_421
; %bb.420:
	v_cvt_i32_f32_e32 v3, v2
	global_store_dword v[0:1], v3, off
.LBB16_421:
	s_mov_b32 s27, 0
.LBB16_422:
	s_andn2_b32 vcc_lo, exec_lo, s27
	s_cbranch_vccnz .LBB16_424
; %bb.423:
	v_cvt_i32_f32_e32 v3, v2
	global_store_short v[0:1], v3, off
.LBB16_424:
	s_mov_b32 s27, 0
.LBB16_425:
	s_andn2_b32 vcc_lo, exec_lo, s27
	s_cbranch_vccnz .LBB16_430
; %bb.426:
	s_cmp_gt_i32 s26, 0
	s_mov_b32 s26, -1
	s_cbranch_scc0 .LBB16_428
; %bb.427:
	v_cvt_i32_f32_e32 v3, v2
	s_mov_b32 s26, 0
	global_store_byte v[0:1], v3, off
.LBB16_428:
	s_andn2_b32 vcc_lo, exec_lo, s26
	s_cbranch_vccnz .LBB16_430
; %bb.429:
	v_trunc_f32_e32 v2, v2
	v_mul_f32_e64 v3, 0x2f800000, |v2|
	v_floor_f32_e32 v3, v3
	v_fma_f32 v3, 0xcf800000, v3, |v2|
	v_ashrrev_i32_e32 v2, 31, v2
	v_cvt_u32_f32_e32 v3, v3
	v_xor_b32_e32 v3, v3, v2
	v_sub_nc_u32_e32 v2, v3, v2
	global_store_byte v[0:1], v2, off
.LBB16_430:
	s_mov_b32 s43, -1
.LBB16_431:
	s_andn2_b32 vcc_lo, exec_lo, s43
	s_cbranch_vccnz .LBB16_433
; %bb.432:
	v_add_nc_u32_e32 v8, 0x80, v8
	s_mov_b32 s26, -1
	s_branch .LBB16_546
.LBB16_433:
	s_mov_b32 s26, 0
	s_branch .LBB16_545
.LBB16_434:
	s_mov_b32 s1, -1
                                        ; implicit-def: $vgpr3
.LBB16_435:
	s_mov_b32 s27, 0
.LBB16_436:
	s_and_b32 vcc_lo, exec_lo, s27
	s_cbranch_vccz .LBB16_440
; %bb.437:
	s_cmp_eq_u32 s0, 29
	s_cbranch_scc0 .LBB16_439
; %bb.438:
	global_load_dwordx2 v[3:4], v[1:2], off
	s_mov_b32 s26, -1
	s_mov_b32 s1, 0
	s_mov_b32 s27, 0
	s_waitcnt vmcnt(0)
	v_ffbh_u32_e32 v5, v4
	v_min_u32_e32 v5, 32, v5
	v_lshlrev_b64 v[3:4], v5, v[3:4]
	v_min_u32_e32 v3, 1, v3
	v_or_b32_e32 v3, v4, v3
	v_sub_nc_u32_e32 v4, 32, v5
	v_cvt_f32_u32_e32 v3, v3
	v_ldexp_f32 v3, v3, v4
	s_branch .LBB16_441
.LBB16_439:
	s_mov_b32 s1, -1
                                        ; implicit-def: $vgpr3
.LBB16_440:
	s_mov_b32 s27, 0
.LBB16_441:
	s_and_b32 vcc_lo, exec_lo, s27
	s_cbranch_vccz .LBB16_459
; %bb.442:
	s_cmp_lt_i32 s0, 27
	s_cbranch_scc1 .LBB16_445
; %bb.443:
	s_cmp_gt_i32 s0, 27
	s_cbranch_scc0 .LBB16_446
; %bb.444:
	global_load_dword v3, v[1:2], off
	s_mov_b32 s26, 0
	s_waitcnt vmcnt(0)
	v_cvt_f32_u32_e32 v3, v3
	s_branch .LBB16_447
.LBB16_445:
	s_mov_b32 s26, -1
                                        ; implicit-def: $vgpr3
	s_branch .LBB16_450
.LBB16_446:
	s_mov_b32 s26, -1
                                        ; implicit-def: $vgpr3
.LBB16_447:
	s_andn2_b32 vcc_lo, exec_lo, s26
	s_cbranch_vccnz .LBB16_449
; %bb.448:
	global_load_ushort v3, v[1:2], off
	s_waitcnt vmcnt(0)
	v_cvt_f32_u32_e32 v3, v3
.LBB16_449:
	s_mov_b32 s26, 0
.LBB16_450:
	s_andn2_b32 vcc_lo, exec_lo, s26
	s_cbranch_vccnz .LBB16_458
; %bb.451:
	global_load_ubyte v4, v[1:2], off
	s_mov_b32 s26, 0
	s_mov_b32 s27, exec_lo
	s_waitcnt vmcnt(0)
	v_cmpx_lt_i16_e32 0x7f, v4
	s_xor_b32 s27, exec_lo, s27
	s_cbranch_execz .LBB16_472
; %bb.452:
	s_mov_b32 s26, -1
	s_mov_b32 s43, exec_lo
	v_cmpx_eq_u16_e32 0x80, v4
; %bb.453:
	s_xor_b32 s26, exec_lo, -1
; %bb.454:
	s_or_b32 exec_lo, exec_lo, s43
	s_and_b32 s26, s26, exec_lo
	s_or_saveexec_b32 s27, s27
	v_mov_b32_e32 v3, 0x7f800001
	s_xor_b32 exec_lo, exec_lo, s27
	s_cbranch_execnz .LBB16_473
.LBB16_455:
	s_or_b32 exec_lo, exec_lo, s27
	s_and_saveexec_b32 s27, s26
	s_cbranch_execz .LBB16_457
.LBB16_456:
	v_and_b32_e32 v3, 0xffff, v4
	v_lshlrev_b32_e32 v4, 24, v4
	v_and_b32_e32 v5, 7, v3
	v_bfe_u32 v9, v3, 3, 4
	v_and_b32_e32 v4, 0x80000000, v4
	v_ffbh_u32_e32 v6, v5
	v_cmp_eq_u32_e32 vcc_lo, 0, v9
	v_min_u32_e32 v6, 32, v6
	v_subrev_nc_u32_e32 v7, 28, v6
	v_sub_nc_u32_e32 v6, 29, v6
	v_lshlrev_b32_e32 v3, v7, v3
	v_cndmask_b32_e32 v6, v9, v6, vcc_lo
	v_and_b32_e32 v3, 7, v3
	v_cndmask_b32_e32 v3, v5, v3, vcc_lo
	v_lshl_add_u32 v5, v6, 23, 0x3b800000
	v_lshlrev_b32_e32 v3, 20, v3
	v_or3_b32 v3, v4, v5, v3
.LBB16_457:
	s_or_b32 exec_lo, exec_lo, s27
.LBB16_458:
	s_mov_b32 s26, -1
.LBB16_459:
	s_mov_b32 s27, 0
.LBB16_460:
	s_and_b32 vcc_lo, exec_lo, s27
	s_cbranch_vccz .LBB16_495
; %bb.461:
	s_cmp_gt_i32 s0, 22
	s_cbranch_scc0 .LBB16_471
; %bb.462:
	s_cmp_lt_i32 s0, 24
	s_cbranch_scc1 .LBB16_474
; %bb.463:
	s_cmp_gt_i32 s0, 24
	s_cbranch_scc0 .LBB16_475
; %bb.464:
	global_load_ubyte v4, v[1:2], off
	s_mov_b32 s26, 0
	s_mov_b32 s27, exec_lo
	s_waitcnt vmcnt(0)
	v_cmpx_lt_i16_e32 0x7f, v4
	s_xor_b32 s27, exec_lo, s27
	s_cbranch_execz .LBB16_487
; %bb.465:
	s_mov_b32 s26, -1
	s_mov_b32 s43, exec_lo
	v_cmpx_eq_u16_e32 0x80, v4
; %bb.466:
	s_xor_b32 s26, exec_lo, -1
; %bb.467:
	s_or_b32 exec_lo, exec_lo, s43
	s_and_b32 s26, s26, exec_lo
	s_or_saveexec_b32 s27, s27
	v_mov_b32_e32 v3, 0x7f800001
	s_xor_b32 exec_lo, exec_lo, s27
	s_cbranch_execnz .LBB16_488
.LBB16_468:
	s_or_b32 exec_lo, exec_lo, s27
	s_and_saveexec_b32 s27, s26
	s_cbranch_execz .LBB16_470
.LBB16_469:
	v_and_b32_e32 v3, 0xffff, v4
	v_lshlrev_b32_e32 v4, 24, v4
	v_and_b32_e32 v5, 3, v3
	v_bfe_u32 v9, v3, 2, 5
	v_and_b32_e32 v4, 0x80000000, v4
	v_ffbh_u32_e32 v6, v5
	v_cmp_eq_u32_e32 vcc_lo, 0, v9
	v_min_u32_e32 v6, 32, v6
	v_subrev_nc_u32_e32 v7, 29, v6
	v_sub_nc_u32_e32 v6, 30, v6
	v_lshlrev_b32_e32 v3, v7, v3
	v_cndmask_b32_e32 v6, v9, v6, vcc_lo
	v_and_b32_e32 v3, 3, v3
	v_cndmask_b32_e32 v3, v5, v3, vcc_lo
	v_lshl_add_u32 v5, v6, 23, 0x37800000
	v_lshlrev_b32_e32 v3, 21, v3
	v_or3_b32 v3, v4, v5, v3
.LBB16_470:
	s_or_b32 exec_lo, exec_lo, s27
	s_mov_b32 s26, 0
	s_branch .LBB16_476
.LBB16_471:
	s_mov_b32 s27, -1
                                        ; implicit-def: $vgpr3
	s_branch .LBB16_482
.LBB16_472:
	s_or_saveexec_b32 s27, s27
	v_mov_b32_e32 v3, 0x7f800001
	s_xor_b32 exec_lo, exec_lo, s27
	s_cbranch_execz .LBB16_455
.LBB16_473:
	v_cmp_ne_u16_e32 vcc_lo, 0, v4
	v_mov_b32_e32 v3, 0
	s_andn2_b32 s26, s26, exec_lo
	s_and_b32 s43, vcc_lo, exec_lo
	s_or_b32 s26, s26, s43
	s_or_b32 exec_lo, exec_lo, s27
	s_and_saveexec_b32 s27, s26
	s_cbranch_execnz .LBB16_456
	s_branch .LBB16_457
.LBB16_474:
	s_mov_b32 s26, -1
                                        ; implicit-def: $vgpr3
	s_branch .LBB16_479
.LBB16_475:
	s_mov_b32 s26, -1
                                        ; implicit-def: $vgpr3
.LBB16_476:
	s_and_b32 vcc_lo, exec_lo, s26
	s_cbranch_vccz .LBB16_478
; %bb.477:
	global_load_ubyte v3, v[1:2], off
	s_waitcnt vmcnt(0)
	v_lshlrev_b32_e32 v3, 24, v3
	v_and_b32_e32 v4, 0x7f000000, v3
	v_ffbh_u32_e32 v5, v4
	v_add_nc_u32_e32 v7, 0x1000000, v4
	v_cmp_ne_u32_e32 vcc_lo, 0, v4
	v_min_u32_e32 v5, 32, v5
	v_sub_nc_u32_e64 v5, v5, 4 clamp
	v_lshlrev_b32_e32 v6, v5, v4
	v_lshlrev_b32_e32 v5, 23, v5
	v_lshrrev_b32_e32 v6, 4, v6
	v_sub_nc_u32_e32 v5, v6, v5
	v_ashrrev_i32_e32 v6, 8, v7
	v_add_nc_u32_e32 v5, 0x3c000000, v5
	v_and_or_b32 v5, 0x7f800000, v6, v5
	v_cndmask_b32_e32 v4, 0, v5, vcc_lo
	v_and_or_b32 v3, 0x80000000, v3, v4
.LBB16_478:
	s_mov_b32 s26, 0
.LBB16_479:
	s_andn2_b32 vcc_lo, exec_lo, s26
	s_cbranch_vccnz .LBB16_481
; %bb.480:
	global_load_ubyte v3, v[1:2], off
	s_waitcnt vmcnt(0)
	v_lshlrev_b32_e32 v4, 25, v3
	v_lshlrev_b16 v3, 8, v3
	v_lshrrev_b32_e32 v5, 4, v4
	v_and_or_b32 v6, 0x7f00, v3, 0.5
	v_cmp_gt_u32_e32 vcc_lo, 0x8000000, v4
	v_bfe_i32 v3, v3, 0, 16
	v_or_b32_e32 v5, 0x70000000, v5
	v_add_f32_e32 v6, -0.5, v6
	v_mul_f32_e32 v5, 0x7800000, v5
	v_cndmask_b32_e32 v4, v5, v6, vcc_lo
	v_and_or_b32 v3, 0x80000000, v3, v4
.LBB16_481:
	s_mov_b32 s27, 0
	s_mov_b32 s26, -1
.LBB16_482:
	s_andn2_b32 vcc_lo, exec_lo, s27
	s_cbranch_vccnz .LBB16_495
; %bb.483:
	s_cmp_gt_i32 s0, 14
	s_cbranch_scc0 .LBB16_486
; %bb.484:
	s_cmp_eq_u32 s0, 15
	s_cbranch_scc0 .LBB16_489
; %bb.485:
	global_load_ushort v3, v[1:2], off
	s_mov_b32 s26, -1
	s_mov_b32 s1, 0
	s_waitcnt vmcnt(0)
	v_lshlrev_b32_e32 v3, 16, v3
	s_branch .LBB16_490
.LBB16_486:
	s_mov_b32 s27, -1
                                        ; implicit-def: $vgpr3
	s_branch .LBB16_491
.LBB16_487:
	s_or_saveexec_b32 s27, s27
	v_mov_b32_e32 v3, 0x7f800001
	s_xor_b32 exec_lo, exec_lo, s27
	s_cbranch_execz .LBB16_468
.LBB16_488:
	v_cmp_ne_u16_e32 vcc_lo, 0, v4
	v_mov_b32_e32 v3, 0
	s_andn2_b32 s26, s26, exec_lo
	s_and_b32 s43, vcc_lo, exec_lo
	s_or_b32 s26, s26, s43
	s_or_b32 exec_lo, exec_lo, s27
	s_and_saveexec_b32 s27, s26
	s_cbranch_execnz .LBB16_469
	s_branch .LBB16_470
.LBB16_489:
	s_mov_b32 s1, -1
                                        ; implicit-def: $vgpr3
.LBB16_490:
	s_mov_b32 s27, 0
.LBB16_491:
	s_and_b32 vcc_lo, exec_lo, s27
	s_cbranch_vccz .LBB16_495
; %bb.492:
	s_cmp_eq_u32 s0, 11
	s_cbranch_scc0 .LBB16_494
; %bb.493:
	global_load_ubyte v3, v[1:2], off
	s_mov_b32 s1, 0
	s_mov_b32 s26, -1
	s_waitcnt vmcnt(0)
	v_cmp_ne_u16_e32 vcc_lo, 0, v3
	v_cndmask_b32_e64 v3, 0, 1.0, vcc_lo
	s_branch .LBB16_495
.LBB16_494:
	s_mov_b32 s1, -1
                                        ; implicit-def: $vgpr3
.LBB16_495:
	s_branch .LBB16_295
.LBB16_496:
	s_cmp_lt_i32 s0, 5
	s_cbranch_scc1 .LBB16_501
; %bb.497:
	s_cmp_lt_i32 s0, 8
	s_cbranch_scc1 .LBB16_502
; %bb.498:
	;; [unrolled: 3-line block ×3, first 2 shown]
	s_cmp_gt_i32 s0, 9
	s_cbranch_scc0 .LBB16_504
; %bb.500:
	global_load_dwordx2 v[3:4], v[1:2], off
	s_mov_b32 s26, 0
	s_waitcnt vmcnt(0)
	v_cvt_f32_f64_e32 v3, v[3:4]
	s_branch .LBB16_505
.LBB16_501:
	s_mov_b32 s26, -1
                                        ; implicit-def: $vgpr3
	s_branch .LBB16_523
.LBB16_502:
	s_mov_b32 s26, -1
                                        ; implicit-def: $vgpr3
	s_branch .LBB16_511
.LBB16_503:
	s_mov_b32 s26, -1
                                        ; implicit-def: $vgpr3
	s_branch .LBB16_508
.LBB16_504:
	s_mov_b32 s26, -1
                                        ; implicit-def: $vgpr3
.LBB16_505:
	s_andn2_b32 vcc_lo, exec_lo, s26
	s_cbranch_vccnz .LBB16_507
; %bb.506:
	global_load_dword v3, v[1:2], off
.LBB16_507:
	s_mov_b32 s26, 0
.LBB16_508:
	s_andn2_b32 vcc_lo, exec_lo, s26
	s_cbranch_vccnz .LBB16_510
; %bb.509:
	global_load_dword v3, v[1:2], off
	s_waitcnt vmcnt(0)
	v_cvt_f32_f16_e32 v3, v3
.LBB16_510:
	s_mov_b32 s26, 0
.LBB16_511:
	s_andn2_b32 vcc_lo, exec_lo, s26
	s_cbranch_vccnz .LBB16_522
; %bb.512:
	s_cmp_lt_i32 s0, 6
	s_cbranch_scc1 .LBB16_515
; %bb.513:
	s_cmp_gt_i32 s0, 6
	s_cbranch_scc0 .LBB16_516
; %bb.514:
	global_load_dwordx2 v[3:4], v[1:2], off
	s_mov_b32 s26, 0
	s_waitcnt vmcnt(0)
	v_cvt_f32_f64_e32 v3, v[3:4]
	s_branch .LBB16_517
.LBB16_515:
	s_mov_b32 s26, -1
                                        ; implicit-def: $vgpr3
	s_branch .LBB16_520
.LBB16_516:
	s_mov_b32 s26, -1
                                        ; implicit-def: $vgpr3
.LBB16_517:
	s_andn2_b32 vcc_lo, exec_lo, s26
	s_cbranch_vccnz .LBB16_519
; %bb.518:
	global_load_dword v3, v[1:2], off
.LBB16_519:
	s_mov_b32 s26, 0
.LBB16_520:
	s_andn2_b32 vcc_lo, exec_lo, s26
	s_cbranch_vccnz .LBB16_522
; %bb.521:
	global_load_ushort v3, v[1:2], off
	s_waitcnt vmcnt(0)
	v_cvt_f32_f16_e32 v3, v3
.LBB16_522:
	s_mov_b32 s26, 0
.LBB16_523:
	s_andn2_b32 vcc_lo, exec_lo, s26
	s_cbranch_vccnz .LBB16_543
; %bb.524:
	s_cmp_lt_i32 s0, 2
	s_cbranch_scc1 .LBB16_528
; %bb.525:
	s_cmp_lt_i32 s0, 3
	s_cbranch_scc1 .LBB16_529
; %bb.526:
	s_cmp_gt_i32 s0, 3
	s_cbranch_scc0 .LBB16_530
; %bb.527:
	global_load_dwordx2 v[3:4], v[1:2], off
	s_mov_b32 s26, 0
	s_waitcnt vmcnt(0)
	v_xor_b32_e32 v5, v3, v4
	v_ffbh_i32_e32 v6, v4
	v_ashrrev_i32_e32 v5, 31, v5
	v_add_nc_u32_e32 v6, -1, v6
	v_add_nc_u32_e32 v5, 32, v5
	v_min_u32_e32 v5, v6, v5
	v_lshlrev_b64 v[3:4], v5, v[3:4]
	v_min_u32_e32 v3, 1, v3
	v_or_b32_e32 v3, v4, v3
	v_sub_nc_u32_e32 v4, 32, v5
	v_cvt_f32_i32_e32 v3, v3
	v_ldexp_f32 v3, v3, v4
	s_branch .LBB16_531
.LBB16_528:
	s_mov_b32 s26, -1
                                        ; implicit-def: $vgpr3
	s_branch .LBB16_537
.LBB16_529:
	s_mov_b32 s26, -1
                                        ; implicit-def: $vgpr3
	s_branch .LBB16_534
.LBB16_530:
	s_mov_b32 s26, -1
                                        ; implicit-def: $vgpr3
.LBB16_531:
	s_andn2_b32 vcc_lo, exec_lo, s26
	s_cbranch_vccnz .LBB16_533
; %bb.532:
	global_load_dword v3, v[1:2], off
	s_waitcnt vmcnt(0)
	v_cvt_f32_i32_e32 v3, v3
.LBB16_533:
	s_mov_b32 s26, 0
.LBB16_534:
	s_andn2_b32 vcc_lo, exec_lo, s26
	s_cbranch_vccnz .LBB16_536
; %bb.535:
	global_load_sshort v3, v[1:2], off
	s_waitcnt vmcnt(0)
	v_cvt_f32_i32_e32 v3, v3
.LBB16_536:
	s_mov_b32 s26, 0
.LBB16_537:
	s_andn2_b32 vcc_lo, exec_lo, s26
	s_cbranch_vccnz .LBB16_543
; %bb.538:
	s_cmp_gt_i32 s0, 0
	s_mov_b32 s0, 0
	s_cbranch_scc0 .LBB16_540
; %bb.539:
	global_load_sbyte v3, v[1:2], off
	s_waitcnt vmcnt(0)
	v_cvt_f32_i32_e32 v3, v3
	s_branch .LBB16_541
.LBB16_540:
	s_mov_b32 s0, -1
                                        ; implicit-def: $vgpr3
.LBB16_541:
	s_andn2_b32 vcc_lo, exec_lo, s0
	s_cbranch_vccnz .LBB16_543
; %bb.542:
	global_load_ubyte v1, v[1:2], off
	s_waitcnt vmcnt(0)
	v_cvt_f32_ubyte0_e32 v3, v1
.LBB16_543:
	s_branch .LBB16_296
.LBB16_544:
	s_mov_b32 s26, 0
	s_mov_b32 s0, s40
.LBB16_545:
                                        ; implicit-def: $vgpr8
.LBB16_546:
	s_andn2_b32 s27, s40, exec_lo
	s_and_b32 s0, s0, exec_lo
	s_andn2_b32 s43, s41, exec_lo
	s_and_b32 s1, s1, exec_lo
	s_or_b32 s44, s27, s0
	s_or_b32 s43, s43, s1
	s_orn2_b32 s0, s26, exec_lo
.LBB16_547:
	s_or_b32 exec_lo, exec_lo, s45
	s_mov_b32 s1, 0
	s_mov_b32 s27, 0
	;; [unrolled: 1-line block ×3, first 2 shown]
                                        ; implicit-def: $vgpr1_vgpr2
                                        ; implicit-def: $vgpr0
                                        ; implicit-def: $vgpr4
	s_and_saveexec_b32 s45, s0
	s_cbranch_execz .LBB16_926
; %bb.548:
	s_mov_b32 s48, -1
	s_mov_b32 s26, s43
	s_mov_b32 s27, s44
	s_mov_b32 s46, exec_lo
	v_cmpx_gt_i32_e64 s37, v8
	s_cbranch_execz .LBB16_825
; %bb.549:
	s_andn2_b32 vcc_lo, exec_lo, s31
	s_cbranch_vccnz .LBB16_554
; %bb.550:
	s_andn2_b32 vcc_lo, exec_lo, s39
	s_cbranch_vccnz .LBB16_555
; %bb.551:
	s_add_i32 s48, s38, 1
	s_cmp_eq_u32 s29, 2
	s_cbranch_scc1 .LBB16_556
; %bb.552:
	v_mov_b32_e32 v2, 0
	v_mov_b32_e32 v0, 0
	;; [unrolled: 1-line block ×3, first 2 shown]
	s_and_b32 s47, s48, 28
	s_mov_b32 s49, 0
	s_mov_b64 s[0:1], s[2:3]
	s_mov_b64 s[26:27], s[24:25]
.LBB16_553:                             ; =>This Inner Loop Header: Depth=1
	s_clause 0x1
	s_load_dwordx8 s[52:59], s[0:1], 0x4
	s_load_dwordx4 s[68:71], s[0:1], 0x24
	s_load_dwordx8 s[60:67], s[26:27], 0x0
	s_add_u32 s0, s0, 48
	s_addc_u32 s1, s1, 0
	s_add_i32 s49, s49, 4
	s_add_u32 s26, s26, 32
	s_addc_u32 s27, s27, 0
	s_cmp_eq_u32 s47, s49
	s_waitcnt vmcnt(0) lgkmcnt(0)
	v_mul_hi_u32 v3, s53, v1
	v_add_nc_u32_e32 v3, v1, v3
	v_lshrrev_b32_e32 v3, s54, v3
	v_mul_hi_u32 v4, s56, v3
	v_mul_lo_u32 v6, v3, s52
	v_add_nc_u32_e32 v4, v3, v4
	v_sub_nc_u32_e32 v1, v1, v6
	v_lshrrev_b32_e32 v4, s57, v4
	v_mul_lo_u32 v6, v1, s60
	v_mul_lo_u32 v9, v1, s61
	v_mul_hi_u32 v5, s59, v4
	v_add_nc_u32_e32 v5, v4, v5
	v_lshrrev_b32_e32 v5, s68, v5
	v_mul_hi_u32 v7, s70, v5
	v_mul_lo_u32 v10, v5, s58
	v_add_nc_u32_e32 v1, v5, v7
	v_mul_lo_u32 v7, v4, s55
	v_sub_nc_u32_e32 v4, v4, v10
	v_lshrrev_b32_e32 v1, s71, v1
	v_mul_lo_u32 v10, v4, s64
	v_mul_lo_u32 v4, v4, s65
	v_sub_nc_u32_e32 v3, v3, v7
	v_mul_lo_u32 v11, v1, s69
	v_mul_lo_u32 v7, v3, s62
	;; [unrolled: 1-line block ×3, first 2 shown]
	v_sub_nc_u32_e32 v5, v5, v11
	v_add3_u32 v0, v6, v0, v7
	v_mul_lo_u32 v11, v5, s66
	v_mul_lo_u32 v5, v5, s67
	v_add3_u32 v2, v9, v2, v3
	v_add3_u32 v0, v10, v0, v11
	;; [unrolled: 1-line block ×3, first 2 shown]
	s_cbranch_scc0 .LBB16_553
	s_branch .LBB16_557
.LBB16_554:
	s_mov_b32 s0, -1
                                        ; implicit-def: $vgpr0
                                        ; implicit-def: $vgpr2
	s_branch .LBB16_561
.LBB16_555:
	v_mov_b32_e32 v0, 0
	v_mov_b32_e32 v2, 0
	s_branch .LBB16_560
.LBB16_556:
	v_mov_b32_e32 v0, 0
	v_mov_b32_e32 v2, 0
	;; [unrolled: 1-line block ×3, first 2 shown]
	s_mov_b32 s47, 0
.LBB16_557:
	s_and_b32 s48, s48, 3
	s_cmp_eq_u32 s48, 0
	s_cbranch_scc1 .LBB16_560
; %bb.558:
	s_lshl_b32 s0, s47, 3
	s_mul_i32 s26, s47, 12
	s_add_u32 s0, s2, s0
	s_addc_u32 s1, s3, 0
	s_add_u32 s0, s0, 0xc4
	s_addc_u32 s1, s1, 0
	;; [unrolled: 2-line block ×3, first 2 shown]
	.p2align	6
.LBB16_559:                             ; =>This Inner Loop Header: Depth=1
	s_clause 0x1
	s_load_dwordx2 s[50:51], s[26:27], 0x4
	s_load_dword s47, s[26:27], 0xc
	s_load_dwordx2 s[52:53], s[0:1], 0x0
	s_add_u32 s26, s26, 12
	s_addc_u32 s27, s27, 0
	s_add_u32 s0, s0, 8
	s_addc_u32 s1, s1, 0
	s_add_i32 s48, s48, -1
	s_cmp_lg_u32 s48, 0
	s_waitcnt vmcnt(0) lgkmcnt(0)
	v_mul_hi_u32 v3, s51, v1
	v_add_nc_u32_e32 v3, v1, v3
	v_lshrrev_b32_e32 v4, s47, v3
	v_mul_lo_u32 v3, v4, s50
	v_sub_nc_u32_e32 v3, v1, v3
	v_mad_u64_u32 v[0:1], null, v3, s52, v[0:1]
	v_mad_u64_u32 v[2:3], null, v3, s53, v[2:3]
	v_mov_b32_e32 v1, v4
	s_cbranch_scc1 .LBB16_559
.LBB16_560:
	s_mov_b32 s0, 0
.LBB16_561:
	s_andn2_b32 vcc_lo, exec_lo, s0
	s_cbranch_vccnz .LBB16_564
; %bb.562:
	v_mul_hi_u32 v0, s21, v8
	s_andn2_b32 vcc_lo, exec_lo, s36
	v_add_nc_u32_e32 v0, v8, v0
	v_lshrrev_b32_e32 v1, s22, v0
	v_mul_lo_u32 v0, v1, s20
	v_sub_nc_u32_e32 v2, v8, v0
	v_mul_lo_u32 v0, v2, s16
	v_mul_lo_u32 v2, v2, s17
	s_cbranch_vccnz .LBB16_564
; %bb.563:
	s_waitcnt vmcnt(0)
	v_mul_hi_u32 v3, s6, v1
	v_add_nc_u32_e32 v3, v1, v3
	v_lshrrev_b32_e32 v3, s7, v3
	v_mul_lo_u32 v3, v3, s23
	v_sub_nc_u32_e32 v3, v1, v3
	v_mad_u64_u32 v[0:1], null, v3, s18, v[0:1]
	v_mad_u64_u32 v[2:3], null, v3, s19, v[2:3]
.LBB16_564:
	v_add_co_u32 v1, s0, s10, v2
	v_add_co_ci_u32_e64 v2, null, s11, 0, s0
	s_and_b32 s0, 0xffff, s35
	s_cmp_lt_i32 s0, 11
	s_cbranch_scc1 .LBB16_571
; %bb.565:
	s_cmp_gt_i32 s0, 25
	s_cbranch_scc0 .LBB16_572
; %bb.566:
	s_cmp_gt_i32 s0, 28
	s_cbranch_scc0 .LBB16_573
; %bb.567:
	s_cmp_gt_i32 s0, 43
	s_cbranch_scc0 .LBB16_574
; %bb.568:
	s_cmp_gt_i32 s0, 45
	s_cbranch_scc0 .LBB16_577
; %bb.569:
	s_cmp_eq_u32 s0, 46
	s_mov_b32 s27, 0
	s_cbranch_scc0 .LBB16_580
; %bb.570:
	global_load_dword v3, v[1:2], off
	s_mov_b32 s26, -1
	s_mov_b32 s1, 0
	s_waitcnt vmcnt(0)
	v_lshlrev_b32_e32 v3, 16, v3
	s_branch .LBB16_582
.LBB16_571:
	s_mov_b32 s27, -1
	s_mov_b32 s26, 0
	s_mov_b32 s1, s43
                                        ; implicit-def: $vgpr3
	s_branch .LBB16_647
.LBB16_572:
	s_mov_b32 s27, -1
	s_mov_b32 s26, 0
	s_mov_b32 s1, s43
                                        ; implicit-def: $vgpr3
	s_branch .LBB16_611
.LBB16_573:
	s_mov_b32 s27, -1
	s_mov_b32 s26, 0
	s_mov_b32 s1, s43
                                        ; implicit-def: $vgpr3
	s_branch .LBB16_592
.LBB16_574:
	s_mov_b32 s27, -1
	s_mov_b32 s26, 0
	s_mov_b32 s1, s43
                                        ; implicit-def: $vgpr3
	s_branch .LBB16_587
.LBB16_575:
	s_andn2_saveexec_b32 s46, s46
	s_cbranch_execz .LBB16_344
.LBB16_576:
	v_add_f32_e64 v3, 0x46000000, |v2|
	s_andn2_b32 s44, s44, exec_lo
	v_and_b32_e32 v3, 0xff, v3
	v_cmp_ne_u32_e32 vcc_lo, 0, v3
	s_and_b32 s47, vcc_lo, exec_lo
	s_or_b32 s44, s44, s47
	s_or_b32 exec_lo, exec_lo, s46
	v_mov_b32_e32 v4, 0
	s_and_saveexec_b32 s46, s44
	s_cbranch_execnz .LBB16_345
	s_branch .LBB16_346
.LBB16_577:
	s_mov_b32 s27, -1
	s_mov_b32 s26, 0
	s_mov_b32 s1, s43
	s_branch .LBB16_581
.LBB16_578:
	s_andn2_saveexec_b32 s46, s46
	s_cbranch_execz .LBB16_357
.LBB16_579:
	v_add_f32_e64 v3, 0x42800000, |v2|
	s_andn2_b32 s44, s44, exec_lo
	v_and_b32_e32 v3, 0xff, v3
	v_cmp_ne_u32_e32 vcc_lo, 0, v3
	s_and_b32 s47, vcc_lo, exec_lo
	s_or_b32 s44, s44, s47
	s_or_b32 exec_lo, exec_lo, s46
	v_mov_b32_e32 v4, 0
	s_and_saveexec_b32 s46, s44
	s_cbranch_execnz .LBB16_358
	s_branch .LBB16_359
.LBB16_580:
	s_mov_b32 s1, -1
	s_mov_b32 s26, 0
.LBB16_581:
                                        ; implicit-def: $vgpr3
.LBB16_582:
	s_and_b32 vcc_lo, exec_lo, s27
	s_cbranch_vccz .LBB16_586
; %bb.583:
	s_cmp_eq_u32 s0, 44
	s_cbranch_scc0 .LBB16_585
; %bb.584:
	global_load_ubyte v3, v[1:2], off
	s_mov_b32 s1, 0
	s_mov_b32 s26, -1
	s_waitcnt vmcnt(0)
	v_lshlrev_b32_e32 v4, 23, v3
	v_cmp_ne_u32_e32 vcc_lo, 0xff, v3
	v_cndmask_b32_e32 v4, 0x7f800001, v4, vcc_lo
	v_cmp_ne_u32_e32 vcc_lo, 0, v3
	v_cndmask_b32_e32 v3, 0x400000, v4, vcc_lo
	s_branch .LBB16_586
.LBB16_585:
	s_mov_b32 s1, -1
                                        ; implicit-def: $vgpr3
.LBB16_586:
	s_mov_b32 s27, 0
.LBB16_587:
	s_and_b32 vcc_lo, exec_lo, s27
	s_cbranch_vccz .LBB16_591
; %bb.588:
	s_cmp_eq_u32 s0, 29
	s_cbranch_scc0 .LBB16_590
; %bb.589:
	global_load_dwordx2 v[3:4], v[1:2], off
	s_mov_b32 s26, -1
	s_mov_b32 s1, 0
	s_mov_b32 s27, 0
	s_waitcnt vmcnt(0)
	v_ffbh_u32_e32 v5, v4
	v_min_u32_e32 v5, 32, v5
	v_lshlrev_b64 v[3:4], v5, v[3:4]
	v_min_u32_e32 v3, 1, v3
	v_or_b32_e32 v3, v4, v3
	v_sub_nc_u32_e32 v4, 32, v5
	v_cvt_f32_u32_e32 v3, v3
	v_ldexp_f32 v3, v3, v4
	s_branch .LBB16_592
.LBB16_590:
	s_mov_b32 s1, -1
                                        ; implicit-def: $vgpr3
.LBB16_591:
	s_mov_b32 s27, 0
.LBB16_592:
	s_and_b32 vcc_lo, exec_lo, s27
	s_cbranch_vccz .LBB16_610
; %bb.593:
	s_cmp_lt_i32 s0, 27
	s_cbranch_scc1 .LBB16_596
; %bb.594:
	s_cmp_gt_i32 s0, 27
	s_cbranch_scc0 .LBB16_597
; %bb.595:
	global_load_dword v3, v[1:2], off
	s_mov_b32 s26, 0
	s_waitcnt vmcnt(0)
	v_cvt_f32_u32_e32 v3, v3
	s_branch .LBB16_598
.LBB16_596:
	s_mov_b32 s26, -1
                                        ; implicit-def: $vgpr3
	s_branch .LBB16_601
.LBB16_597:
	s_mov_b32 s26, -1
                                        ; implicit-def: $vgpr3
.LBB16_598:
	s_andn2_b32 vcc_lo, exec_lo, s26
	s_cbranch_vccnz .LBB16_600
; %bb.599:
	global_load_ushort v3, v[1:2], off
	s_waitcnt vmcnt(0)
	v_cvt_f32_u32_e32 v3, v3
.LBB16_600:
	s_mov_b32 s26, 0
.LBB16_601:
	s_andn2_b32 vcc_lo, exec_lo, s26
	s_cbranch_vccnz .LBB16_609
; %bb.602:
	global_load_ubyte v4, v[1:2], off
	s_mov_b32 s26, 0
	s_mov_b32 s27, exec_lo
	s_waitcnt vmcnt(0)
	v_cmpx_lt_i16_e32 0x7f, v4
	s_xor_b32 s27, exec_lo, s27
	s_cbranch_execz .LBB16_623
; %bb.603:
	s_mov_b32 s26, -1
	s_mov_b32 s47, exec_lo
	v_cmpx_eq_u16_e32 0x80, v4
; %bb.604:
	s_xor_b32 s26, exec_lo, -1
; %bb.605:
	s_or_b32 exec_lo, exec_lo, s47
	s_and_b32 s26, s26, exec_lo
	s_or_saveexec_b32 s27, s27
	v_mov_b32_e32 v3, 0x7f800001
	s_xor_b32 exec_lo, exec_lo, s27
	s_cbranch_execnz .LBB16_624
.LBB16_606:
	s_or_b32 exec_lo, exec_lo, s27
	s_and_saveexec_b32 s27, s26
	s_cbranch_execz .LBB16_608
.LBB16_607:
	v_and_b32_e32 v3, 0xffff, v4
	v_lshlrev_b32_e32 v4, 24, v4
	v_and_b32_e32 v5, 7, v3
	v_bfe_u32 v9, v3, 3, 4
	v_and_b32_e32 v4, 0x80000000, v4
	v_ffbh_u32_e32 v6, v5
	v_cmp_eq_u32_e32 vcc_lo, 0, v9
	v_min_u32_e32 v6, 32, v6
	v_subrev_nc_u32_e32 v7, 28, v6
	v_sub_nc_u32_e32 v6, 29, v6
	v_lshlrev_b32_e32 v3, v7, v3
	v_cndmask_b32_e32 v6, v9, v6, vcc_lo
	v_and_b32_e32 v3, 7, v3
	v_cndmask_b32_e32 v3, v5, v3, vcc_lo
	v_lshl_add_u32 v5, v6, 23, 0x3b800000
	v_lshlrev_b32_e32 v3, 20, v3
	v_or3_b32 v3, v4, v5, v3
.LBB16_608:
	s_or_b32 exec_lo, exec_lo, s27
.LBB16_609:
	s_mov_b32 s26, -1
.LBB16_610:
	s_mov_b32 s27, 0
.LBB16_611:
	s_and_b32 vcc_lo, exec_lo, s27
	s_cbranch_vccz .LBB16_646
; %bb.612:
	s_cmp_gt_i32 s0, 22
	s_cbranch_scc0 .LBB16_622
; %bb.613:
	s_cmp_lt_i32 s0, 24
	s_cbranch_scc1 .LBB16_625
; %bb.614:
	s_cmp_gt_i32 s0, 24
	s_cbranch_scc0 .LBB16_626
; %bb.615:
	global_load_ubyte v4, v[1:2], off
	s_mov_b32 s26, 0
	s_mov_b32 s27, exec_lo
	s_waitcnt vmcnt(0)
	v_cmpx_lt_i16_e32 0x7f, v4
	s_xor_b32 s27, exec_lo, s27
	s_cbranch_execz .LBB16_638
; %bb.616:
	s_mov_b32 s26, -1
	s_mov_b32 s47, exec_lo
	v_cmpx_eq_u16_e32 0x80, v4
; %bb.617:
	s_xor_b32 s26, exec_lo, -1
; %bb.618:
	s_or_b32 exec_lo, exec_lo, s47
	s_and_b32 s26, s26, exec_lo
	s_or_saveexec_b32 s27, s27
	v_mov_b32_e32 v3, 0x7f800001
	s_xor_b32 exec_lo, exec_lo, s27
	s_cbranch_execnz .LBB16_639
.LBB16_619:
	s_or_b32 exec_lo, exec_lo, s27
	s_and_saveexec_b32 s27, s26
	s_cbranch_execz .LBB16_621
.LBB16_620:
	v_and_b32_e32 v3, 0xffff, v4
	v_lshlrev_b32_e32 v4, 24, v4
	v_and_b32_e32 v5, 3, v3
	v_bfe_u32 v9, v3, 2, 5
	v_and_b32_e32 v4, 0x80000000, v4
	v_ffbh_u32_e32 v6, v5
	v_cmp_eq_u32_e32 vcc_lo, 0, v9
	v_min_u32_e32 v6, 32, v6
	v_subrev_nc_u32_e32 v7, 29, v6
	v_sub_nc_u32_e32 v6, 30, v6
	v_lshlrev_b32_e32 v3, v7, v3
	v_cndmask_b32_e32 v6, v9, v6, vcc_lo
	v_and_b32_e32 v3, 3, v3
	v_cndmask_b32_e32 v3, v5, v3, vcc_lo
	v_lshl_add_u32 v5, v6, 23, 0x37800000
	v_lshlrev_b32_e32 v3, 21, v3
	v_or3_b32 v3, v4, v5, v3
.LBB16_621:
	s_or_b32 exec_lo, exec_lo, s27
	s_mov_b32 s26, 0
	s_branch .LBB16_627
.LBB16_622:
	s_mov_b32 s27, -1
                                        ; implicit-def: $vgpr3
	s_branch .LBB16_633
.LBB16_623:
	s_or_saveexec_b32 s27, s27
	v_mov_b32_e32 v3, 0x7f800001
	s_xor_b32 exec_lo, exec_lo, s27
	s_cbranch_execz .LBB16_606
.LBB16_624:
	v_cmp_ne_u16_e32 vcc_lo, 0, v4
	v_mov_b32_e32 v3, 0
	s_andn2_b32 s26, s26, exec_lo
	s_and_b32 s47, vcc_lo, exec_lo
	s_or_b32 s26, s26, s47
	s_or_b32 exec_lo, exec_lo, s27
	s_and_saveexec_b32 s27, s26
	s_cbranch_execnz .LBB16_607
	s_branch .LBB16_608
.LBB16_625:
	s_mov_b32 s26, -1
                                        ; implicit-def: $vgpr3
	s_branch .LBB16_630
.LBB16_626:
	s_mov_b32 s26, -1
                                        ; implicit-def: $vgpr3
.LBB16_627:
	s_and_b32 vcc_lo, exec_lo, s26
	s_cbranch_vccz .LBB16_629
; %bb.628:
	global_load_ubyte v3, v[1:2], off
	s_waitcnt vmcnt(0)
	v_lshlrev_b32_e32 v3, 24, v3
	v_and_b32_e32 v4, 0x7f000000, v3
	v_ffbh_u32_e32 v5, v4
	v_add_nc_u32_e32 v7, 0x1000000, v4
	v_cmp_ne_u32_e32 vcc_lo, 0, v4
	v_min_u32_e32 v5, 32, v5
	v_sub_nc_u32_e64 v5, v5, 4 clamp
	v_lshlrev_b32_e32 v6, v5, v4
	v_lshlrev_b32_e32 v5, 23, v5
	v_lshrrev_b32_e32 v6, 4, v6
	v_sub_nc_u32_e32 v5, v6, v5
	v_ashrrev_i32_e32 v6, 8, v7
	v_add_nc_u32_e32 v5, 0x3c000000, v5
	v_and_or_b32 v5, 0x7f800000, v6, v5
	v_cndmask_b32_e32 v4, 0, v5, vcc_lo
	v_and_or_b32 v3, 0x80000000, v3, v4
.LBB16_629:
	s_mov_b32 s26, 0
.LBB16_630:
	s_andn2_b32 vcc_lo, exec_lo, s26
	s_cbranch_vccnz .LBB16_632
; %bb.631:
	global_load_ubyte v3, v[1:2], off
	s_waitcnt vmcnt(0)
	v_lshlrev_b32_e32 v4, 25, v3
	v_lshlrev_b16 v3, 8, v3
	v_lshrrev_b32_e32 v5, 4, v4
	v_and_or_b32 v6, 0x7f00, v3, 0.5
	v_cmp_gt_u32_e32 vcc_lo, 0x8000000, v4
	v_bfe_i32 v3, v3, 0, 16
	v_or_b32_e32 v5, 0x70000000, v5
	v_add_f32_e32 v6, -0.5, v6
	v_mul_f32_e32 v5, 0x7800000, v5
	v_cndmask_b32_e32 v4, v5, v6, vcc_lo
	v_and_or_b32 v3, 0x80000000, v3, v4
.LBB16_632:
	s_mov_b32 s27, 0
	s_mov_b32 s26, -1
.LBB16_633:
	s_andn2_b32 vcc_lo, exec_lo, s27
	s_cbranch_vccnz .LBB16_646
; %bb.634:
	s_cmp_gt_i32 s0, 14
	s_cbranch_scc0 .LBB16_637
; %bb.635:
	s_cmp_eq_u32 s0, 15
	s_cbranch_scc0 .LBB16_640
; %bb.636:
	global_load_ushort v3, v[1:2], off
	s_mov_b32 s26, -1
	s_mov_b32 s1, 0
	s_waitcnt vmcnt(0)
	v_lshlrev_b32_e32 v3, 16, v3
	s_branch .LBB16_641
.LBB16_637:
	s_mov_b32 s27, -1
                                        ; implicit-def: $vgpr3
	s_branch .LBB16_642
.LBB16_638:
	s_or_saveexec_b32 s27, s27
	v_mov_b32_e32 v3, 0x7f800001
	s_xor_b32 exec_lo, exec_lo, s27
	s_cbranch_execz .LBB16_619
.LBB16_639:
	v_cmp_ne_u16_e32 vcc_lo, 0, v4
	v_mov_b32_e32 v3, 0
	s_andn2_b32 s26, s26, exec_lo
	s_and_b32 s47, vcc_lo, exec_lo
	s_or_b32 s26, s26, s47
	s_or_b32 exec_lo, exec_lo, s27
	s_and_saveexec_b32 s27, s26
	s_cbranch_execnz .LBB16_620
	s_branch .LBB16_621
.LBB16_640:
	s_mov_b32 s1, -1
                                        ; implicit-def: $vgpr3
.LBB16_641:
	s_mov_b32 s27, 0
.LBB16_642:
	s_and_b32 vcc_lo, exec_lo, s27
	s_cbranch_vccz .LBB16_646
; %bb.643:
	s_cmp_eq_u32 s0, 11
	s_cbranch_scc0 .LBB16_645
; %bb.644:
	global_load_ubyte v3, v[1:2], off
	s_mov_b32 s1, 0
	s_mov_b32 s26, -1
	s_waitcnt vmcnt(0)
	v_cmp_ne_u16_e32 vcc_lo, 0, v3
	v_cndmask_b32_e64 v3, 0, 1.0, vcc_lo
	s_branch .LBB16_646
.LBB16_645:
	s_mov_b32 s1, -1
                                        ; implicit-def: $vgpr3
.LBB16_646:
	s_mov_b32 s27, 0
.LBB16_647:
	s_and_b32 vcc_lo, exec_lo, s27
	s_cbranch_vccz .LBB16_696
; %bb.648:
	s_cmp_lt_i32 s0, 5
	s_cbranch_scc1 .LBB16_653
; %bb.649:
	s_cmp_lt_i32 s0, 8
	s_cbranch_scc1 .LBB16_654
	;; [unrolled: 3-line block ×3, first 2 shown]
; %bb.651:
	s_cmp_gt_i32 s0, 9
	s_cbranch_scc0 .LBB16_656
; %bb.652:
	global_load_dwordx2 v[3:4], v[1:2], off
	s_mov_b32 s26, 0
	s_waitcnt vmcnt(0)
	v_cvt_f32_f64_e32 v3, v[3:4]
	s_branch .LBB16_657
.LBB16_653:
	s_mov_b32 s26, -1
                                        ; implicit-def: $vgpr3
	s_branch .LBB16_675
.LBB16_654:
	s_mov_b32 s26, -1
                                        ; implicit-def: $vgpr3
	s_branch .LBB16_663
.LBB16_655:
	s_mov_b32 s26, -1
                                        ; implicit-def: $vgpr3
	s_branch .LBB16_660
.LBB16_656:
	s_mov_b32 s26, -1
                                        ; implicit-def: $vgpr3
.LBB16_657:
	s_andn2_b32 vcc_lo, exec_lo, s26
	s_cbranch_vccnz .LBB16_659
; %bb.658:
	global_load_dword v3, v[1:2], off
.LBB16_659:
	s_mov_b32 s26, 0
.LBB16_660:
	s_andn2_b32 vcc_lo, exec_lo, s26
	s_cbranch_vccnz .LBB16_662
; %bb.661:
	global_load_dword v3, v[1:2], off
	s_waitcnt vmcnt(0)
	v_cvt_f32_f16_e32 v3, v3
.LBB16_662:
	s_mov_b32 s26, 0
.LBB16_663:
	s_andn2_b32 vcc_lo, exec_lo, s26
	s_cbranch_vccnz .LBB16_674
; %bb.664:
	s_cmp_lt_i32 s0, 6
	s_cbranch_scc1 .LBB16_667
; %bb.665:
	s_cmp_gt_i32 s0, 6
	s_cbranch_scc0 .LBB16_668
; %bb.666:
	global_load_dwordx2 v[3:4], v[1:2], off
	s_mov_b32 s26, 0
	s_waitcnt vmcnt(0)
	v_cvt_f32_f64_e32 v3, v[3:4]
	s_branch .LBB16_669
.LBB16_667:
	s_mov_b32 s26, -1
                                        ; implicit-def: $vgpr3
	s_branch .LBB16_672
.LBB16_668:
	s_mov_b32 s26, -1
                                        ; implicit-def: $vgpr3
.LBB16_669:
	s_andn2_b32 vcc_lo, exec_lo, s26
	s_cbranch_vccnz .LBB16_671
; %bb.670:
	global_load_dword v3, v[1:2], off
.LBB16_671:
	s_mov_b32 s26, 0
.LBB16_672:
	s_andn2_b32 vcc_lo, exec_lo, s26
	s_cbranch_vccnz .LBB16_674
; %bb.673:
	global_load_ushort v3, v[1:2], off
	s_waitcnt vmcnt(0)
	v_cvt_f32_f16_e32 v3, v3
.LBB16_674:
	s_mov_b32 s26, 0
.LBB16_675:
	s_andn2_b32 vcc_lo, exec_lo, s26
	s_cbranch_vccnz .LBB16_695
; %bb.676:
	s_cmp_lt_i32 s0, 2
	s_cbranch_scc1 .LBB16_680
; %bb.677:
	s_cmp_lt_i32 s0, 3
	s_cbranch_scc1 .LBB16_681
; %bb.678:
	s_cmp_gt_i32 s0, 3
	s_cbranch_scc0 .LBB16_682
; %bb.679:
	global_load_dwordx2 v[3:4], v[1:2], off
	s_mov_b32 s26, 0
	s_waitcnt vmcnt(0)
	v_xor_b32_e32 v5, v3, v4
	v_ffbh_i32_e32 v6, v4
	v_ashrrev_i32_e32 v5, 31, v5
	v_add_nc_u32_e32 v6, -1, v6
	v_add_nc_u32_e32 v5, 32, v5
	v_min_u32_e32 v5, v6, v5
	v_lshlrev_b64 v[3:4], v5, v[3:4]
	v_min_u32_e32 v3, 1, v3
	v_or_b32_e32 v3, v4, v3
	v_sub_nc_u32_e32 v4, 32, v5
	v_cvt_f32_i32_e32 v3, v3
	v_ldexp_f32 v3, v3, v4
	s_branch .LBB16_683
.LBB16_680:
	s_mov_b32 s26, -1
                                        ; implicit-def: $vgpr3
	s_branch .LBB16_689
.LBB16_681:
	s_mov_b32 s26, -1
                                        ; implicit-def: $vgpr3
	s_branch .LBB16_686
.LBB16_682:
	s_mov_b32 s26, -1
                                        ; implicit-def: $vgpr3
.LBB16_683:
	s_andn2_b32 vcc_lo, exec_lo, s26
	s_cbranch_vccnz .LBB16_685
; %bb.684:
	global_load_dword v3, v[1:2], off
	s_waitcnt vmcnt(0)
	v_cvt_f32_i32_e32 v3, v3
.LBB16_685:
	s_mov_b32 s26, 0
.LBB16_686:
	s_andn2_b32 vcc_lo, exec_lo, s26
	s_cbranch_vccnz .LBB16_688
; %bb.687:
	global_load_sshort v3, v[1:2], off
	s_waitcnt vmcnt(0)
	v_cvt_f32_i32_e32 v3, v3
.LBB16_688:
	s_mov_b32 s26, 0
.LBB16_689:
	s_andn2_b32 vcc_lo, exec_lo, s26
	s_cbranch_vccnz .LBB16_695
; %bb.690:
	s_cmp_gt_i32 s0, 0
	s_mov_b32 s0, 0
	s_cbranch_scc0 .LBB16_692
; %bb.691:
	global_load_sbyte v3, v[1:2], off
	s_waitcnt vmcnt(0)
	v_cvt_f32_i32_e32 v3, v3
	s_branch .LBB16_693
.LBB16_692:
	s_mov_b32 s0, -1
                                        ; implicit-def: $vgpr3
.LBB16_693:
	s_andn2_b32 vcc_lo, exec_lo, s0
	s_cbranch_vccnz .LBB16_695
; %bb.694:
	global_load_ubyte v1, v[1:2], off
	s_waitcnt vmcnt(0)
	v_cvt_f32_ubyte0_e32 v3, v1
.LBB16_695:
	s_mov_b32 s26, -1
.LBB16_696:
	s_andn2_b32 vcc_lo, exec_lo, s26
	s_cbranch_vccnz .LBB16_706
; %bb.697:
	s_mov_b32 s0, exec_lo
	s_waitcnt vmcnt(0)
	v_cmpx_nlg_f32_e64 0x7f800000, |v3|
	s_cbranch_execz .LBB16_699
; %bb.698:
	v_mov_b32_e32 v1, 0
	v_mov_b32_e32 v2, 1.0
	global_store_dword v1, v2, s[12:13]
.LBB16_699:
	s_or_b32 exec_lo, exec_lo, s0
	v_mov_b32_e32 v1, 0
	v_add_co_u32 v0, s0, s8, v0
	s_and_b32 s26, s34, 0xff
	s_cmp_lt_i32 s26, 11
	global_load_dword v2, v1, s[14:15]
	v_add_co_ci_u32_e64 v1, null, s9, 0, s0
	s_waitcnt vmcnt(0)
	v_mul_f32_e32 v4, v3, v2
	v_cmp_eq_f32_e32 vcc_lo, 1.0, v2
	v_cndmask_b32_e32 v2, v4, v3, vcc_lo
	s_cbranch_scc1 .LBB16_707
; %bb.700:
	s_and_b32 s27, 0xffff, s26
	s_cmp_gt_i32 s27, 25
	s_cbranch_scc0 .LBB16_708
; %bb.701:
	s_cmp_gt_i32 s27, 28
	s_cbranch_scc0 .LBB16_709
; %bb.702:
	;; [unrolled: 3-line block ×4, first 2 shown]
	s_mov_b32 s48, 0
	s_mov_b32 s0, -1
	s_cmp_eq_u32 s27, 46
	s_mov_b32 s47, 0
	s_cbranch_scc0 .LBB16_712
; %bb.705:
	v_bfe_u32 v3, v2, 16, 1
	v_cmp_o_f32_e32 vcc_lo, v2, v2
	v_mov_b32_e32 v4, 0x7fc0
	s_mov_b32 s47, -1
	s_mov_b32 s0, 0
	v_add3_u32 v3, v2, v3, 0x7fff
	v_cndmask_b32_sdwa v3, v4, v3, vcc_lo dst_sel:DWORD dst_unused:UNUSED_PAD src0_sel:DWORD src1_sel:WORD_1
	global_store_dword v[0:1], v3, off
	s_branch .LBB16_712
.LBB16_706:
	s_mov_b32 s47, 0
	s_mov_b32 s0, s44
	s_branch .LBB16_823
.LBB16_707:
	s_mov_b32 s27, -1
	s_mov_b32 s47, 0
	s_mov_b32 s0, s44
	s_branch .LBB16_781
.LBB16_708:
	s_mov_b32 s48, -1
	s_mov_b32 s47, 0
	s_mov_b32 s0, s44
	s_branch .LBB16_739
.LBB16_709:
	s_mov_b32 s48, -1
	s_mov_b32 s47, 0
	s_mov_b32 s0, s44
	s_branch .LBB16_722
.LBB16_710:
	s_mov_b32 s48, -1
	s_mov_b32 s47, 0
	s_mov_b32 s0, s44
	s_branch .LBB16_718
.LBB16_711:
	s_mov_b32 s48, -1
	s_mov_b32 s47, 0
	s_mov_b32 s0, s44
.LBB16_712:
	s_and_b32 vcc_lo, exec_lo, s48
	s_cbranch_vccz .LBB16_717
; %bb.713:
	s_cmp_eq_u32 s27, 44
	s_mov_b32 s0, -1
	s_cbranch_scc0 .LBB16_717
; %bb.714:
	v_bfe_u32 v4, v2, 23, 8
	v_mov_b32_e32 v3, 0xff
	s_mov_b32 s47, exec_lo
	v_cmpx_ne_u32_e32 0xff, v4
	s_cbranch_execz .LBB16_716
; %bb.715:
	v_and_b32_e32 v3, 0x400000, v2
	v_and_or_b32 v4, 0x3fffff, v2, v4
	v_cmp_ne_u32_e32 vcc_lo, 0, v3
	v_cmp_ne_u32_e64 s0, 0, v4
	v_lshrrev_b32_e32 v3, 23, v2
	s_and_b32 s0, vcc_lo, s0
	v_cndmask_b32_e64 v4, 0, 1, s0
	v_add_nc_u32_e32 v3, v3, v4
.LBB16_716:
	s_or_b32 exec_lo, exec_lo, s47
	s_mov_b32 s47, -1
	s_mov_b32 s0, 0
	global_store_byte v[0:1], v3, off
.LBB16_717:
	s_mov_b32 s48, 0
.LBB16_718:
	s_and_b32 vcc_lo, exec_lo, s48
	s_cbranch_vccz .LBB16_721
; %bb.719:
	s_cmp_eq_u32 s27, 29
	s_mov_b32 s0, -1
	s_cbranch_scc0 .LBB16_721
; %bb.720:
	v_trunc_f32_e32 v3, v2
	s_mov_b32 s47, -1
	s_mov_b32 s0, 0
	s_mov_b32 s48, 0
	v_mul_f32_e32 v4, 0x2f800000, v3
	v_floor_f32_e32 v4, v4
	v_fmamk_f32 v3, v4, 0xcf800000, v3
	v_cvt_u32_f32_e32 v4, v4
	v_cvt_u32_f32_e32 v3, v3
	global_store_dwordx2 v[0:1], v[3:4], off
	s_branch .LBB16_722
.LBB16_721:
	s_mov_b32 s48, 0
.LBB16_722:
	s_and_b32 vcc_lo, exec_lo, s48
	s_cbranch_vccz .LBB16_738
; %bb.723:
	s_cmp_lt_i32 s27, 27
	s_mov_b32 s47, -1
	s_cbranch_scc1 .LBB16_729
; %bb.724:
	v_cvt_u32_f32_e32 v3, v2
	s_cmp_gt_i32 s27, 27
	s_cbranch_scc0 .LBB16_726
; %bb.725:
	s_mov_b32 s47, 0
	global_store_dword v[0:1], v3, off
.LBB16_726:
	s_andn2_b32 vcc_lo, exec_lo, s47
	s_cbranch_vccnz .LBB16_728
; %bb.727:
	global_store_short v[0:1], v3, off
.LBB16_728:
	s_mov_b32 s47, 0
.LBB16_729:
	s_andn2_b32 vcc_lo, exec_lo, s47
	s_cbranch_vccnz .LBB16_737
; %bb.730:
	v_and_b32_e32 v3, 0x7fffffff, v2
	v_mov_b32_e32 v4, 0x80
	s_mov_b32 s47, exec_lo
	v_cmpx_gt_u32_e32 0x43800000, v3
	s_cbranch_execz .LBB16_736
; %bb.731:
	v_cmp_lt_u32_e32 vcc_lo, 0x3bffffff, v3
	s_mov_b32 s48, 0
                                        ; implicit-def: $vgpr3
	s_and_saveexec_b32 s49, vcc_lo
	s_xor_b32 s49, exec_lo, s49
	s_cbranch_execz .LBB16_853
; %bb.732:
	v_bfe_u32 v3, v2, 20, 1
	s_mov_b32 s48, exec_lo
	v_add3_u32 v3, v2, v3, 0x487ffff
	v_lshrrev_b32_e32 v3, 20, v3
	s_andn2_saveexec_b32 s49, s49
	s_cbranch_execnz .LBB16_854
.LBB16_733:
	s_or_b32 exec_lo, exec_lo, s49
	v_mov_b32_e32 v4, 0
	s_and_saveexec_b32 s49, s48
.LBB16_734:
	v_lshrrev_b32_e32 v4, 24, v2
	v_and_or_b32 v4, 0x80, v4, v3
.LBB16_735:
	s_or_b32 exec_lo, exec_lo, s49
.LBB16_736:
	s_or_b32 exec_lo, exec_lo, s47
	global_store_byte v[0:1], v4, off
.LBB16_737:
	s_mov_b32 s47, -1
.LBB16_738:
	s_mov_b32 s48, 0
.LBB16_739:
	s_and_b32 vcc_lo, exec_lo, s48
	s_cbranch_vccz .LBB16_780
; %bb.740:
	s_cmp_gt_i32 s27, 22
	s_mov_b32 s48, -1
	s_cbranch_scc0 .LBB16_772
; %bb.741:
	s_cmp_lt_i32 s27, 24
	s_mov_b32 s47, -1
	s_cbranch_scc1 .LBB16_761
; %bb.742:
	s_cmp_gt_i32 s27, 24
	s_cbranch_scc0 .LBB16_750
; %bb.743:
	v_and_b32_e32 v3, 0x7fffffff, v2
	v_mov_b32_e32 v4, 0x80
	s_mov_b32 s47, exec_lo
	v_cmpx_gt_u32_e32 0x47800000, v3
	s_cbranch_execz .LBB16_749
; %bb.744:
	v_cmp_lt_u32_e32 vcc_lo, 0x37ffffff, v3
	s_mov_b32 s48, 0
                                        ; implicit-def: $vgpr3
	s_and_saveexec_b32 s49, vcc_lo
	s_xor_b32 s49, exec_lo, s49
	s_cbranch_execz .LBB16_856
; %bb.745:
	v_bfe_u32 v3, v2, 21, 1
	s_mov_b32 s48, exec_lo
	v_add3_u32 v3, v2, v3, 0x88fffff
	v_lshrrev_b32_e32 v3, 21, v3
	s_andn2_saveexec_b32 s49, s49
	s_cbranch_execnz .LBB16_857
.LBB16_746:
	s_or_b32 exec_lo, exec_lo, s49
	v_mov_b32_e32 v4, 0
	s_and_saveexec_b32 s49, s48
.LBB16_747:
	v_lshrrev_b32_e32 v4, 24, v2
	v_and_or_b32 v4, 0x80, v4, v3
.LBB16_748:
	s_or_b32 exec_lo, exec_lo, s49
.LBB16_749:
	s_or_b32 exec_lo, exec_lo, s47
	s_mov_b32 s47, 0
	global_store_byte v[0:1], v4, off
.LBB16_750:
	s_and_b32 vcc_lo, exec_lo, s47
	s_cbranch_vccz .LBB16_760
; %bb.751:
	v_and_b32_e32 v4, 0x7fffffff, v2
	s_mov_b32 s47, exec_lo
                                        ; implicit-def: $vgpr3
	v_cmpx_gt_u32_e32 0x43f00000, v4
	s_xor_b32 s47, exec_lo, s47
	s_cbranch_execz .LBB16_757
; %bb.752:
	s_mov_b32 s48, exec_lo
                                        ; implicit-def: $vgpr3
	v_cmpx_lt_u32_e32 0x3c7fffff, v4
	s_xor_b32 s48, exec_lo, s48
; %bb.753:
	v_bfe_u32 v3, v2, 20, 1
	v_add3_u32 v3, v2, v3, 0x407ffff
	v_and_b32_e32 v4, 0xff00000, v3
	v_lshrrev_b32_e32 v3, 20, v3
	v_cmp_ne_u32_e32 vcc_lo, 0x7f00000, v4
	v_cndmask_b32_e32 v3, 0x7e, v3, vcc_lo
; %bb.754:
	s_andn2_saveexec_b32 s48, s48
; %bb.755:
	v_add_f32_e64 v3, 0x46800000, |v2|
; %bb.756:
	s_or_b32 exec_lo, exec_lo, s48
                                        ; implicit-def: $vgpr4
.LBB16_757:
	s_andn2_saveexec_b32 s47, s47
; %bb.758:
	v_mov_b32_e32 v3, 0x7f
	v_cmp_lt_u32_e32 vcc_lo, 0x7f800000, v4
	v_cndmask_b32_e32 v3, 0x7e, v3, vcc_lo
; %bb.759:
	s_or_b32 exec_lo, exec_lo, s47
	v_lshrrev_b32_e32 v4, 24, v2
	v_and_or_b32 v3, 0x80, v4, v3
	global_store_byte v[0:1], v3, off
.LBB16_760:
	s_mov_b32 s47, 0
.LBB16_761:
	s_andn2_b32 vcc_lo, exec_lo, s47
	s_cbranch_vccnz .LBB16_771
; %bb.762:
	v_and_b32_e32 v4, 0x7fffffff, v2
	s_mov_b32 s47, exec_lo
                                        ; implicit-def: $vgpr3
	v_cmpx_gt_u32_e32 0x47800000, v4
	s_xor_b32 s47, exec_lo, s47
	s_cbranch_execz .LBB16_768
; %bb.763:
	s_mov_b32 s48, exec_lo
                                        ; implicit-def: $vgpr3
	v_cmpx_lt_u32_e32 0x387fffff, v4
	s_xor_b32 s48, exec_lo, s48
; %bb.764:
	v_bfe_u32 v3, v2, 21, 1
	v_add3_u32 v3, v2, v3, 0x80fffff
	v_lshrrev_b32_e32 v3, 21, v3
; %bb.765:
	s_andn2_saveexec_b32 s48, s48
; %bb.766:
	v_add_f32_e64 v3, 0x43000000, |v2|
; %bb.767:
	s_or_b32 exec_lo, exec_lo, s48
                                        ; implicit-def: $vgpr4
.LBB16_768:
	s_andn2_saveexec_b32 s47, s47
; %bb.769:
	v_mov_b32_e32 v3, 0x7f
	v_cmp_lt_u32_e32 vcc_lo, 0x7f800000, v4
	v_cndmask_b32_e32 v3, 0x7c, v3, vcc_lo
; %bb.770:
	s_or_b32 exec_lo, exec_lo, s47
	v_lshrrev_b32_e32 v4, 24, v2
	v_and_or_b32 v3, 0x80, v4, v3
	global_store_byte v[0:1], v3, off
.LBB16_771:
	s_mov_b32 s48, 0
	s_mov_b32 s47, -1
.LBB16_772:
	s_andn2_b32 vcc_lo, exec_lo, s48
	s_cbranch_vccnz .LBB16_780
; %bb.773:
	s_cmp_gt_i32 s27, 14
	s_mov_b32 s48, -1
	s_cbranch_scc0 .LBB16_777
; %bb.774:
	s_cmp_eq_u32 s27, 15
	s_mov_b32 s0, -1
	s_cbranch_scc0 .LBB16_776
; %bb.775:
	v_bfe_u32 v3, v2, 16, 1
	v_cmp_o_f32_e32 vcc_lo, v2, v2
	v_mov_b32_e32 v4, 0x7fc0
	s_mov_b32 s47, -1
	s_mov_b32 s0, 0
	v_add3_u32 v3, v2, v3, 0x7fff
	v_cndmask_b32_sdwa v3, v4, v3, vcc_lo dst_sel:DWORD dst_unused:UNUSED_PAD src0_sel:DWORD src1_sel:WORD_1
	global_store_short v[0:1], v3, off
.LBB16_776:
	s_mov_b32 s48, 0
.LBB16_777:
	s_and_b32 vcc_lo, exec_lo, s48
	s_cbranch_vccz .LBB16_780
; %bb.778:
	s_cmp_eq_u32 s27, 11
	s_mov_b32 s0, -1
	s_cbranch_scc0 .LBB16_780
; %bb.779:
	v_cmp_neq_f32_e32 vcc_lo, 0, v2
	s_mov_b32 s0, 0
	s_mov_b32 s47, -1
	v_cndmask_b32_e64 v3, 0, 1, vcc_lo
	global_store_byte v[0:1], v3, off
.LBB16_780:
	s_mov_b32 s27, 0
.LBB16_781:
	s_and_b32 vcc_lo, exec_lo, s27
	s_cbranch_vccz .LBB16_820
; %bb.782:
	s_and_b32 s26, 0xffff, s26
	s_mov_b32 s27, -1
	s_cmp_lt_i32 s26, 5
	s_cbranch_scc1 .LBB16_803
; %bb.783:
	s_cmp_lt_i32 s26, 8
	s_cbranch_scc1 .LBB16_793
; %bb.784:
	;; [unrolled: 3-line block ×3, first 2 shown]
	s_cmp_gt_i32 s26, 9
	s_cbranch_scc0 .LBB16_787
; %bb.786:
	v_cvt_f64_f32_e32 v[3:4], v2
	v_mov_b32_e32 v5, 0
	s_mov_b32 s27, 0
	v_mov_b32_e32 v6, v5
	global_store_dwordx4 v[0:1], v[3:6], off
.LBB16_787:
	s_andn2_b32 vcc_lo, exec_lo, s27
	s_cbranch_vccnz .LBB16_789
; %bb.788:
	v_mov_b32_e32 v3, 0
	global_store_dwordx2 v[0:1], v[2:3], off
.LBB16_789:
	s_mov_b32 s27, 0
.LBB16_790:
	s_andn2_b32 vcc_lo, exec_lo, s27
	s_cbranch_vccnz .LBB16_792
; %bb.791:
	v_cvt_f16_f32_e32 v3, v2
	v_and_b32_e32 v3, 0xffff, v3
	global_store_dword v[0:1], v3, off
.LBB16_792:
	s_mov_b32 s27, 0
.LBB16_793:
	s_andn2_b32 vcc_lo, exec_lo, s27
	s_cbranch_vccnz .LBB16_802
; %bb.794:
	s_cmp_lt_i32 s26, 6
	s_mov_b32 s27, -1
	s_cbranch_scc1 .LBB16_800
; %bb.795:
	s_cmp_gt_i32 s26, 6
	s_cbranch_scc0 .LBB16_797
; %bb.796:
	v_cvt_f64_f32_e32 v[3:4], v2
	s_mov_b32 s27, 0
	global_store_dwordx2 v[0:1], v[3:4], off
.LBB16_797:
	s_andn2_b32 vcc_lo, exec_lo, s27
	s_cbranch_vccnz .LBB16_799
; %bb.798:
	global_store_dword v[0:1], v2, off
.LBB16_799:
	s_mov_b32 s27, 0
.LBB16_800:
	s_andn2_b32 vcc_lo, exec_lo, s27
	s_cbranch_vccnz .LBB16_802
; %bb.801:
	v_cvt_f16_f32_e32 v3, v2
	global_store_short v[0:1], v3, off
.LBB16_802:
	s_mov_b32 s27, 0
.LBB16_803:
	s_andn2_b32 vcc_lo, exec_lo, s27
	s_cbranch_vccnz .LBB16_819
; %bb.804:
	s_cmp_lt_i32 s26, 2
	s_mov_b32 s27, -1
	s_cbranch_scc1 .LBB16_814
; %bb.805:
	s_cmp_lt_i32 s26, 3
	s_cbranch_scc1 .LBB16_811
; %bb.806:
	s_cmp_gt_i32 s26, 3
	s_cbranch_scc0 .LBB16_808
; %bb.807:
	v_trunc_f32_e32 v3, v2
	s_mov_b32 s27, 0
	v_mul_f32_e64 v4, 0x2f800000, |v3|
	v_ashrrev_i32_e32 v6, 31, v3
	v_floor_f32_e32 v4, v4
	v_fma_f32 v5, 0xcf800000, v4, |v3|
	v_cvt_u32_f32_e32 v4, v4
	v_cvt_u32_f32_e32 v3, v5
	v_xor_b32_e32 v4, v4, v6
	v_xor_b32_e32 v3, v3, v6
	v_sub_co_u32 v3, vcc_lo, v3, v6
	v_sub_co_ci_u32_e64 v4, null, v4, v6, vcc_lo
	global_store_dwordx2 v[0:1], v[3:4], off
.LBB16_808:
	s_andn2_b32 vcc_lo, exec_lo, s27
	s_cbranch_vccnz .LBB16_810
; %bb.809:
	v_cvt_i32_f32_e32 v3, v2
	global_store_dword v[0:1], v3, off
.LBB16_810:
	s_mov_b32 s27, 0
.LBB16_811:
	s_andn2_b32 vcc_lo, exec_lo, s27
	s_cbranch_vccnz .LBB16_813
; %bb.812:
	v_cvt_i32_f32_e32 v3, v2
	global_store_short v[0:1], v3, off
.LBB16_813:
	s_mov_b32 s27, 0
.LBB16_814:
	s_andn2_b32 vcc_lo, exec_lo, s27
	s_cbranch_vccnz .LBB16_819
; %bb.815:
	s_cmp_gt_i32 s26, 0
	s_mov_b32 s26, -1
	s_cbranch_scc0 .LBB16_817
; %bb.816:
	v_cvt_i32_f32_e32 v3, v2
	s_mov_b32 s26, 0
	global_store_byte v[0:1], v3, off
.LBB16_817:
	s_andn2_b32 vcc_lo, exec_lo, s26
	s_cbranch_vccnz .LBB16_819
; %bb.818:
	v_trunc_f32_e32 v2, v2
	v_mul_f32_e64 v3, 0x2f800000, |v2|
	v_floor_f32_e32 v3, v3
	v_fma_f32 v3, 0xcf800000, v3, |v2|
	v_ashrrev_i32_e32 v2, 31, v2
	v_cvt_u32_f32_e32 v3, v3
	v_xor_b32_e32 v3, v3, v2
	v_sub_nc_u32_e32 v2, v3, v2
	global_store_byte v[0:1], v2, off
.LBB16_819:
	s_mov_b32 s47, -1
.LBB16_820:
	s_andn2_b32 vcc_lo, exec_lo, s47
	s_cbranch_vccnz .LBB16_822
; %bb.821:
	v_add_nc_u32_e32 v8, 0x80, v8
	s_mov_b32 s47, -1
	s_branch .LBB16_824
.LBB16_822:
	s_mov_b32 s47, 0
.LBB16_823:
                                        ; implicit-def: $vgpr8
.LBB16_824:
	s_andn2_b32 s26, s44, exec_lo
	s_and_b32 s0, s0, exec_lo
	s_andn2_b32 s48, s43, exec_lo
	s_and_b32 s1, s1, exec_lo
	s_or_b32 s27, s26, s0
	s_or_b32 s26, s48, s1
	s_orn2_b32 s48, s47, exec_lo
.LBB16_825:
	s_or_b32 exec_lo, exec_lo, s46
	s_mov_b32 s0, 0
	s_mov_b32 s1, 0
	;; [unrolled: 1-line block ×3, first 2 shown]
                                        ; implicit-def: $vgpr1_vgpr2
                                        ; implicit-def: $vgpr0
                                        ; implicit-def: $vgpr4
	s_and_saveexec_b32 s46, s48
	s_cbranch_execz .LBB16_925
; %bb.826:
	v_cmp_gt_i32_e32 vcc_lo, s37, v8
	s_mov_b32 s49, s26
	s_mov_b32 s48, 0
                                        ; implicit-def: $vgpr1_vgpr2
                                        ; implicit-def: $vgpr0
                                        ; implicit-def: $vgpr4
	s_and_saveexec_b32 s37, vcc_lo
	s_cbranch_execz .LBB16_924
; %bb.827:
	s_andn2_b32 vcc_lo, exec_lo, s31
	s_cbranch_vccnz .LBB16_832
; %bb.828:
	s_andn2_b32 vcc_lo, exec_lo, s39
	s_cbranch_vccnz .LBB16_833
; %bb.829:
	s_add_i32 s38, s38, 1
	s_cmp_eq_u32 s29, 2
	s_cbranch_scc1 .LBB16_834
; %bb.830:
	v_mov_b32_e32 v2, 0
	v_mov_b32_e32 v0, 0
	;; [unrolled: 1-line block ×3, first 2 shown]
	s_and_b32 s39, s38, 28
	s_mov_b64 s[0:1], s[2:3]
.LBB16_831:                             ; =>This Inner Loop Header: Depth=1
	s_clause 0x1
	s_load_dwordx8 s[48:55], s[0:1], 0x4
	s_load_dwordx4 s[64:67], s[0:1], 0x24
	s_load_dwordx8 s[56:63], s[24:25], 0x0
	s_add_u32 s0, s0, 48
	s_addc_u32 s1, s1, 0
	s_add_i32 s47, s47, 4
	s_add_u32 s24, s24, 32
	s_addc_u32 s25, s25, 0
	s_cmp_eq_u32 s39, s47
	s_waitcnt vmcnt(0) lgkmcnt(0)
	v_mul_hi_u32 v3, s49, v1
	v_add_nc_u32_e32 v3, v1, v3
	v_lshrrev_b32_e32 v3, s50, v3
	v_mul_hi_u32 v4, s52, v3
	v_mul_lo_u32 v6, v3, s48
	v_add_nc_u32_e32 v4, v3, v4
	v_sub_nc_u32_e32 v1, v1, v6
	v_lshrrev_b32_e32 v4, s53, v4
	v_mul_lo_u32 v6, v1, s56
	v_mul_lo_u32 v9, v1, s57
	v_mul_hi_u32 v5, s55, v4
	v_add_nc_u32_e32 v5, v4, v5
	v_lshrrev_b32_e32 v5, s64, v5
	v_mul_hi_u32 v7, s66, v5
	v_mul_lo_u32 v10, v5, s54
	v_add_nc_u32_e32 v1, v5, v7
	v_mul_lo_u32 v7, v4, s51
	v_sub_nc_u32_e32 v4, v4, v10
	v_lshrrev_b32_e32 v1, s67, v1
	v_mul_lo_u32 v10, v4, s60
	v_mul_lo_u32 v4, v4, s61
	v_sub_nc_u32_e32 v3, v3, v7
	v_mul_lo_u32 v11, v1, s65
	v_mul_lo_u32 v7, v3, s58
	;; [unrolled: 1-line block ×3, first 2 shown]
	v_sub_nc_u32_e32 v5, v5, v11
	v_add3_u32 v0, v6, v0, v7
	v_mul_lo_u32 v11, v5, s62
	v_mul_lo_u32 v5, v5, s63
	v_add3_u32 v2, v9, v2, v3
	v_add3_u32 v0, v10, v0, v11
	;; [unrolled: 1-line block ×3, first 2 shown]
	s_cbranch_scc0 .LBB16_831
	s_branch .LBB16_835
.LBB16_832:
	s_mov_b32 s0, -1
                                        ; implicit-def: $vgpr0
                                        ; implicit-def: $vgpr2
	s_branch .LBB16_839
.LBB16_833:
	v_mov_b32_e32 v0, 0
	v_mov_b32_e32 v2, 0
	s_branch .LBB16_838
.LBB16_834:
	v_mov_b32_e32 v0, 0
	v_mov_b32_e32 v2, 0
	v_mov_b32_e32 v1, v8
	s_mov_b32 s39, 0
.LBB16_835:
	s_and_b32 s38, s38, 3
	s_cmp_eq_u32 s38, 0
	s_cbranch_scc1 .LBB16_838
; %bb.836:
	s_lshl_b32 s0, s39, 3
	s_mul_i32 s24, s39, 12
	s_add_u32 s0, s2, s0
	s_addc_u32 s1, s3, 0
	s_add_u32 s0, s0, 0xc4
	s_addc_u32 s1, s1, 0
	;; [unrolled: 2-line block ×3, first 2 shown]
.LBB16_837:                             ; =>This Inner Loop Header: Depth=1
	s_clause 0x1
	s_load_dwordx2 s[48:49], s[24:25], 0x4
	s_load_dword s39, s[24:25], 0xc
	s_load_dwordx2 s[50:51], s[0:1], 0x0
	s_add_u32 s24, s24, 12
	s_addc_u32 s25, s25, 0
	s_add_u32 s0, s0, 8
	s_addc_u32 s1, s1, 0
	s_add_i32 s38, s38, -1
	s_cmp_lg_u32 s38, 0
	s_waitcnt vmcnt(0) lgkmcnt(0)
	v_mul_hi_u32 v3, s49, v1
	v_add_nc_u32_e32 v3, v1, v3
	v_lshrrev_b32_e32 v4, s39, v3
	v_mul_lo_u32 v3, v4, s48
	v_sub_nc_u32_e32 v3, v1, v3
	v_mad_u64_u32 v[0:1], null, v3, s50, v[0:1]
	v_mad_u64_u32 v[2:3], null, v3, s51, v[2:3]
	v_mov_b32_e32 v1, v4
	s_cbranch_scc1 .LBB16_837
.LBB16_838:
	s_mov_b32 s0, 0
.LBB16_839:
	s_andn2_b32 vcc_lo, exec_lo, s0
	s_cbranch_vccnz .LBB16_842
; %bb.840:
	v_mul_hi_u32 v0, s21, v8
	s_andn2_b32 vcc_lo, exec_lo, s36
	v_add_nc_u32_e32 v0, v8, v0
	v_lshrrev_b32_e32 v1, s22, v0
	v_mul_lo_u32 v0, v1, s20
	v_sub_nc_u32_e32 v2, v8, v0
	v_mul_lo_u32 v0, v2, s16
	v_mul_lo_u32 v2, v2, s17
	s_cbranch_vccnz .LBB16_842
; %bb.841:
	s_waitcnt vmcnt(0)
	v_mul_hi_u32 v3, s6, v1
	v_add_nc_u32_e32 v3, v1, v3
	v_lshrrev_b32_e32 v3, s7, v3
	v_mul_lo_u32 v3, v3, s23
	v_sub_nc_u32_e32 v3, v1, v3
	v_mad_u64_u32 v[0:1], null, v3, s18, v[0:1]
	v_mad_u64_u32 v[2:3], null, v3, s19, v[2:3]
.LBB16_842:
	v_add_co_u32 v1, s0, s10, v2
	v_add_co_ci_u32_e64 v2, null, s11, 0, s0
	s_and_b32 s0, 0xffff, s35
	s_cmp_lt_i32 s0, 11
	s_cbranch_scc1 .LBB16_849
; %bb.843:
	s_cmp_gt_i32 s0, 25
	s_mov_b32 s6, 0
	s_cbranch_scc0 .LBB16_850
; %bb.844:
	s_cmp_gt_i32 s0, 28
	s_cbranch_scc0 .LBB16_851
; %bb.845:
	s_cmp_gt_i32 s0, 43
	;; [unrolled: 3-line block ×3, first 2 shown]
	s_cbranch_scc0 .LBB16_855
; %bb.847:
	s_cmp_eq_u32 s0, 46
	s_mov_b32 s10, 0
	s_cbranch_scc0 .LBB16_858
; %bb.848:
	global_load_dword v3, v[1:2], off
	s_mov_b32 s1, 0
	s_mov_b32 s7, -1
	s_waitcnt vmcnt(0)
	v_lshlrev_b32_e32 v4, 16, v3
	s_branch .LBB16_860
.LBB16_849:
	s_mov_b32 s0, -1
	s_mov_b32 s7, 0
	s_mov_b32 s6, 0
	;; [unrolled: 1-line block ×3, first 2 shown]
                                        ; implicit-def: $vgpr4
	s_branch .LBB16_923
.LBB16_850:
	s_mov_b32 s10, -1
	s_mov_b32 s7, 0
	s_mov_b32 s1, s26
                                        ; implicit-def: $vgpr4
	s_branch .LBB16_889
.LBB16_851:
	s_mov_b32 s10, -1
	s_mov_b32 s7, 0
	s_mov_b32 s1, s26
                                        ; implicit-def: $vgpr4
	s_branch .LBB16_870
.LBB16_852:
	s_mov_b32 s10, -1
	s_mov_b32 s7, 0
	s_mov_b32 s1, s26
                                        ; implicit-def: $vgpr4
	s_branch .LBB16_865
.LBB16_853:
	s_andn2_saveexec_b32 s49, s49
	s_cbranch_execz .LBB16_733
.LBB16_854:
	v_add_f32_e64 v3, 0x46000000, |v2|
	s_andn2_b32 s48, s48, exec_lo
	v_and_b32_e32 v3, 0xff, v3
	v_cmp_ne_u32_e32 vcc_lo, 0, v3
	s_and_b32 s50, vcc_lo, exec_lo
	s_or_b32 s48, s48, s50
	s_or_b32 exec_lo, exec_lo, s49
	v_mov_b32_e32 v4, 0
	s_and_saveexec_b32 s49, s48
	s_cbranch_execnz .LBB16_734
	s_branch .LBB16_735
.LBB16_855:
	s_mov_b32 s10, -1
	s_mov_b32 s7, 0
	s_mov_b32 s1, s26
	s_branch .LBB16_859
.LBB16_856:
	s_andn2_saveexec_b32 s49, s49
	s_cbranch_execz .LBB16_746
.LBB16_857:
	v_add_f32_e64 v3, 0x42800000, |v2|
	s_andn2_b32 s48, s48, exec_lo
	v_and_b32_e32 v3, 0xff, v3
	v_cmp_ne_u32_e32 vcc_lo, 0, v3
	s_and_b32 s50, vcc_lo, exec_lo
	s_or_b32 s48, s48, s50
	s_or_b32 exec_lo, exec_lo, s49
	v_mov_b32_e32 v4, 0
	s_and_saveexec_b32 s49, s48
	s_cbranch_execnz .LBB16_747
	s_branch .LBB16_748
.LBB16_858:
	s_mov_b32 s1, -1
	s_mov_b32 s7, 0
.LBB16_859:
                                        ; implicit-def: $vgpr4
.LBB16_860:
	s_and_b32 vcc_lo, exec_lo, s10
	s_cbranch_vccz .LBB16_864
; %bb.861:
	s_cmp_eq_u32 s0, 44
	s_cbranch_scc0 .LBB16_863
; %bb.862:
	global_load_ubyte v3, v[1:2], off
	s_mov_b32 s1, 0
	s_mov_b32 s7, -1
	s_waitcnt vmcnt(0)
	v_lshlrev_b32_e32 v4, 23, v3
	v_cmp_ne_u32_e32 vcc_lo, 0xff, v3
	v_cndmask_b32_e32 v4, 0x7f800001, v4, vcc_lo
	v_cmp_ne_u32_e32 vcc_lo, 0, v3
	v_cndmask_b32_e32 v4, 0x400000, v4, vcc_lo
	s_branch .LBB16_864
.LBB16_863:
	s_mov_b32 s1, -1
                                        ; implicit-def: $vgpr4
.LBB16_864:
	s_mov_b32 s10, 0
.LBB16_865:
	s_and_b32 vcc_lo, exec_lo, s10
	s_cbranch_vccz .LBB16_869
; %bb.866:
	s_cmp_eq_u32 s0, 29
	s_cbranch_scc0 .LBB16_868
; %bb.867:
	global_load_dwordx2 v[3:4], v[1:2], off
	s_mov_b32 s1, 0
	s_mov_b32 s7, -1
	s_mov_b32 s10, 0
	s_waitcnt vmcnt(0)
	v_ffbh_u32_e32 v5, v4
	v_min_u32_e32 v5, 32, v5
	v_lshlrev_b64 v[3:4], v5, v[3:4]
	v_min_u32_e32 v3, 1, v3
	v_or_b32_e32 v3, v4, v3
	v_sub_nc_u32_e32 v4, 32, v5
	v_cvt_f32_u32_e32 v3, v3
	v_ldexp_f32 v4, v3, v4
	s_branch .LBB16_870
.LBB16_868:
	s_mov_b32 s1, -1
                                        ; implicit-def: $vgpr4
.LBB16_869:
	s_mov_b32 s10, 0
.LBB16_870:
	s_and_b32 vcc_lo, exec_lo, s10
	s_cbranch_vccz .LBB16_888
; %bb.871:
	s_cmp_lt_i32 s0, 27
	s_cbranch_scc1 .LBB16_874
; %bb.872:
	s_cmp_gt_i32 s0, 27
	s_cbranch_scc0 .LBB16_875
; %bb.873:
	global_load_dword v3, v[1:2], off
	s_mov_b32 s7, 0
	s_waitcnt vmcnt(0)
	v_cvt_f32_u32_e32 v4, v3
	s_branch .LBB16_876
.LBB16_874:
	s_mov_b32 s7, -1
                                        ; implicit-def: $vgpr4
	s_branch .LBB16_879
.LBB16_875:
	s_mov_b32 s7, -1
                                        ; implicit-def: $vgpr4
.LBB16_876:
	s_andn2_b32 vcc_lo, exec_lo, s7
	s_cbranch_vccnz .LBB16_878
; %bb.877:
	global_load_ushort v3, v[1:2], off
	s_waitcnt vmcnt(0)
	v_cvt_f32_u32_e32 v4, v3
.LBB16_878:
	s_mov_b32 s7, 0
.LBB16_879:
	s_andn2_b32 vcc_lo, exec_lo, s7
	s_cbranch_vccnz .LBB16_887
; %bb.880:
	global_load_ubyte v3, v[1:2], off
	s_mov_b32 s7, 0
	s_mov_b32 s10, exec_lo
	s_waitcnt vmcnt(0)
	v_cmpx_lt_i16_e32 0x7f, v3
	s_xor_b32 s10, exec_lo, s10
	s_cbranch_execz .LBB16_901
; %bb.881:
	s_mov_b32 s7, -1
	s_mov_b32 s11, exec_lo
	v_cmpx_eq_u16_e32 0x80, v3
; %bb.882:
	s_xor_b32 s7, exec_lo, -1
; %bb.883:
	s_or_b32 exec_lo, exec_lo, s11
	s_and_b32 s7, s7, exec_lo
	s_or_saveexec_b32 s10, s10
	v_mov_b32_e32 v4, 0x7f800001
	s_xor_b32 exec_lo, exec_lo, s10
	s_cbranch_execnz .LBB16_902
.LBB16_884:
	s_or_b32 exec_lo, exec_lo, s10
	s_and_saveexec_b32 s10, s7
	s_cbranch_execz .LBB16_886
.LBB16_885:
	v_and_b32_e32 v4, 0xffff, v3
	v_lshlrev_b32_e32 v3, 24, v3
	v_and_b32_e32 v5, 7, v4
	v_bfe_u32 v8, v4, 3, 4
	v_and_b32_e32 v3, 0x80000000, v3
	v_ffbh_u32_e32 v6, v5
	v_cmp_eq_u32_e32 vcc_lo, 0, v8
	v_min_u32_e32 v6, 32, v6
	v_subrev_nc_u32_e32 v7, 28, v6
	v_sub_nc_u32_e32 v6, 29, v6
	v_lshlrev_b32_e32 v4, v7, v4
	v_cndmask_b32_e32 v6, v8, v6, vcc_lo
	v_and_b32_e32 v4, 7, v4
	v_cndmask_b32_e32 v4, v5, v4, vcc_lo
	v_lshl_add_u32 v5, v6, 23, 0x3b800000
	v_lshlrev_b32_e32 v4, 20, v4
	v_or3_b32 v4, v3, v5, v4
.LBB16_886:
	s_or_b32 exec_lo, exec_lo, s10
.LBB16_887:
	s_mov_b32 s7, -1
.LBB16_888:
	s_mov_b32 s10, 0
.LBB16_889:
	s_and_b32 vcc_lo, exec_lo, s10
	s_cbranch_vccz .LBB16_922
; %bb.890:
	s_cmp_gt_i32 s0, 22
	s_cbranch_scc0 .LBB16_900
; %bb.891:
	s_cmp_lt_i32 s0, 24
	s_cbranch_scc1 .LBB16_903
; %bb.892:
	s_cmp_gt_i32 s0, 24
	s_cbranch_scc0 .LBB16_904
; %bb.893:
	global_load_ubyte v3, v[1:2], off
	s_mov_b32 s7, exec_lo
	s_waitcnt vmcnt(0)
	v_cmpx_lt_i16_e32 0x7f, v3
	s_xor_b32 s7, exec_lo, s7
	s_cbranch_execz .LBB16_916
; %bb.894:
	s_mov_b32 s6, -1
	s_mov_b32 s10, exec_lo
	v_cmpx_eq_u16_e32 0x80, v3
; %bb.895:
	s_xor_b32 s6, exec_lo, -1
; %bb.896:
	s_or_b32 exec_lo, exec_lo, s10
	s_and_b32 s6, s6, exec_lo
	s_or_saveexec_b32 s7, s7
	v_mov_b32_e32 v4, 0x7f800001
	s_xor_b32 exec_lo, exec_lo, s7
	s_cbranch_execnz .LBB16_917
.LBB16_897:
	s_or_b32 exec_lo, exec_lo, s7
	s_and_saveexec_b32 s7, s6
	s_cbranch_execz .LBB16_899
.LBB16_898:
	v_and_b32_e32 v4, 0xffff, v3
	v_lshlrev_b32_e32 v3, 24, v3
	v_and_b32_e32 v5, 3, v4
	v_bfe_u32 v8, v4, 2, 5
	v_and_b32_e32 v3, 0x80000000, v3
	v_ffbh_u32_e32 v6, v5
	v_cmp_eq_u32_e32 vcc_lo, 0, v8
	v_min_u32_e32 v6, 32, v6
	v_subrev_nc_u32_e32 v7, 29, v6
	v_sub_nc_u32_e32 v6, 30, v6
	v_lshlrev_b32_e32 v4, v7, v4
	v_cndmask_b32_e32 v6, v8, v6, vcc_lo
	v_and_b32_e32 v4, 3, v4
	v_cndmask_b32_e32 v4, v5, v4, vcc_lo
	v_lshl_add_u32 v5, v6, 23, 0x37800000
	v_lshlrev_b32_e32 v4, 21, v4
	v_or3_b32 v4, v3, v5, v4
.LBB16_899:
	s_or_b32 exec_lo, exec_lo, s7
	s_mov_b32 s6, 0
	s_branch .LBB16_905
.LBB16_900:
	s_mov_b32 s6, -1
                                        ; implicit-def: $vgpr4
	s_branch .LBB16_911
.LBB16_901:
	s_or_saveexec_b32 s10, s10
	v_mov_b32_e32 v4, 0x7f800001
	s_xor_b32 exec_lo, exec_lo, s10
	s_cbranch_execz .LBB16_884
.LBB16_902:
	v_cmp_ne_u16_e32 vcc_lo, 0, v3
	v_mov_b32_e32 v4, 0
	s_andn2_b32 s7, s7, exec_lo
	s_and_b32 s11, vcc_lo, exec_lo
	s_or_b32 s7, s7, s11
	s_or_b32 exec_lo, exec_lo, s10
	s_and_saveexec_b32 s10, s7
	s_cbranch_execnz .LBB16_885
	s_branch .LBB16_886
.LBB16_903:
	s_mov_b32 s6, -1
                                        ; implicit-def: $vgpr4
	s_branch .LBB16_908
.LBB16_904:
	s_mov_b32 s6, -1
                                        ; implicit-def: $vgpr4
.LBB16_905:
	s_and_b32 vcc_lo, exec_lo, s6
	s_cbranch_vccz .LBB16_907
; %bb.906:
	global_load_ubyte v3, v[1:2], off
	s_waitcnt vmcnt(0)
	v_lshlrev_b32_e32 v3, 24, v3
	v_and_b32_e32 v4, 0x7f000000, v3
	v_ffbh_u32_e32 v5, v4
	v_add_nc_u32_e32 v7, 0x1000000, v4
	v_cmp_ne_u32_e32 vcc_lo, 0, v4
	v_min_u32_e32 v5, 32, v5
	v_sub_nc_u32_e64 v5, v5, 4 clamp
	v_lshlrev_b32_e32 v6, v5, v4
	v_lshlrev_b32_e32 v5, 23, v5
	v_lshrrev_b32_e32 v6, 4, v6
	v_sub_nc_u32_e32 v5, v6, v5
	v_ashrrev_i32_e32 v6, 8, v7
	v_add_nc_u32_e32 v5, 0x3c000000, v5
	v_and_or_b32 v5, 0x7f800000, v6, v5
	v_cndmask_b32_e32 v4, 0, v5, vcc_lo
	v_and_or_b32 v4, 0x80000000, v3, v4
.LBB16_907:
	s_mov_b32 s6, 0
.LBB16_908:
	s_andn2_b32 vcc_lo, exec_lo, s6
	s_cbranch_vccnz .LBB16_910
; %bb.909:
	global_load_ubyte v3, v[1:2], off
	s_waitcnt vmcnt(0)
	v_lshlrev_b32_e32 v4, 25, v3
	v_lshlrev_b16 v3, 8, v3
	v_lshrrev_b32_e32 v5, 4, v4
	v_and_or_b32 v6, 0x7f00, v3, 0.5
	v_cmp_gt_u32_e32 vcc_lo, 0x8000000, v4
	v_bfe_i32 v3, v3, 0, 16
	v_or_b32_e32 v5, 0x70000000, v5
	v_add_f32_e32 v6, -0.5, v6
	v_mul_f32_e32 v5, 0x7800000, v5
	v_cndmask_b32_e32 v4, v5, v6, vcc_lo
	v_and_or_b32 v4, 0x80000000, v3, v4
.LBB16_910:
	s_mov_b32 s6, 0
	s_mov_b32 s7, -1
.LBB16_911:
	s_andn2_b32 vcc_lo, exec_lo, s6
	s_mov_b32 s6, 0
	s_cbranch_vccnz .LBB16_922
; %bb.912:
	s_cmp_gt_i32 s0, 14
	s_cbranch_scc0 .LBB16_915
; %bb.913:
	s_cmp_eq_u32 s0, 15
	s_cbranch_scc0 .LBB16_918
; %bb.914:
	global_load_ushort v3, v[1:2], off
	s_mov_b32 s1, 0
	s_mov_b32 s7, -1
	s_waitcnt vmcnt(0)
	v_lshlrev_b32_e32 v4, 16, v3
	s_branch .LBB16_920
.LBB16_915:
	s_mov_b32 s6, -1
	s_branch .LBB16_919
.LBB16_916:
	s_or_saveexec_b32 s7, s7
	v_mov_b32_e32 v4, 0x7f800001
	s_xor_b32 exec_lo, exec_lo, s7
	s_cbranch_execz .LBB16_897
.LBB16_917:
	v_cmp_ne_u16_e32 vcc_lo, 0, v3
	v_mov_b32_e32 v4, 0
	s_andn2_b32 s6, s6, exec_lo
	s_and_b32 s10, vcc_lo, exec_lo
	s_or_b32 s6, s6, s10
	s_or_b32 exec_lo, exec_lo, s7
	s_and_saveexec_b32 s7, s6
	s_cbranch_execnz .LBB16_898
	s_branch .LBB16_899
.LBB16_918:
	s_mov_b32 s1, -1
.LBB16_919:
                                        ; implicit-def: $vgpr4
.LBB16_920:
	s_and_b32 vcc_lo, exec_lo, s6
	s_mov_b32 s6, 0
	s_cbranch_vccz .LBB16_922
; %bb.921:
	s_cmp_lg_u32 s0, 11
	s_mov_b32 s6, -1
	s_cselect_b32 s0, -1, 0
	s_andn2_b32 s1, s1, exec_lo
	s_and_b32 s0, s0, exec_lo
	s_or_b32 s1, s1, s0
.LBB16_922:
	s_mov_b32 s0, 0
.LBB16_923:
	s_and_b32 s47, s7, exec_lo
	s_andn2_b32 s7, s26, exec_lo
	s_and_b32 s1, s1, exec_lo
	s_and_b32 s48, s0, exec_lo
	s_and_b32 s0, s6, exec_lo
	s_or_b32 s49, s7, s1
.LBB16_924:
	s_or_b32 exec_lo, exec_lo, s37
	s_andn2_b32 s6, s26, exec_lo
	s_and_b32 s7, s49, exec_lo
	s_and_b32 s47, s47, exec_lo
	;; [unrolled: 1-line block ×4, first 2 shown]
	s_or_b32 s26, s6, s7
.LBB16_925:
	s_or_b32 exec_lo, exec_lo, s46
	s_andn2_b32 s6, s44, exec_lo
	s_and_b32 s7, s27, exec_lo
	s_and_b32 s46, s47, exec_lo
	s_or_b32 s44, s6, s7
	s_andn2_b32 s6, s43, exec_lo
	s_and_b32 s7, s26, exec_lo
	s_and_b32 s27, s1, exec_lo
	;; [unrolled: 1-line block ×3, first 2 shown]
	s_or_b32 s43, s6, s7
.LBB16_926:
	s_or_b32 exec_lo, exec_lo, s45
	s_andn2_b32 s0, s40, exec_lo
	s_and_b32 s6, s44, exec_lo
	s_and_b32 s7, s43, exec_lo
	s_or_b32 s40, s0, s6
	s_andn2_b32 s6, s41, exec_lo
	s_and_b32 s0, s46, exec_lo
	s_and_b32 s26, s27, exec_lo
	;; [unrolled: 1-line block ×3, first 2 shown]
	s_or_b32 s41, s6, s7
	s_or_b32 exec_lo, exec_lo, s42
	s_mov_b32 s1, 0
	s_and_saveexec_b32 s6, s41
	s_cbranch_execz .LBB16_276
.LBB16_927:
	s_mov_b32 s1, exec_lo
	s_andn2_b32 s43, s43, exec_lo
	s_trap 2
	s_or_b32 exec_lo, exec_lo, s6
	s_and_saveexec_b32 s6, s43
	s_xor_b32 s6, exec_lo, s6
	s_cbranch_execnz .LBB16_277
.LBB16_928:
	s_or_b32 exec_lo, exec_lo, s6
	s_and_saveexec_b32 s6, s26
	s_cbranch_execz .LBB16_974
.LBB16_929:
	s_sext_i32_i16 s7, s35
	s_cmp_lt_i32 s7, 5
	s_cbranch_scc1 .LBB16_934
; %bb.930:
	s_cmp_lt_i32 s7, 8
	s_cbranch_scc1 .LBB16_935
; %bb.931:
	s_cmp_lt_i32 s7, 9
	s_cbranch_scc1 .LBB16_936
; %bb.932:
	s_cmp_gt_i32 s7, 9
	s_cbranch_scc0 .LBB16_937
; %bb.933:
	global_load_dwordx2 v[3:4], v[1:2], off
	s_mov_b32 s7, 0
	s_waitcnt vmcnt(0)
	v_cvt_f32_f64_e32 v4, v[3:4]
	s_branch .LBB16_938
.LBB16_934:
                                        ; implicit-def: $vgpr4
	s_branch .LBB16_955
.LBB16_935:
                                        ; implicit-def: $vgpr4
	s_branch .LBB16_944
.LBB16_936:
	s_mov_b32 s7, -1
                                        ; implicit-def: $vgpr4
	s_branch .LBB16_941
.LBB16_937:
	s_mov_b32 s7, -1
                                        ; implicit-def: $vgpr4
.LBB16_938:
	s_andn2_b32 vcc_lo, exec_lo, s7
	s_cbranch_vccnz .LBB16_940
; %bb.939:
	global_load_dword v4, v[1:2], off
.LBB16_940:
	s_mov_b32 s7, 0
.LBB16_941:
	s_andn2_b32 vcc_lo, exec_lo, s7
	s_cbranch_vccnz .LBB16_943
; %bb.942:
	global_load_dword v3, v[1:2], off
	s_waitcnt vmcnt(0)
	v_cvt_f32_f16_e32 v4, v3
.LBB16_943:
	s_cbranch_execnz .LBB16_954
.LBB16_944:
	s_sext_i32_i16 s7, s35
	s_cmp_lt_i32 s7, 6
	s_cbranch_scc1 .LBB16_947
; %bb.945:
	s_cmp_gt_i32 s7, 6
	s_cbranch_scc0 .LBB16_948
; %bb.946:
	global_load_dwordx2 v[3:4], v[1:2], off
	s_mov_b32 s7, 0
	s_waitcnt vmcnt(0)
	v_cvt_f32_f64_e32 v4, v[3:4]
	s_branch .LBB16_949
.LBB16_947:
	s_mov_b32 s7, -1
                                        ; implicit-def: $vgpr4
	s_branch .LBB16_952
.LBB16_948:
	s_mov_b32 s7, -1
                                        ; implicit-def: $vgpr4
.LBB16_949:
	s_andn2_b32 vcc_lo, exec_lo, s7
	s_cbranch_vccnz .LBB16_951
; %bb.950:
	global_load_dword v4, v[1:2], off
.LBB16_951:
	s_mov_b32 s7, 0
.LBB16_952:
	s_andn2_b32 vcc_lo, exec_lo, s7
	s_cbranch_vccnz .LBB16_954
; %bb.953:
	global_load_ushort v3, v[1:2], off
	s_waitcnt vmcnt(0)
	v_cvt_f32_f16_e32 v4, v3
.LBB16_954:
	s_cbranch_execnz .LBB16_973
.LBB16_955:
	s_sext_i32_i16 s7, s35
	s_cmp_lt_i32 s7, 2
	s_cbranch_scc1 .LBB16_959
; %bb.956:
	s_cmp_lt_i32 s7, 3
	s_cbranch_scc1 .LBB16_960
; %bb.957:
	s_cmp_gt_i32 s7, 3
	s_cbranch_scc0 .LBB16_961
; %bb.958:
	global_load_dwordx2 v[3:4], v[1:2], off
	s_mov_b32 s7, 0
	s_waitcnt vmcnt(0)
	v_xor_b32_e32 v5, v3, v4
	v_ffbh_i32_e32 v6, v4
	v_ashrrev_i32_e32 v5, 31, v5
	v_add_nc_u32_e32 v6, -1, v6
	v_add_nc_u32_e32 v5, 32, v5
	v_min_u32_e32 v5, v6, v5
	v_lshlrev_b64 v[3:4], v5, v[3:4]
	v_min_u32_e32 v3, 1, v3
	v_or_b32_e32 v3, v4, v3
	v_sub_nc_u32_e32 v4, 32, v5
	v_cvt_f32_i32_e32 v3, v3
	v_ldexp_f32 v4, v3, v4
	s_branch .LBB16_962
.LBB16_959:
                                        ; implicit-def: $vgpr4
	s_branch .LBB16_968
.LBB16_960:
	s_mov_b32 s7, -1
                                        ; implicit-def: $vgpr4
	s_branch .LBB16_965
.LBB16_961:
	s_mov_b32 s7, -1
                                        ; implicit-def: $vgpr4
.LBB16_962:
	s_andn2_b32 vcc_lo, exec_lo, s7
	s_cbranch_vccnz .LBB16_964
; %bb.963:
	global_load_dword v3, v[1:2], off
	s_waitcnt vmcnt(0)
	v_cvt_f32_i32_e32 v4, v3
.LBB16_964:
	s_mov_b32 s7, 0
.LBB16_965:
	s_andn2_b32 vcc_lo, exec_lo, s7
	s_cbranch_vccnz .LBB16_967
; %bb.966:
	global_load_sshort v3, v[1:2], off
	s_waitcnt vmcnt(0)
	v_cvt_f32_i32_e32 v4, v3
.LBB16_967:
	s_cbranch_execnz .LBB16_973
.LBB16_968:
	s_sext_i32_i16 s7, s35
	s_cmp_gt_i32 s7, 0
	s_mov_b32 s7, 0
	s_cbranch_scc0 .LBB16_970
; %bb.969:
	global_load_sbyte v3, v[1:2], off
	s_waitcnt vmcnt(0)
	v_cvt_f32_i32_e32 v4, v3
	s_branch .LBB16_971
.LBB16_970:
	s_mov_b32 s7, -1
                                        ; implicit-def: $vgpr4
.LBB16_971:
	s_andn2_b32 vcc_lo, exec_lo, s7
	s_cbranch_vccnz .LBB16_973
; %bb.972:
	global_load_ubyte v1, v[1:2], off
	s_waitcnt vmcnt(0)
	v_cvt_f32_ubyte0_e32 v4, v1
.LBB16_973:
	s_or_b32 s0, s0, exec_lo
.LBB16_974:
	s_or_b32 exec_lo, exec_lo, s6
	s_mov_b32 s11, 0
	s_mov_b32 s10, 0
                                        ; implicit-def: $sgpr6
                                        ; implicit-def: $vgpr1_vgpr2
                                        ; implicit-def: $vgpr3
	s_and_saveexec_b32 s7, s0
	s_cbranch_execz .LBB16_984
; %bb.975:
	s_mov_b32 s0, exec_lo
	s_waitcnt vmcnt(0)
	v_cmpx_nlg_f32_e64 0x7f800000, |v4|
	s_cbranch_execz .LBB16_977
; %bb.976:
	v_mov_b32_e32 v1, 0
	v_mov_b32_e32 v2, 1.0
	global_store_dword v1, v2, s[12:13]
.LBB16_977:
	s_or_b32 exec_lo, exec_lo, s0
	v_mov_b32_e32 v1, 0
	s_and_b32 s6, s34, 0xff
	s_cmp_lt_i32 s6, 11
	global_load_dword v3, v1, s[14:15]
	v_add_co_u32 v1, s0, s8, v0
	v_add_co_ci_u32_e64 v2, null, s9, 0, s0
	s_waitcnt vmcnt(0)
	v_mul_f32_e32 v5, v4, v3
	v_cmp_eq_f32_e32 vcc_lo, 1.0, v3
	v_cndmask_b32_e32 v3, v5, v4, vcc_lo
	s_cbranch_scc1 .LBB16_987
; %bb.978:
	s_and_b32 s8, 0xffff, s6
	s_mov_b32 s9, -1
	s_cmp_gt_i32 s8, 25
	s_mov_b32 s0, s40
	s_cbranch_scc0 .LBB16_1015
; %bb.979:
	s_cmp_gt_i32 s8, 28
	s_mov_b32 s0, s40
	s_cbranch_scc0 .LBB16_999
; %bb.980:
	;; [unrolled: 4-line block ×4, first 2 shown]
	s_cmp_eq_u32 s8, 46
	s_mov_b32 s0, -1
	s_cbranch_scc0 .LBB16_988
; %bb.983:
	v_bfe_u32 v0, v3, 16, 1
	v_cmp_o_f32_e32 vcc_lo, v3, v3
	v_mov_b32_e32 v4, 0x7fc0
	s_mov_b32 s0, 0
	s_mov_b32 s9, 0
	v_add3_u32 v0, v3, v0, 0x7fff
	v_cndmask_b32_sdwa v0, v4, v0, vcc_lo dst_sel:DWORD dst_unused:UNUSED_PAD src0_sel:DWORD src1_sel:WORD_1
	global_store_dword v[1:2], v0, off
	s_branch .LBB16_989
.LBB16_984:
	s_or_b32 exec_lo, exec_lo, s7
	s_and_saveexec_b32 s0, s40
	s_cbranch_execnz .LBB16_1057
.LBB16_985:
	s_or_b32 exec_lo, exec_lo, s0
	s_and_saveexec_b32 s0, s11
	s_xor_b32 s0, exec_lo, s0
	s_cbranch_execz .LBB16_1058
.LBB16_986:
	s_waitcnt vmcnt(0)
	v_cmp_neq_f32_e32 vcc_lo, 0, v3
	v_cndmask_b32_e64 v0, 0, 1, vcc_lo
	global_store_byte v[1:2], v0, off
	s_or_b32 exec_lo, exec_lo, s0
	s_and_saveexec_b32 s0, s10
	s_xor_b32 s0, exec_lo, s0
	s_cbranch_execz .LBB16_1096
	s_branch .LBB16_1059
.LBB16_987:
	s_mov_b32 s9, -1
	s_mov_b32 s0, s40
	s_branch .LBB16_1056
.LBB16_988:
	s_mov_b32 s9, 0
.LBB16_989:
	s_and_b32 vcc_lo, exec_lo, s9
	s_cbranch_vccz .LBB16_994
; %bb.990:
	s_cmp_eq_u32 s8, 44
	s_mov_b32 s0, -1
	s_cbranch_scc0 .LBB16_994
; %bb.991:
	v_bfe_u32 v4, v3, 23, 8
	v_mov_b32_e32 v0, 0xff
	s_mov_b32 s9, exec_lo
	v_cmpx_ne_u32_e32 0xff, v4
	s_cbranch_execz .LBB16_993
; %bb.992:
	v_and_b32_e32 v0, 0x400000, v3
	v_and_or_b32 v4, 0x3fffff, v3, v4
	v_cmp_ne_u32_e32 vcc_lo, 0, v0
	v_cmp_ne_u32_e64 s0, 0, v4
	v_lshrrev_b32_e32 v0, 23, v3
	s_and_b32 s0, vcc_lo, s0
	v_cndmask_b32_e64 v4, 0, 1, s0
	v_add_nc_u32_e32 v0, v0, v4
.LBB16_993:
	s_or_b32 exec_lo, exec_lo, s9
	s_mov_b32 s0, 0
	global_store_byte v[1:2], v0, off
.LBB16_994:
	s_mov_b32 s9, 0
.LBB16_995:
	s_and_b32 vcc_lo, exec_lo, s9
	s_cbranch_vccz .LBB16_998
; %bb.996:
	s_cmp_eq_u32 s8, 29
	s_mov_b32 s0, -1
	s_cbranch_scc0 .LBB16_998
; %bb.997:
	v_trunc_f32_e32 v0, v3
	s_mov_b32 s0, 0
	s_mov_b32 s9, 0
	v_mul_f32_e32 v4, 0x2f800000, v0
	v_floor_f32_e32 v4, v4
	v_fmamk_f32 v0, v4, 0xcf800000, v0
	v_cvt_u32_f32_e32 v5, v4
	v_cvt_u32_f32_e32 v4, v0
	global_store_dwordx2 v[1:2], v[4:5], off
	s_branch .LBB16_999
.LBB16_998:
	s_mov_b32 s9, 0
.LBB16_999:
	s_and_b32 vcc_lo, exec_lo, s9
	s_cbranch_vccz .LBB16_1014
; %bb.1000:
	s_cmp_lt_i32 s8, 27
	s_mov_b32 s9, -1
	s_cbranch_scc1 .LBB16_1006
; %bb.1001:
	s_cmp_gt_i32 s8, 27
	s_cbranch_scc0 .LBB16_1003
; %bb.1002:
	v_cvt_u32_f32_e32 v0, v3
	s_mov_b32 s9, 0
	global_store_dword v[1:2], v0, off
.LBB16_1003:
	s_andn2_b32 vcc_lo, exec_lo, s9
	s_cbranch_vccnz .LBB16_1005
; %bb.1004:
	v_cvt_u32_f32_e32 v0, v3
	global_store_short v[1:2], v0, off
.LBB16_1005:
	s_mov_b32 s9, 0
.LBB16_1006:
	s_andn2_b32 vcc_lo, exec_lo, s9
	s_cbranch_vccnz .LBB16_1014
; %bb.1007:
	v_and_b32_e32 v0, 0x7fffffff, v3
	v_mov_b32_e32 v4, 0x80
	s_mov_b32 s9, exec_lo
	v_cmpx_gt_u32_e32 0x43800000, v0
	s_cbranch_execz .LBB16_1013
; %bb.1008:
	v_cmp_lt_u32_e32 vcc_lo, 0x3bffffff, v0
                                        ; implicit-def: $vgpr0
	s_and_saveexec_b32 s11, vcc_lo
	s_xor_b32 s11, exec_lo, s11
	s_cbranch_execz .LBB16_1167
; %bb.1009:
	v_bfe_u32 v0, v3, 20, 1
	s_mov_b32 s10, exec_lo
	v_add3_u32 v0, v3, v0, 0x487ffff
	v_lshrrev_b32_e32 v0, 20, v0
	s_andn2_saveexec_b32 s11, s11
	s_cbranch_execnz .LBB16_1168
.LBB16_1010:
	s_or_b32 exec_lo, exec_lo, s11
	v_mov_b32_e32 v4, 0
	s_and_saveexec_b32 s11, s10
.LBB16_1011:
	v_lshrrev_b32_e32 v4, 24, v3
	v_and_or_b32 v4, 0x80, v4, v0
.LBB16_1012:
	s_or_b32 exec_lo, exec_lo, s11
.LBB16_1013:
	s_or_b32 exec_lo, exec_lo, s9
	global_store_byte v[1:2], v4, off
.LBB16_1014:
	s_mov_b32 s9, 0
.LBB16_1015:
	s_and_b32 vcc_lo, exec_lo, s9
	s_mov_b32 s9, 0
	s_cbranch_vccz .LBB16_1055
; %bb.1016:
	s_cmp_gt_i32 s8, 22
	s_mov_b32 s10, -1
	s_cbranch_scc0 .LBB16_1048
; %bb.1017:
	s_cmp_lt_i32 s8, 24
	s_cbranch_scc1 .LBB16_1037
; %bb.1018:
	s_cmp_gt_i32 s8, 24
	s_cbranch_scc0 .LBB16_1026
; %bb.1019:
	v_and_b32_e32 v0, 0x7fffffff, v3
	v_mov_b32_e32 v4, 0x80
	s_mov_b32 s10, exec_lo
	v_cmpx_gt_u32_e32 0x47800000, v0
	s_cbranch_execz .LBB16_1025
; %bb.1020:
	v_cmp_lt_u32_e32 vcc_lo, 0x37ffffff, v0
	s_mov_b32 s11, 0
                                        ; implicit-def: $vgpr0
	s_and_saveexec_b32 s12, vcc_lo
	s_xor_b32 s12, exec_lo, s12
	s_cbranch_execz .LBB16_1295
; %bb.1021:
	v_bfe_u32 v0, v3, 21, 1
	s_mov_b32 s11, exec_lo
	v_add3_u32 v0, v3, v0, 0x88fffff
	v_lshrrev_b32_e32 v0, 21, v0
	s_andn2_saveexec_b32 s12, s12
	s_cbranch_execnz .LBB16_1296
.LBB16_1022:
	s_or_b32 exec_lo, exec_lo, s12
	v_mov_b32_e32 v4, 0
	s_and_saveexec_b32 s12, s11
.LBB16_1023:
	v_lshrrev_b32_e32 v4, 24, v3
	v_and_or_b32 v4, 0x80, v4, v0
.LBB16_1024:
	s_or_b32 exec_lo, exec_lo, s12
.LBB16_1025:
	s_or_b32 exec_lo, exec_lo, s10
	s_mov_b32 s10, 0
	global_store_byte v[1:2], v4, off
.LBB16_1026:
	s_and_b32 vcc_lo, exec_lo, s10
	s_cbranch_vccz .LBB16_1036
; %bb.1027:
	v_and_b32_e32 v4, 0x7fffffff, v3
	s_mov_b32 s10, exec_lo
                                        ; implicit-def: $vgpr0
	v_cmpx_gt_u32_e32 0x43f00000, v4
	s_xor_b32 s10, exec_lo, s10
	s_cbranch_execz .LBB16_1033
; %bb.1028:
	s_mov_b32 s11, exec_lo
                                        ; implicit-def: $vgpr0
	v_cmpx_lt_u32_e32 0x3c7fffff, v4
	s_xor_b32 s11, exec_lo, s11
; %bb.1029:
	v_bfe_u32 v0, v3, 20, 1
	v_add3_u32 v0, v3, v0, 0x407ffff
	v_and_b32_e32 v4, 0xff00000, v0
	v_lshrrev_b32_e32 v0, 20, v0
	v_cmp_ne_u32_e32 vcc_lo, 0x7f00000, v4
	v_cndmask_b32_e32 v0, 0x7e, v0, vcc_lo
; %bb.1030:
	s_andn2_saveexec_b32 s11, s11
; %bb.1031:
	v_add_f32_e64 v0, 0x46800000, |v3|
; %bb.1032:
	s_or_b32 exec_lo, exec_lo, s11
                                        ; implicit-def: $vgpr4
.LBB16_1033:
	s_andn2_saveexec_b32 s10, s10
; %bb.1034:
	v_mov_b32_e32 v0, 0x7f
	v_cmp_lt_u32_e32 vcc_lo, 0x7f800000, v4
	v_cndmask_b32_e32 v0, 0x7e, v0, vcc_lo
; %bb.1035:
	s_or_b32 exec_lo, exec_lo, s10
	v_lshrrev_b32_e32 v4, 24, v3
	v_and_or_b32 v0, 0x80, v4, v0
	global_store_byte v[1:2], v0, off
.LBB16_1036:
	s_mov_b32 s10, 0
.LBB16_1037:
	s_andn2_b32 vcc_lo, exec_lo, s10
	s_cbranch_vccnz .LBB16_1047
; %bb.1038:
	v_and_b32_e32 v4, 0x7fffffff, v3
	s_mov_b32 s10, exec_lo
                                        ; implicit-def: $vgpr0
	v_cmpx_gt_u32_e32 0x47800000, v4
	s_xor_b32 s10, exec_lo, s10
	s_cbranch_execz .LBB16_1044
; %bb.1039:
	s_mov_b32 s11, exec_lo
                                        ; implicit-def: $vgpr0
	v_cmpx_lt_u32_e32 0x387fffff, v4
	s_xor_b32 s11, exec_lo, s11
; %bb.1040:
	v_bfe_u32 v0, v3, 21, 1
	v_add3_u32 v0, v3, v0, 0x80fffff
	v_lshrrev_b32_e32 v0, 21, v0
; %bb.1041:
	s_andn2_saveexec_b32 s11, s11
; %bb.1042:
	v_add_f32_e64 v0, 0x43000000, |v3|
; %bb.1043:
	s_or_b32 exec_lo, exec_lo, s11
                                        ; implicit-def: $vgpr4
.LBB16_1044:
	s_andn2_saveexec_b32 s10, s10
; %bb.1045:
	v_mov_b32_e32 v0, 0x7f
	v_cmp_lt_u32_e32 vcc_lo, 0x7f800000, v4
	v_cndmask_b32_e32 v0, 0x7c, v0, vcc_lo
; %bb.1046:
	s_or_b32 exec_lo, exec_lo, s10
	v_lshrrev_b32_e32 v4, 24, v3
	v_and_or_b32 v0, 0x80, v4, v0
	global_store_byte v[1:2], v0, off
.LBB16_1047:
	s_mov_b32 s10, 0
.LBB16_1048:
	s_andn2_b32 vcc_lo, exec_lo, s10
	s_mov_b32 s11, 0
	s_cbranch_vccnz .LBB16_1056
; %bb.1049:
	s_cmp_gt_i32 s8, 14
	s_mov_b32 s10, -1
	s_cbranch_scc0 .LBB16_1053
; %bb.1050:
	s_cmp_eq_u32 s8, 15
	s_mov_b32 s0, -1
	s_cbranch_scc0 .LBB16_1052
; %bb.1051:
	v_bfe_u32 v0, v3, 16, 1
	v_cmp_o_f32_e32 vcc_lo, v3, v3
	v_mov_b32_e32 v4, 0x7fc0
	s_mov_b32 s0, 0
	v_add3_u32 v0, v3, v0, 0x7fff
	v_cndmask_b32_sdwa v0, v4, v0, vcc_lo dst_sel:DWORD dst_unused:UNUSED_PAD src0_sel:DWORD src1_sel:WORD_1
	global_store_short v[1:2], v0, off
.LBB16_1052:
	s_mov_b32 s10, 0
.LBB16_1053:
	s_and_b32 vcc_lo, exec_lo, s10
	s_cbranch_vccz .LBB16_1056
; %bb.1054:
	s_cmp_lg_u32 s8, 11
	s_mov_b32 s11, -1
	s_cselect_b32 s8, -1, 0
	s_andn2_b32 s0, s0, exec_lo
	s_and_b32 s8, s8, exec_lo
	s_or_b32 s0, s0, s8
	s_branch .LBB16_1056
.LBB16_1055:
	s_mov_b32 s11, 0
.LBB16_1056:
	s_andn2_b32 s8, s40, exec_lo
	s_and_b32 s0, s0, exec_lo
	s_and_b32 s10, s9, exec_lo
	;; [unrolled: 1-line block ×3, first 2 shown]
	s_or_b32 s40, s8, s0
	s_or_b32 exec_lo, exec_lo, s7
	s_and_saveexec_b32 s0, s40
	s_cbranch_execz .LBB16_985
.LBB16_1057:
	s_or_b32 s1, s1, exec_lo
	s_andn2_b32 s11, s11, exec_lo
	s_trap 2
	s_or_b32 exec_lo, exec_lo, s0
	s_and_saveexec_b32 s0, s11
	s_xor_b32 s0, exec_lo, s0
	s_cbranch_execnz .LBB16_986
.LBB16_1058:
	s_or_b32 exec_lo, exec_lo, s0
	s_and_saveexec_b32 s0, s10
	s_xor_b32 s0, exec_lo, s0
	s_cbranch_execz .LBB16_1096
.LBB16_1059:
	s_sext_i32_i16 s8, s6
	s_mov_b32 s7, -1
	s_cmp_lt_i32 s8, 5
	s_cbranch_scc1 .LBB16_1080
; %bb.1060:
	s_cmp_lt_i32 s8, 8
	s_cbranch_scc1 .LBB16_1070
; %bb.1061:
	;; [unrolled: 3-line block ×3, first 2 shown]
	s_cmp_gt_i32 s8, 9
	s_cbranch_scc0 .LBB16_1064
; %bb.1063:
	s_waitcnt vmcnt(0)
	v_cvt_f64_f32_e32 v[4:5], v3
	v_mov_b32_e32 v6, 0
	s_mov_b32 s7, 0
	v_mov_b32_e32 v7, v6
	global_store_dwordx4 v[1:2], v[4:7], off
.LBB16_1064:
	s_andn2_b32 vcc_lo, exec_lo, s7
	s_cbranch_vccnz .LBB16_1066
; %bb.1065:
	s_waitcnt vmcnt(0)
	v_mov_b32_e32 v4, 0
	global_store_dwordx2 v[1:2], v[3:4], off
.LBB16_1066:
	s_mov_b32 s7, 0
.LBB16_1067:
	s_andn2_b32 vcc_lo, exec_lo, s7
	s_cbranch_vccnz .LBB16_1069
; %bb.1068:
	s_waitcnt vmcnt(0)
	v_cvt_f16_f32_e32 v0, v3
	v_and_b32_e32 v0, 0xffff, v0
	global_store_dword v[1:2], v0, off
.LBB16_1069:
	s_mov_b32 s7, 0
.LBB16_1070:
	s_andn2_b32 vcc_lo, exec_lo, s7
	s_cbranch_vccnz .LBB16_1079
; %bb.1071:
	s_sext_i32_i16 s8, s6
	s_mov_b32 s7, -1
	s_cmp_lt_i32 s8, 6
	s_cbranch_scc1 .LBB16_1077
; %bb.1072:
	s_cmp_gt_i32 s8, 6
	s_cbranch_scc0 .LBB16_1074
; %bb.1073:
	s_waitcnt vmcnt(0)
	v_cvt_f64_f32_e32 v[4:5], v3
	s_mov_b32 s7, 0
	global_store_dwordx2 v[1:2], v[4:5], off
.LBB16_1074:
	s_andn2_b32 vcc_lo, exec_lo, s7
	s_cbranch_vccnz .LBB16_1076
; %bb.1075:
	s_waitcnt vmcnt(0)
	global_store_dword v[1:2], v3, off
.LBB16_1076:
	s_mov_b32 s7, 0
.LBB16_1077:
	s_andn2_b32 vcc_lo, exec_lo, s7
	s_cbranch_vccnz .LBB16_1079
; %bb.1078:
	s_waitcnt vmcnt(0)
	v_cvt_f16_f32_e32 v0, v3
	global_store_short v[1:2], v0, off
.LBB16_1079:
	s_mov_b32 s7, 0
.LBB16_1080:
	s_andn2_b32 vcc_lo, exec_lo, s7
	s_cbranch_vccnz .LBB16_1096
; %bb.1081:
	s_sext_i32_i16 s8, s6
	s_mov_b32 s7, -1
	s_cmp_lt_i32 s8, 2
	s_cbranch_scc1 .LBB16_1091
; %bb.1082:
	s_cmp_lt_i32 s8, 3
	s_cbranch_scc1 .LBB16_1088
; %bb.1083:
	s_cmp_gt_i32 s8, 3
	s_cbranch_scc0 .LBB16_1085
; %bb.1084:
	s_waitcnt vmcnt(0)
	v_trunc_f32_e32 v0, v3
	s_mov_b32 s7, 0
	v_mul_f32_e64 v4, 0x2f800000, |v0|
	v_floor_f32_e32 v4, v4
	v_fma_f32 v5, 0xcf800000, v4, |v0|
	v_ashrrev_i32_e32 v0, 31, v0
	v_cvt_u32_f32_e32 v4, v4
	v_cvt_u32_f32_e32 v5, v5
	v_xor_b32_e32 v6, v4, v0
	v_xor_b32_e32 v5, v5, v0
	v_sub_co_u32 v4, vcc_lo, v5, v0
	v_sub_co_ci_u32_e64 v5, null, v6, v0, vcc_lo
	global_store_dwordx2 v[1:2], v[4:5], off
.LBB16_1085:
	s_andn2_b32 vcc_lo, exec_lo, s7
	s_cbranch_vccnz .LBB16_1087
; %bb.1086:
	s_waitcnt vmcnt(0)
	v_cvt_i32_f32_e32 v0, v3
	global_store_dword v[1:2], v0, off
.LBB16_1087:
	s_mov_b32 s7, 0
.LBB16_1088:
	s_andn2_b32 vcc_lo, exec_lo, s7
	s_cbranch_vccnz .LBB16_1090
; %bb.1089:
	s_waitcnt vmcnt(0)
	v_cvt_i32_f32_e32 v0, v3
	global_store_short v[1:2], v0, off
.LBB16_1090:
	s_mov_b32 s7, 0
.LBB16_1091:
	s_andn2_b32 vcc_lo, exec_lo, s7
	s_cbranch_vccnz .LBB16_1096
; %bb.1092:
	s_sext_i32_i16 s6, s6
	s_cmp_gt_i32 s6, 0
	s_mov_b32 s6, -1
	s_cbranch_scc0 .LBB16_1094
; %bb.1093:
	s_waitcnt vmcnt(0)
	v_cvt_i32_f32_e32 v0, v3
	s_mov_b32 s6, 0
	global_store_byte v[1:2], v0, off
.LBB16_1094:
	s_andn2_b32 vcc_lo, exec_lo, s6
	s_cbranch_vccnz .LBB16_1096
; %bb.1095:
	s_waitcnt vmcnt(0)
	v_trunc_f32_e32 v0, v3
	v_mul_f32_e64 v3, 0x2f800000, |v0|
	v_floor_f32_e32 v3, v3
	v_fma_f32 v3, 0xcf800000, v3, |v0|
	v_ashrrev_i32_e32 v0, 31, v0
	v_cvt_u32_f32_e32 v3, v3
	v_xor_b32_e32 v3, v3, v0
	v_sub_nc_u32_e32 v0, v3, v0
	global_store_byte v[1:2], v0, off
.LBB16_1096:
	s_or_b32 exec_lo, exec_lo, s0
	s_and_b32 s16, s1, exec_lo
                                        ; implicit-def: $vgpr15
                                        ; implicit-def: $vgpr8
.LBB16_1097:
	s_or_saveexec_b32 s17, s33
	s_mov_b32 s0, 0
                                        ; implicit-def: $vgpr0_vgpr1
                                        ; implicit-def: $sgpr6
                                        ; implicit-def: $vgpr2
	s_xor_b32 exec_lo, exec_lo, s17
	s_cbranch_execz .LBB16_2113
; %bb.1098:
	v_cndmask_b32_e64 v0, 0, 1, s31
	s_andn2_b32 vcc_lo, exec_lo, s31
	s_cbranch_vccnz .LBB16_1104
; %bb.1099:
	s_cmp_lg_u32 s28, 0
	s_mov_b32 s8, 0
	s_cbranch_scc0 .LBB16_1105
; %bb.1100:
	s_min_u32 s10, s29, 15
	s_add_i32 s10, s10, 1
	s_cmp_eq_u32 s29, 2
	s_cbranch_scc1 .LBB16_1106
; %bb.1101:
	v_mov_b32_e32 v13, 0
	v_mov_b32_e32 v6, 0
	;; [unrolled: 1-line block ×3, first 2 shown]
	s_and_b32 s9, s10, 28
	s_add_u32 s0, s2, 0xc4
	s_addc_u32 s1, s3, 0
	s_mov_b32 s11, 0
	s_mov_b64 s[6:7], s[2:3]
.LBB16_1102:                            ; =>This Inner Loop Header: Depth=1
	s_clause 0x1
	s_load_dwordx8 s[20:27], s[6:7], 0x4
	s_load_dwordx4 s[12:15], s[6:7], 0x24
	s_load_dwordx8 s[36:43], s[0:1], 0x0
	s_add_u32 s6, s6, 48
	s_addc_u32 s7, s7, 0
	s_add_i32 s11, s11, 4
	s_add_u32 s0, s0, 32
	s_addc_u32 s1, s1, 0
	s_cmp_lg_u32 s9, s11
	s_waitcnt lgkmcnt(0)
	v_mul_hi_u32 v2, s21, v1
	v_add_nc_u32_e32 v2, v1, v2
	v_lshrrev_b32_e32 v2, s22, v2
	s_waitcnt vmcnt(0)
	v_mul_hi_u32 v3, s24, v2
	v_mul_lo_u32 v5, v2, s20
	v_add_nc_u32_e32 v3, v2, v3
	v_sub_nc_u32_e32 v1, v1, v5
	v_lshrrev_b32_e32 v3, s25, v3
	v_mul_lo_u32 v5, v1, s36
	v_mul_lo_u32 v9, v1, s37
	v_mul_hi_u32 v4, s27, v3
	v_add_nc_u32_e32 v4, v3, v4
	v_lshrrev_b32_e32 v4, s12, v4
	v_mul_hi_u32 v7, s14, v4
	v_mul_lo_u32 v10, v4, s26
	v_add_nc_u32_e32 v1, v4, v7
	v_mul_lo_u32 v7, v3, s23
	v_sub_nc_u32_e32 v3, v3, v10
	v_lshrrev_b32_e32 v1, s15, v1
	v_mul_lo_u32 v10, v3, s40
	v_mul_lo_u32 v3, v3, s41
	v_sub_nc_u32_e32 v2, v2, v7
	v_mul_lo_u32 v11, v1, s13
	v_mul_lo_u32 v7, v2, s38
	;; [unrolled: 1-line block ×3, first 2 shown]
	v_sub_nc_u32_e32 v4, v4, v11
	v_add3_u32 v5, v5, v6, v7
	v_mul_lo_u32 v11, v4, s42
	v_mul_lo_u32 v4, v4, s43
	v_add3_u32 v2, v9, v13, v2
	v_add3_u32 v6, v10, v5, v11
	;; [unrolled: 1-line block ×3, first 2 shown]
	s_cbranch_scc1 .LBB16_1102
; %bb.1103:
	s_and_b32 s10, s10, 3
	s_cmp_eq_u32 s10, 0
	s_cbranch_scc0 .LBB16_1107
	s_branch .LBB16_1109
.LBB16_1104:
	s_mov_b32 s8, -1
                                        ; implicit-def: $vgpr6
                                        ; implicit-def: $vgpr13
	s_branch .LBB16_1109
.LBB16_1105:
	v_mov_b32_e32 v6, 0
	v_mov_b32_e32 v13, 0
	s_branch .LBB16_1109
.LBB16_1106:
	v_mov_b32_e32 v6, 0
	v_mov_b32_e32 v13, 0
	;; [unrolled: 1-line block ×3, first 2 shown]
	s_mov_b32 s9, 0
	s_and_b32 s10, s10, 3
	s_cmp_eq_u32 s10, 0
	s_cbranch_scc1 .LBB16_1109
.LBB16_1107:
	s_lshl_b32 s0, s9, 3
	s_mul_i32 s6, s9, 12
	s_add_u32 s0, s2, s0
	s_addc_u32 s1, s3, 0
	s_add_u32 s0, s0, 0xc4
	s_addc_u32 s1, s1, 0
	;; [unrolled: 2-line block ×3, first 2 shown]
	.p2align	6
.LBB16_1108:                            ; =>This Inner Loop Header: Depth=1
	s_clause 0x1
	s_load_dwordx2 s[12:13], s[6:7], 0x4
	s_load_dword s9, s[6:7], 0xc
	s_load_dwordx2 s[14:15], s[0:1], 0x0
	s_add_u32 s6, s6, 12
	s_addc_u32 s7, s7, 0
	s_add_u32 s0, s0, 8
	s_addc_u32 s1, s1, 0
	s_add_i32 s10, s10, -1
	s_cmp_lg_u32 s10, 0
	s_waitcnt lgkmcnt(0)
	v_mul_hi_u32 v2, s13, v1
	v_add_nc_u32_e32 v2, v1, v2
	v_lshrrev_b32_e32 v2, s9, v2
	s_waitcnt vmcnt(0)
	v_mul_lo_u32 v3, v2, s12
	v_sub_nc_u32_e32 v1, v1, v3
	v_mad_u64_u32 v[6:7], null, v1, s14, v[6:7]
	v_mad_u64_u32 v[13:14], null, v1, s15, v[13:14]
	v_mov_b32_e32 v1, v2
	s_cbranch_scc1 .LBB16_1108
.LBB16_1109:
	s_andn2_b32 vcc_lo, exec_lo, s8
	s_cbranch_vccnz .LBB16_1112
; %bb.1110:
	s_clause 0x1
	s_load_dwordx4 s[8:11], s[2:3], 0x4
	s_load_dwordx2 s[0:1], s[2:3], 0xc4
	s_cmp_lt_u32 s28, 2
	s_waitcnt lgkmcnt(0)
	v_mul_hi_u32 v1, s9, v8
	v_add_nc_u32_e32 v1, v8, v1
	v_lshrrev_b32_e32 v1, s10, v1
	v_mul_lo_u32 v2, v1, s8
	v_sub_nc_u32_e32 v2, v8, v2
	v_mul_lo_u32 v6, v2, s0
	v_mul_lo_u32 v13, v2, s1
	s_cbranch_scc1 .LBB16_1112
; %bb.1111:
	s_clause 0x1
	s_load_dwordx4 s[8:11], s[2:3], 0x10
	s_load_dwordx2 s[0:1], s[2:3], 0xcc
	s_waitcnt lgkmcnt(0)
	v_mul_hi_u32 v2, s9, v1
	v_add_nc_u32_e32 v2, v1, v2
	v_lshrrev_b32_e32 v2, s10, v2
	v_mul_lo_u32 v2, v2, s8
	v_sub_nc_u32_e32 v1, v1, v2
	v_mad_u64_u32 v[6:7], null, v1, s0, v[6:7]
	v_mad_u64_u32 v[13:14], null, v1, s1, v[13:14]
.LBB16_1112:
	v_cmp_ne_u32_e32 vcc_lo, 1, v0
	v_add_nc_u32_e32 v1, 0x80, v8
	s_cbranch_vccnz .LBB16_1118
; %bb.1113:
	s_cmp_lg_u32 s28, 0
	s_mov_b32 s8, 0
	s_cbranch_scc0 .LBB16_1119
; %bb.1114:
	s_min_u32 s10, s29, 15
	s_add_i32 s10, s10, 1
	s_cmp_eq_u32 s29, 2
	s_cbranch_scc1 .LBB16_1120
; %bb.1115:
	v_mov_b32_e32 v11, 0
	s_waitcnt vmcnt(0)
	v_mov_b32_e32 v4, 0
	v_mov_b32_e32 v2, v1
	s_and_b32 s9, s10, 28
	s_add_u32 s0, s2, 0xc4
	s_addc_u32 s1, s3, 0
	s_mov_b32 s11, 0
	s_mov_b64 s[6:7], s[2:3]
.LBB16_1116:                            ; =>This Inner Loop Header: Depth=1
	s_clause 0x1
	s_load_dwordx8 s[20:27], s[6:7], 0x4
	s_load_dwordx4 s[12:15], s[6:7], 0x24
	s_load_dwordx8 s[36:43], s[0:1], 0x0
	s_add_u32 s6, s6, 48
	s_addc_u32 s7, s7, 0
	s_add_i32 s11, s11, 4
	s_add_u32 s0, s0, 32
	s_addc_u32 s1, s1, 0
	s_cmp_lg_u32 s9, s11
	s_waitcnt lgkmcnt(0)
	v_mul_hi_u32 v3, s21, v2
	v_add_nc_u32_e32 v3, v2, v3
	v_lshrrev_b32_e32 v3, s22, v3
	v_mul_hi_u32 v5, s24, v3
	v_mul_lo_u32 v9, v3, s20
	v_add_nc_u32_e32 v5, v3, v5
	v_sub_nc_u32_e32 v2, v2, v9
	v_lshrrev_b32_e32 v5, s25, v5
	v_mul_lo_u32 v9, v2, s36
	v_mul_lo_u32 v12, v2, s37
	v_mul_hi_u32 v7, s27, v5
	v_add_nc_u32_e32 v7, v5, v7
	v_lshrrev_b32_e32 v7, s12, v7
	v_mul_hi_u32 v10, s14, v7
	v_mul_lo_u32 v14, v7, s26
	v_add_nc_u32_e32 v2, v7, v10
	v_mul_lo_u32 v10, v5, s23
	v_sub_nc_u32_e32 v5, v5, v14
	v_lshrrev_b32_e32 v2, s15, v2
	v_mul_lo_u32 v14, v5, s40
	v_mul_lo_u32 v5, v5, s41
	v_sub_nc_u32_e32 v3, v3, v10
	v_mul_lo_u32 v16, v2, s13
	v_mul_lo_u32 v10, v3, s38
	;; [unrolled: 1-line block ×3, first 2 shown]
	v_sub_nc_u32_e32 v7, v7, v16
	v_add3_u32 v4, v9, v4, v10
	v_mul_lo_u32 v16, v7, s42
	v_mul_lo_u32 v7, v7, s43
	v_add3_u32 v3, v12, v11, v3
	v_add3_u32 v4, v14, v4, v16
	;; [unrolled: 1-line block ×3, first 2 shown]
	s_cbranch_scc1 .LBB16_1116
; %bb.1117:
	s_and_b32 s10, s10, 3
	s_cmp_eq_u32 s10, 0
	s_cbranch_scc0 .LBB16_1121
	s_branch .LBB16_1123
.LBB16_1118:
	s_mov_b32 s8, -1
                                        ; implicit-def: $vgpr4
                                        ; implicit-def: $vgpr11
	s_branch .LBB16_1123
.LBB16_1119:
	s_waitcnt vmcnt(0)
	v_mov_b32_e32 v4, 0
	v_mov_b32_e32 v11, 0
	s_branch .LBB16_1123
.LBB16_1120:
	s_waitcnt vmcnt(0)
	v_mov_b32_e32 v4, 0
	v_mov_b32_e32 v11, 0
	;; [unrolled: 1-line block ×3, first 2 shown]
	s_mov_b32 s9, 0
	s_and_b32 s10, s10, 3
	s_cmp_eq_u32 s10, 0
	s_cbranch_scc1 .LBB16_1123
.LBB16_1121:
	s_lshl_b32 s0, s9, 3
	s_mul_i32 s6, s9, 12
	s_add_u32 s0, s2, s0
	s_addc_u32 s1, s3, 0
	s_add_u32 s0, s0, 0xc4
	s_addc_u32 s1, s1, 0
	;; [unrolled: 2-line block ×3, first 2 shown]
	.p2align	6
.LBB16_1122:                            ; =>This Inner Loop Header: Depth=1
	s_clause 0x1
	s_load_dwordx2 s[12:13], s[6:7], 0x4
	s_load_dword s9, s[6:7], 0xc
	s_load_dwordx2 s[14:15], s[0:1], 0x0
	s_add_u32 s6, s6, 12
	s_addc_u32 s7, s7, 0
	s_add_u32 s0, s0, 8
	s_addc_u32 s1, s1, 0
	s_add_i32 s10, s10, -1
	s_cmp_lg_u32 s10, 0
	s_waitcnt lgkmcnt(0)
	v_mul_hi_u32 v3, s13, v2
	v_add_nc_u32_e32 v3, v2, v3
	v_lshrrev_b32_e32 v3, s9, v3
	v_mul_lo_u32 v5, v3, s12
	v_sub_nc_u32_e32 v2, v2, v5
	v_mad_u64_u32 v[4:5], null, v2, s14, v[4:5]
	v_mad_u64_u32 v[11:12], null, v2, s15, v[11:12]
	v_mov_b32_e32 v2, v3
	s_cbranch_scc1 .LBB16_1122
.LBB16_1123:
	s_andn2_b32 vcc_lo, exec_lo, s8
	s_cbranch_vccnz .LBB16_1126
; %bb.1124:
	s_clause 0x1
	s_load_dwordx4 s[8:11], s[2:3], 0x4
	s_load_dwordx2 s[0:1], s[2:3], 0xc4
	s_cmp_lt_u32 s28, 2
	s_waitcnt lgkmcnt(0)
	v_mul_hi_u32 v2, s9, v1
	v_add_nc_u32_e32 v2, v1, v2
	v_lshrrev_b32_e32 v2, s10, v2
	s_waitcnt vmcnt(0)
	v_mul_lo_u32 v3, v2, s8
	v_sub_nc_u32_e32 v1, v1, v3
	v_mul_lo_u32 v4, v1, s0
	v_mul_lo_u32 v11, v1, s1
	s_cbranch_scc1 .LBB16_1126
; %bb.1125:
	s_clause 0x1
	s_load_dwordx4 s[8:11], s[2:3], 0x10
	s_load_dwordx2 s[0:1], s[2:3], 0xcc
	s_waitcnt lgkmcnt(0)
	v_mul_hi_u32 v1, s9, v2
	v_add_nc_u32_e32 v1, v2, v1
	v_lshrrev_b32_e32 v1, s10, v1
	v_mul_lo_u32 v1, v1, s8
	v_sub_nc_u32_e32 v1, v2, v1
	v_mad_u64_u32 v[4:5], null, v1, s0, v[4:5]
	v_mad_u64_u32 v[11:12], null, v1, s1, v[11:12]
.LBB16_1126:
	v_cmp_ne_u32_e32 vcc_lo, 1, v0
	v_add_nc_u32_e32 v1, 0x100, v8
	s_cbranch_vccnz .LBB16_1132
; %bb.1127:
	s_cmp_lg_u32 s28, 0
	s_mov_b32 s8, 0
	s_cbranch_scc0 .LBB16_1133
; %bb.1128:
	s_min_u32 s10, s29, 15
	s_add_i32 s10, s10, 1
	s_cmp_eq_u32 s29, 2
	s_cbranch_scc1 .LBB16_1134
; %bb.1129:
	v_mov_b32_e32 v9, 0
	v_mov_b32_e32 v2, 0
	s_waitcnt vmcnt(0)
	v_mov_b32_e32 v3, v1
	s_and_b32 s9, s10, 28
	s_add_u32 s0, s2, 0xc4
	s_addc_u32 s1, s3, 0
	s_mov_b32 s11, 0
	s_mov_b64 s[6:7], s[2:3]
.LBB16_1130:                            ; =>This Inner Loop Header: Depth=1
	s_clause 0x1
	s_load_dwordx8 s[20:27], s[6:7], 0x4
	s_load_dwordx4 s[12:15], s[6:7], 0x24
	s_load_dwordx8 s[36:43], s[0:1], 0x0
	s_add_u32 s6, s6, 48
	s_addc_u32 s7, s7, 0
	s_add_i32 s11, s11, 4
	s_add_u32 s0, s0, 32
	s_addc_u32 s1, s1, 0
	s_cmp_lg_u32 s9, s11
	s_waitcnt lgkmcnt(0)
	v_mul_hi_u32 v5, s21, v3
	v_add_nc_u32_e32 v5, v3, v5
	v_lshrrev_b32_e32 v5, s22, v5
	v_mul_hi_u32 v7, s24, v5
	v_mul_lo_u32 v10, v5, s20
	v_add_nc_u32_e32 v7, v5, v7
	v_sub_nc_u32_e32 v3, v3, v10
	v_lshrrev_b32_e32 v7, s25, v7
	v_mul_lo_u32 v10, v3, s36
	v_mul_lo_u32 v14, v3, s37
	v_mul_hi_u32 v8, s27, v7
	v_add_nc_u32_e32 v8, v7, v8
	v_lshrrev_b32_e32 v8, s12, v8
	v_mul_hi_u32 v12, s14, v8
	v_mul_lo_u32 v16, v8, s26
	v_add_nc_u32_e32 v3, v8, v12
	v_mul_lo_u32 v12, v7, s23
	v_sub_nc_u32_e32 v7, v7, v16
	v_lshrrev_b32_e32 v3, s15, v3
	v_mul_lo_u32 v16, v7, s40
	v_mul_lo_u32 v7, v7, s41
	v_sub_nc_u32_e32 v5, v5, v12
	v_mul_lo_u32 v17, v3, s13
	v_mul_lo_u32 v12, v5, s38
	;; [unrolled: 1-line block ×3, first 2 shown]
	v_sub_nc_u32_e32 v8, v8, v17
	v_add3_u32 v2, v10, v2, v12
	v_mul_lo_u32 v17, v8, s42
	v_mul_lo_u32 v8, v8, s43
	v_add3_u32 v5, v14, v9, v5
	v_add3_u32 v2, v16, v2, v17
	;; [unrolled: 1-line block ×3, first 2 shown]
	s_cbranch_scc1 .LBB16_1130
; %bb.1131:
	s_and_b32 s10, s10, 3
	s_cmp_eq_u32 s10, 0
	s_cbranch_scc0 .LBB16_1135
	s_branch .LBB16_1137
.LBB16_1132:
	s_mov_b32 s8, -1
                                        ; implicit-def: $vgpr2
                                        ; implicit-def: $vgpr9
	s_branch .LBB16_1137
.LBB16_1133:
	v_mov_b32_e32 v2, 0
	v_mov_b32_e32 v9, 0
	s_branch .LBB16_1137
.LBB16_1134:
	v_mov_b32_e32 v2, 0
	v_mov_b32_e32 v9, 0
	s_waitcnt vmcnt(0)
	v_mov_b32_e32 v3, v1
	s_mov_b32 s9, 0
	s_and_b32 s10, s10, 3
	s_cmp_eq_u32 s10, 0
	s_cbranch_scc1 .LBB16_1137
.LBB16_1135:
	s_lshl_b32 s0, s9, 3
	s_mul_i32 s6, s9, 12
	s_add_u32 s0, s2, s0
	s_addc_u32 s1, s3, 0
	s_add_u32 s0, s0, 0xc4
	s_addc_u32 s1, s1, 0
	;; [unrolled: 2-line block ×3, first 2 shown]
	.p2align	6
.LBB16_1136:                            ; =>This Inner Loop Header: Depth=1
	s_clause 0x1
	s_load_dwordx2 s[12:13], s[6:7], 0x4
	s_load_dword s9, s[6:7], 0xc
	s_load_dwordx2 s[14:15], s[0:1], 0x0
	s_add_u32 s6, s6, 12
	s_addc_u32 s7, s7, 0
	s_add_u32 s0, s0, 8
	s_addc_u32 s1, s1, 0
	s_add_i32 s10, s10, -1
	s_cmp_lg_u32 s10, 0
	s_waitcnt lgkmcnt(0)
	v_mul_hi_u32 v5, s13, v3
	v_add_nc_u32_e32 v5, v3, v5
	v_lshrrev_b32_e32 v5, s9, v5
	v_mul_lo_u32 v7, v5, s12
	v_sub_nc_u32_e32 v7, v3, v7
	v_mad_u64_u32 v[2:3], null, v7, s14, v[2:3]
	v_mad_u64_u32 v[9:10], null, v7, s15, v[9:10]
	v_mov_b32_e32 v3, v5
	s_cbranch_scc1 .LBB16_1136
.LBB16_1137:
	s_andn2_b32 vcc_lo, exec_lo, s8
	s_cbranch_vccnz .LBB16_1140
; %bb.1138:
	s_clause 0x1
	s_load_dwordx4 s[8:11], s[2:3], 0x4
	s_load_dwordx2 s[0:1], s[2:3], 0xc4
	s_cmp_lt_u32 s28, 2
	s_waitcnt lgkmcnt(0)
	v_mul_hi_u32 v2, s9, v1
	v_add_nc_u32_e32 v2, v1, v2
	s_waitcnt vmcnt(0)
	v_lshrrev_b32_e32 v3, s10, v2
	v_mul_lo_u32 v2, v3, s8
	v_sub_nc_u32_e32 v1, v1, v2
	v_mul_lo_u32 v2, v1, s0
	v_mul_lo_u32 v9, v1, s1
	s_cbranch_scc1 .LBB16_1140
; %bb.1139:
	s_clause 0x1
	s_load_dwordx4 s[8:11], s[2:3], 0x10
	s_load_dwordx2 s[0:1], s[2:3], 0xcc
	s_waitcnt lgkmcnt(0)
	v_mul_hi_u32 v1, s9, v3
	v_add_nc_u32_e32 v1, v3, v1
	v_lshrrev_b32_e32 v1, s10, v1
	v_mul_lo_u32 v1, v1, s8
	v_sub_nc_u32_e32 v1, v3, v1
	v_mad_u64_u32 v[2:3], null, v1, s0, v[2:3]
	v_mad_u64_u32 v[9:10], null, v1, s1, v[9:10]
.LBB16_1140:
	v_cmp_ne_u32_e32 vcc_lo, 1, v0
	s_cbranch_vccnz .LBB16_1146
; %bb.1141:
	s_cmp_lg_u32 s28, 0
	s_mov_b32 s8, 0
	s_cbranch_scc0 .LBB16_1147
; %bb.1142:
	s_min_u32 s10, s29, 15
	s_add_i32 s10, s10, 1
	s_cmp_eq_u32 s29, 2
	s_cbranch_scc1 .LBB16_1148
; %bb.1143:
	v_mov_b32_e32 v7, 0
	v_mov_b32_e32 v0, 0
	;; [unrolled: 1-line block ×3, first 2 shown]
	s_and_b32 s9, s10, 28
	s_add_u32 s0, s2, 0xc4
	s_addc_u32 s1, s3, 0
	s_mov_b32 s11, 0
	s_mov_b64 s[6:7], s[2:3]
.LBB16_1144:                            ; =>This Inner Loop Header: Depth=1
	s_clause 0x1
	s_load_dwordx8 s[20:27], s[6:7], 0x4
	s_load_dwordx4 s[12:15], s[6:7], 0x24
	s_load_dwordx8 s[36:43], s[0:1], 0x0
	s_add_u32 s6, s6, 48
	s_addc_u32 s7, s7, 0
	s_add_i32 s11, s11, 4
	s_add_u32 s0, s0, 32
	s_addc_u32 s1, s1, 0
	s_cmp_lg_u32 s9, s11
	s_waitcnt vmcnt(0) lgkmcnt(0)
	v_mul_hi_u32 v3, s21, v1
	v_add_nc_u32_e32 v3, v1, v3
	v_lshrrev_b32_e32 v3, s22, v3
	v_mul_hi_u32 v5, s24, v3
	v_mul_lo_u32 v10, v3, s20
	v_add_nc_u32_e32 v5, v3, v5
	v_sub_nc_u32_e32 v1, v1, v10
	v_lshrrev_b32_e32 v5, s25, v5
	v_mul_lo_u32 v10, v1, s36
	v_mul_lo_u32 v14, v1, s37
	v_mul_hi_u32 v8, s27, v5
	v_add_nc_u32_e32 v8, v5, v8
	v_lshrrev_b32_e32 v8, s12, v8
	v_mul_hi_u32 v12, s14, v8
	v_mul_lo_u32 v16, v8, s26
	v_add_nc_u32_e32 v1, v8, v12
	v_mul_lo_u32 v12, v5, s23
	v_sub_nc_u32_e32 v5, v5, v16
	v_lshrrev_b32_e32 v1, s15, v1
	v_mul_lo_u32 v16, v5, s40
	v_mul_lo_u32 v5, v5, s41
	v_sub_nc_u32_e32 v3, v3, v12
	v_mul_lo_u32 v17, v1, s13
	v_mul_lo_u32 v12, v3, s38
	;; [unrolled: 1-line block ×3, first 2 shown]
	v_sub_nc_u32_e32 v8, v8, v17
	v_add3_u32 v0, v10, v0, v12
	v_mul_lo_u32 v17, v8, s42
	v_mul_lo_u32 v8, v8, s43
	v_add3_u32 v3, v14, v7, v3
	v_add3_u32 v0, v16, v0, v17
	;; [unrolled: 1-line block ×3, first 2 shown]
	s_cbranch_scc1 .LBB16_1144
; %bb.1145:
	s_and_b32 s10, s10, 3
	s_cmp_eq_u32 s10, 0
	s_cbranch_scc0 .LBB16_1149
	s_branch .LBB16_1151
.LBB16_1146:
	s_mov_b32 s8, -1
                                        ; implicit-def: $vgpr0
                                        ; implicit-def: $vgpr7
	s_branch .LBB16_1151
.LBB16_1147:
	v_mov_b32_e32 v0, 0
	v_mov_b32_e32 v7, 0
	s_branch .LBB16_1151
.LBB16_1148:
	v_mov_b32_e32 v0, 0
	v_mov_b32_e32 v7, 0
	;; [unrolled: 1-line block ×3, first 2 shown]
	s_mov_b32 s9, 0
	s_and_b32 s10, s10, 3
	s_cmp_eq_u32 s10, 0
	s_cbranch_scc1 .LBB16_1151
.LBB16_1149:
	s_lshl_b32 s0, s9, 3
	s_mul_i32 s6, s9, 12
	s_add_u32 s0, s2, s0
	s_addc_u32 s1, s3, 0
	s_add_u32 s0, s0, 0xc4
	s_addc_u32 s1, s1, 0
	s_add_u32 s6, s2, s6
	s_addc_u32 s7, s3, 0
	.p2align	6
.LBB16_1150:                            ; =>This Inner Loop Header: Depth=1
	s_clause 0x1
	s_load_dwordx2 s[12:13], s[6:7], 0x4
	s_load_dword s9, s[6:7], 0xc
	s_load_dwordx2 s[14:15], s[0:1], 0x0
	s_add_u32 s6, s6, 12
	s_addc_u32 s7, s7, 0
	s_add_u32 s0, s0, 8
	s_addc_u32 s1, s1, 0
	s_add_i32 s10, s10, -1
	s_cmp_lg_u32 s10, 0
	s_waitcnt vmcnt(0) lgkmcnt(0)
	v_mul_hi_u32 v3, s13, v1
	v_add_nc_u32_e32 v3, v1, v3
	v_lshrrev_b32_e32 v3, s9, v3
	v_mul_lo_u32 v5, v3, s12
	v_sub_nc_u32_e32 v5, v1, v5
	v_mad_u64_u32 v[0:1], null, v5, s14, v[0:1]
	v_mad_u64_u32 v[7:8], null, v5, s15, v[7:8]
	v_mov_b32_e32 v1, v3
	s_cbranch_scc1 .LBB16_1150
.LBB16_1151:
	s_andn2_b32 vcc_lo, exec_lo, s8
	s_cbranch_vccnz .LBB16_1154
; %bb.1152:
	s_clause 0x1
	s_load_dwordx4 s[8:11], s[2:3], 0x4
	s_load_dwordx2 s[0:1], s[2:3], 0xc4
	s_cmp_lt_u32 s28, 2
	s_waitcnt lgkmcnt(0)
	v_mul_hi_u32 v0, s9, v15
	v_add_nc_u32_e32 v0, v15, v0
	v_lshrrev_b32_e32 v1, s10, v0
	v_mul_lo_u32 v0, v1, s8
	s_waitcnt vmcnt(0)
	v_sub_nc_u32_e32 v3, v15, v0
	v_mul_lo_u32 v0, v3, s0
	v_mul_lo_u32 v7, v3, s1
	s_cbranch_scc1 .LBB16_1154
; %bb.1153:
	s_clause 0x1
	s_load_dwordx4 s[8:11], s[2:3], 0x10
	s_load_dwordx2 s[0:1], s[2:3], 0xcc
	s_waitcnt lgkmcnt(0)
	v_mul_hi_u32 v3, s9, v1
	v_add_nc_u32_e32 v3, v1, v3
	v_lshrrev_b32_e32 v3, s10, v3
	v_mul_lo_u32 v3, v3, s8
	v_sub_nc_u32_e32 v3, v1, v3
	v_mad_u64_u32 v[0:1], null, v3, s0, v[0:1]
	v_mad_u64_u32 v[7:8], null, v3, s1, v[7:8]
.LBB16_1154:
	s_clause 0x1
	s_load_dwordx8 s[8:15], s[2:3], 0x148
	s_load_dword s0, s[4:5], 0x170
	s_waitcnt lgkmcnt(0)
	v_add_co_u32 v12, s1, s10, v13
	v_add_co_ci_u32_e64 v13, null, s11, 0, s1
	s_bfe_u32 s4, s0, 0x80008
	s_cmp_lt_i32 s4, 11
	s_cbranch_scc1 .LBB16_1161
; %bb.1155:
	s_and_b32 s1, 0xffff, s4
	s_mov_b32 s6, 0
	s_cmp_gt_i32 s1, 25
	s_cbranch_scc0 .LBB16_1163
; %bb.1156:
	s_cmp_gt_i32 s1, 28
	s_cbranch_scc0 .LBB16_1164
; %bb.1157:
	;; [unrolled: 3-line block ×4, first 2 shown]
	s_cmp_eq_u32 s1, 46
	s_mov_b32 s18, 0
	s_cbranch_scc0 .LBB16_1169
; %bb.1160:
	global_load_dword v1, v[12:13], off
	s_mov_b32 s5, 0
	s_mov_b32 s7, -1
	s_waitcnt vmcnt(0)
	v_lshlrev_b32_e32 v1, 16, v1
	s_branch .LBB16_1171
.LBB16_1161:
	s_mov_b32 s7, 0
	s_mov_b32 s1, s16
                                        ; implicit-def: $vgpr1
	s_cbranch_execnz .LBB16_1234
.LBB16_1162:
	s_andn2_b32 vcc_lo, exec_lo, s7
	s_cbranch_vccz .LBB16_1279
	s_branch .LBB16_2111
.LBB16_1163:
	s_mov_b32 s7, 0
	s_mov_b32 s5, 0
                                        ; implicit-def: $vgpr1
	s_cbranch_execnz .LBB16_1199
	s_branch .LBB16_1230
.LBB16_1164:
	s_mov_b32 s18, -1
	s_mov_b32 s7, 0
	s_mov_b32 s5, 0
                                        ; implicit-def: $vgpr1
	s_branch .LBB16_1180
.LBB16_1165:
	s_mov_b32 s7, 0
	s_mov_b32 s5, 0
                                        ; implicit-def: $vgpr1
	s_cbranch_execnz .LBB16_1176
	s_branch .LBB16_1179
.LBB16_1166:
	s_mov_b32 s18, -1
	s_mov_b32 s7, 0
	s_mov_b32 s5, 0
	s_branch .LBB16_1170
.LBB16_1167:
	s_andn2_saveexec_b32 s11, s11
	s_cbranch_execz .LBB16_1010
.LBB16_1168:
	v_add_f32_e64 v0, 0x46000000, |v3|
	s_andn2_b32 s10, s10, exec_lo
	v_and_b32_e32 v0, 0xff, v0
	v_cmp_ne_u32_e32 vcc_lo, 0, v0
	s_and_b32 s12, vcc_lo, exec_lo
	s_or_b32 s10, s10, s12
	s_or_b32 exec_lo, exec_lo, s11
	v_mov_b32_e32 v4, 0
	s_and_saveexec_b32 s11, s10
	s_cbranch_execnz .LBB16_1011
	s_branch .LBB16_1012
.LBB16_1169:
	s_mov_b32 s5, -1
	s_mov_b32 s7, 0
.LBB16_1170:
                                        ; implicit-def: $vgpr1
.LBB16_1171:
	s_and_b32 vcc_lo, exec_lo, s18
	s_cbranch_vccz .LBB16_1174
; %bb.1172:
	s_cmp_eq_u32 s1, 44
	s_cbranch_scc0 .LBB16_1175
; %bb.1173:
	global_load_ubyte v1, v[12:13], off
	s_mov_b32 s5, 0
	s_mov_b32 s7, -1
	s_waitcnt vmcnt(0)
	v_lshlrev_b32_e32 v3, 23, v1
	v_cmp_ne_u32_e32 vcc_lo, 0xff, v1
	v_cndmask_b32_e32 v3, 0x7f800001, v3, vcc_lo
	v_cmp_ne_u32_e32 vcc_lo, 0, v1
	v_cndmask_b32_e32 v1, 0x400000, v3, vcc_lo
.LBB16_1174:
	s_branch .LBB16_1179
.LBB16_1175:
	s_mov_b32 s5, -1
                                        ; implicit-def: $vgpr1
	s_branch .LBB16_1179
.LBB16_1176:
	s_cmp_eq_u32 s1, 29
	s_cbranch_scc0 .LBB16_1178
; %bb.1177:
	global_load_dwordx2 v[14:15], v[12:13], off
	s_mov_b32 s5, 0
	s_mov_b32 s7, -1
	s_mov_b32 s18, 0
	s_waitcnt vmcnt(0)
	v_ffbh_u32_e32 v1, v15
	v_min_u32_e32 v1, 32, v1
	v_lshlrev_b64 v[14:15], v1, v[14:15]
	v_sub_nc_u32_e32 v1, 32, v1
	v_min_u32_e32 v3, 1, v14
	v_or_b32_e32 v3, v15, v3
	v_cvt_f32_u32_e32 v3, v3
	v_ldexp_f32 v1, v3, v1
	s_branch .LBB16_1180
.LBB16_1178:
	s_mov_b32 s5, -1
                                        ; implicit-def: $vgpr1
.LBB16_1179:
	s_mov_b32 s18, 0
.LBB16_1180:
	s_and_b32 vcc_lo, exec_lo, s18
	s_cbranch_vccz .LBB16_1198
; %bb.1181:
	s_cmp_lt_i32 s1, 27
	s_cbranch_scc1 .LBB16_1184
; %bb.1182:
	s_cmp_gt_i32 s1, 27
	s_cbranch_scc0 .LBB16_1185
; %bb.1183:
	global_load_dword v1, v[12:13], off
	s_mov_b32 s7, 0
	s_waitcnt vmcnt(0)
	v_cvt_f32_u32_e32 v1, v1
	s_branch .LBB16_1186
.LBB16_1184:
	s_mov_b32 s7, -1
                                        ; implicit-def: $vgpr1
	s_branch .LBB16_1189
.LBB16_1185:
	s_mov_b32 s7, -1
                                        ; implicit-def: $vgpr1
.LBB16_1186:
	s_andn2_b32 vcc_lo, exec_lo, s7
	s_cbranch_vccnz .LBB16_1188
; %bb.1187:
	global_load_ushort v1, v[12:13], off
	s_waitcnt vmcnt(0)
	v_cvt_f32_u32_e32 v1, v1
.LBB16_1188:
	s_mov_b32 s7, 0
.LBB16_1189:
	s_andn2_b32 vcc_lo, exec_lo, s7
	s_cbranch_vccnz .LBB16_1197
; %bb.1190:
	global_load_ubyte v3, v[12:13], off
	s_mov_b32 s7, 0
	s_mov_b32 s18, exec_lo
	s_waitcnt vmcnt(0)
	v_cmpx_lt_i16_e32 0x7f, v3
	s_xor_b32 s18, exec_lo, s18
	s_cbranch_execz .LBB16_1210
; %bb.1191:
	s_mov_b32 s7, -1
	s_mov_b32 s19, exec_lo
	v_cmpx_eq_u16_e32 0x80, v3
; %bb.1192:
	s_xor_b32 s7, exec_lo, -1
; %bb.1193:
	s_or_b32 exec_lo, exec_lo, s19
	s_and_b32 s7, s7, exec_lo
	s_or_saveexec_b32 s18, s18
	v_mov_b32_e32 v1, 0x7f800001
	s_xor_b32 exec_lo, exec_lo, s18
	s_cbranch_execnz .LBB16_1211
.LBB16_1194:
	s_or_b32 exec_lo, exec_lo, s18
	s_and_saveexec_b32 s18, s7
	s_cbranch_execz .LBB16_1196
.LBB16_1195:
	v_and_b32_e32 v1, 0xffff, v3
	v_lshlrev_b32_e32 v3, 24, v3
	v_and_b32_e32 v5, 7, v1
	v_bfe_u32 v14, v1, 3, 4
	v_and_b32_e32 v3, 0x80000000, v3
	v_ffbh_u32_e32 v8, v5
	v_cmp_eq_u32_e32 vcc_lo, 0, v14
	v_min_u32_e32 v8, 32, v8
	v_subrev_nc_u32_e32 v10, 28, v8
	v_sub_nc_u32_e32 v8, 29, v8
	v_lshlrev_b32_e32 v1, v10, v1
	v_cndmask_b32_e32 v8, v14, v8, vcc_lo
	v_and_b32_e32 v1, 7, v1
	v_cndmask_b32_e32 v1, v5, v1, vcc_lo
	v_lshl_add_u32 v5, v8, 23, 0x3b800000
	v_lshlrev_b32_e32 v1, 20, v1
	v_or3_b32 v1, v3, v5, v1
.LBB16_1196:
	s_or_b32 exec_lo, exec_lo, s18
.LBB16_1197:
	s_mov_b32 s7, -1
.LBB16_1198:
	s_branch .LBB16_1230
.LBB16_1199:
	s_cmp_gt_i32 s1, 22
	s_cbranch_scc0 .LBB16_1209
; %bb.1200:
	s_cmp_lt_i32 s1, 24
	s_cbranch_scc1 .LBB16_1212
; %bb.1201:
	s_cmp_gt_i32 s1, 24
	s_cbranch_scc0 .LBB16_1213
; %bb.1202:
	global_load_ubyte v3, v[12:13], off
	s_mov_b32 s7, exec_lo
	s_waitcnt vmcnt(0)
	v_cmpx_lt_i16_e32 0x7f, v3
	s_xor_b32 s7, exec_lo, s7
	s_cbranch_execz .LBB16_1224
; %bb.1203:
	s_mov_b32 s6, -1
	s_mov_b32 s18, exec_lo
	v_cmpx_eq_u16_e32 0x80, v3
; %bb.1204:
	s_xor_b32 s6, exec_lo, -1
; %bb.1205:
	s_or_b32 exec_lo, exec_lo, s18
	s_and_b32 s6, s6, exec_lo
	s_or_saveexec_b32 s7, s7
	v_mov_b32_e32 v1, 0x7f800001
	s_xor_b32 exec_lo, exec_lo, s7
	s_cbranch_execnz .LBB16_1225
.LBB16_1206:
	s_or_b32 exec_lo, exec_lo, s7
	s_and_saveexec_b32 s7, s6
	s_cbranch_execz .LBB16_1208
.LBB16_1207:
	v_and_b32_e32 v1, 0xffff, v3
	v_lshlrev_b32_e32 v3, 24, v3
	v_and_b32_e32 v5, 3, v1
	v_bfe_u32 v14, v1, 2, 5
	v_and_b32_e32 v3, 0x80000000, v3
	v_ffbh_u32_e32 v8, v5
	v_cmp_eq_u32_e32 vcc_lo, 0, v14
	v_min_u32_e32 v8, 32, v8
	v_subrev_nc_u32_e32 v10, 29, v8
	v_sub_nc_u32_e32 v8, 30, v8
	v_lshlrev_b32_e32 v1, v10, v1
	v_cndmask_b32_e32 v8, v14, v8, vcc_lo
	v_and_b32_e32 v1, 3, v1
	v_cndmask_b32_e32 v1, v5, v1, vcc_lo
	v_lshl_add_u32 v5, v8, 23, 0x37800000
	v_lshlrev_b32_e32 v1, 21, v1
	v_or3_b32 v1, v3, v5, v1
.LBB16_1208:
	s_or_b32 exec_lo, exec_lo, s7
	s_mov_b32 s6, 0
	s_branch .LBB16_1214
.LBB16_1209:
                                        ; implicit-def: $vgpr1
	s_mov_b32 s6, 0
	s_branch .LBB16_1220
.LBB16_1210:
	s_or_saveexec_b32 s18, s18
	v_mov_b32_e32 v1, 0x7f800001
	s_xor_b32 exec_lo, exec_lo, s18
	s_cbranch_execz .LBB16_1194
.LBB16_1211:
	v_cmp_ne_u16_e32 vcc_lo, 0, v3
	v_mov_b32_e32 v1, 0
	s_andn2_b32 s7, s7, exec_lo
	s_and_b32 s19, vcc_lo, exec_lo
	s_or_b32 s7, s7, s19
	s_or_b32 exec_lo, exec_lo, s18
	s_and_saveexec_b32 s18, s7
	s_cbranch_execnz .LBB16_1195
	s_branch .LBB16_1196
.LBB16_1212:
	s_mov_b32 s6, -1
                                        ; implicit-def: $vgpr1
	s_branch .LBB16_1217
.LBB16_1213:
	s_mov_b32 s6, -1
                                        ; implicit-def: $vgpr1
.LBB16_1214:
	s_and_b32 vcc_lo, exec_lo, s6
	s_cbranch_vccz .LBB16_1216
; %bb.1215:
	global_load_ubyte v1, v[12:13], off
	s_waitcnt vmcnt(0)
	v_lshlrev_b32_e32 v1, 24, v1
	v_and_b32_e32 v3, 0x7f000000, v1
	v_ffbh_u32_e32 v5, v3
	v_add_nc_u32_e32 v10, 0x1000000, v3
	v_cmp_ne_u32_e32 vcc_lo, 0, v3
	v_min_u32_e32 v5, 32, v5
	v_sub_nc_u32_e64 v5, v5, 4 clamp
	v_lshlrev_b32_e32 v8, v5, v3
	v_lshlrev_b32_e32 v5, 23, v5
	v_lshrrev_b32_e32 v8, 4, v8
	v_sub_nc_u32_e32 v5, v8, v5
	v_ashrrev_i32_e32 v8, 8, v10
	v_add_nc_u32_e32 v5, 0x3c000000, v5
	v_and_or_b32 v5, 0x7f800000, v8, v5
	v_cndmask_b32_e32 v3, 0, v5, vcc_lo
	v_and_or_b32 v1, 0x80000000, v1, v3
.LBB16_1216:
	s_mov_b32 s6, 0
.LBB16_1217:
	s_andn2_b32 vcc_lo, exec_lo, s6
	s_cbranch_vccnz .LBB16_1219
; %bb.1218:
	global_load_ubyte v1, v[12:13], off
	s_waitcnt vmcnt(0)
	v_lshlrev_b32_e32 v3, 25, v1
	v_lshlrev_b16 v1, 8, v1
	v_lshrrev_b32_e32 v5, 4, v3
	v_and_or_b32 v8, 0x7f00, v1, 0.5
	v_cmp_gt_u32_e32 vcc_lo, 0x8000000, v3
	v_bfe_i32 v1, v1, 0, 16
	v_or_b32_e32 v5, 0x70000000, v5
	v_add_f32_e32 v8, -0.5, v8
	v_mul_f32_e32 v5, 0x7800000, v5
	v_cndmask_b32_e32 v3, v5, v8, vcc_lo
	v_and_or_b32 v1, 0x80000000, v1, v3
.LBB16_1219:
	s_mov_b32 s7, -1
	s_mov_b32 s6, 0
	s_cbranch_execnz .LBB16_1230
.LBB16_1220:
	s_cmp_gt_i32 s1, 14
	s_cbranch_scc0 .LBB16_1223
; %bb.1221:
	s_cmp_eq_u32 s1, 15
	s_cbranch_scc0 .LBB16_1226
; %bb.1222:
	global_load_ushort v1, v[12:13], off
	s_mov_b32 s5, 0
	s_mov_b32 s7, -1
	s_waitcnt vmcnt(0)
	v_lshlrev_b32_e32 v1, 16, v1
	s_branch .LBB16_1228
.LBB16_1223:
	s_mov_b32 s6, -1
	s_branch .LBB16_1227
.LBB16_1224:
	s_or_saveexec_b32 s7, s7
	v_mov_b32_e32 v1, 0x7f800001
	s_xor_b32 exec_lo, exec_lo, s7
	s_cbranch_execz .LBB16_1206
.LBB16_1225:
	v_cmp_ne_u16_e32 vcc_lo, 0, v3
	v_mov_b32_e32 v1, 0
	s_andn2_b32 s6, s6, exec_lo
	s_and_b32 s18, vcc_lo, exec_lo
	s_or_b32 s6, s6, s18
	s_or_b32 exec_lo, exec_lo, s7
	s_and_saveexec_b32 s7, s6
	s_cbranch_execnz .LBB16_1207
	s_branch .LBB16_1208
.LBB16_1226:
	s_mov_b32 s5, -1
.LBB16_1227:
                                        ; implicit-def: $vgpr1
.LBB16_1228:
	s_and_b32 vcc_lo, exec_lo, s6
	s_mov_b32 s6, 0
	s_cbranch_vccz .LBB16_1230
; %bb.1229:
	s_cmp_lg_u32 s1, 11
	s_mov_b32 s6, -1
	s_cselect_b32 s5, -1, 0
.LBB16_1230:
	s_and_b32 vcc_lo, exec_lo, s5
	s_mov_b32 s1, s16
	s_cbranch_vccnz .LBB16_1293
; %bb.1231:
	s_andn2_b32 vcc_lo, exec_lo, s6
	s_cbranch_vccnz .LBB16_1233
.LBB16_1232:
	global_load_ubyte v1, v[12:13], off
	s_mov_b32 s7, -1
	s_waitcnt vmcnt(0)
	v_cmp_ne_u16_e32 vcc_lo, 0, v1
	v_cndmask_b32_e64 v1, 0, 1.0, vcc_lo
.LBB16_1233:
	s_branch .LBB16_1162
.LBB16_1234:
	s_and_b32 s4, 0xffff, s4
	s_cmp_lt_i32 s4, 5
	s_cbranch_scc1 .LBB16_1239
; %bb.1235:
	s_cmp_lt_i32 s4, 8
	s_cbranch_scc1 .LBB16_1240
; %bb.1236:
	s_cmp_lt_i32 s4, 9
	s_cbranch_scc1 .LBB16_1241
; %bb.1237:
	s_cmp_gt_i32 s4, 9
	s_cbranch_scc0 .LBB16_1242
; %bb.1238:
	global_load_dwordx2 v[14:15], v[12:13], off
	s_mov_b32 s5, 0
	s_waitcnt vmcnt(0)
	v_cvt_f32_f64_e32 v1, v[14:15]
	s_branch .LBB16_1243
.LBB16_1239:
                                        ; implicit-def: $vgpr1
	s_branch .LBB16_1260
.LBB16_1240:
                                        ; implicit-def: $vgpr1
	s_branch .LBB16_1249
.LBB16_1241:
	s_mov_b32 s5, -1
                                        ; implicit-def: $vgpr1
	s_branch .LBB16_1246
.LBB16_1242:
	s_mov_b32 s5, -1
                                        ; implicit-def: $vgpr1
.LBB16_1243:
	s_andn2_b32 vcc_lo, exec_lo, s5
	s_cbranch_vccnz .LBB16_1245
; %bb.1244:
	global_load_dword v1, v[12:13], off
.LBB16_1245:
	s_mov_b32 s5, 0
.LBB16_1246:
	s_andn2_b32 vcc_lo, exec_lo, s5
	s_cbranch_vccnz .LBB16_1248
; %bb.1247:
	global_load_dword v1, v[12:13], off
	s_waitcnt vmcnt(0)
	v_cvt_f32_f16_e32 v1, v1
.LBB16_1248:
	s_cbranch_execnz .LBB16_1259
.LBB16_1249:
	s_cmp_lt_i32 s4, 6
	s_cbranch_scc1 .LBB16_1252
; %bb.1250:
	s_cmp_gt_i32 s4, 6
	s_cbranch_scc0 .LBB16_1253
; %bb.1251:
	global_load_dwordx2 v[14:15], v[12:13], off
	s_mov_b32 s5, 0
	s_waitcnt vmcnt(0)
	v_cvt_f32_f64_e32 v1, v[14:15]
	s_branch .LBB16_1254
.LBB16_1252:
	s_mov_b32 s5, -1
                                        ; implicit-def: $vgpr1
	s_branch .LBB16_1257
.LBB16_1253:
	s_mov_b32 s5, -1
                                        ; implicit-def: $vgpr1
.LBB16_1254:
	s_andn2_b32 vcc_lo, exec_lo, s5
	s_cbranch_vccnz .LBB16_1256
; %bb.1255:
	global_load_dword v1, v[12:13], off
.LBB16_1256:
	s_mov_b32 s5, 0
.LBB16_1257:
	s_andn2_b32 vcc_lo, exec_lo, s5
	s_cbranch_vccnz .LBB16_1259
; %bb.1258:
	global_load_ushort v1, v[12:13], off
	s_waitcnt vmcnt(0)
	v_cvt_f32_f16_e32 v1, v1
.LBB16_1259:
	s_cbranch_execnz .LBB16_1278
.LBB16_1260:
	s_cmp_lt_i32 s4, 2
	s_cbranch_scc1 .LBB16_1264
; %bb.1261:
	s_cmp_lt_i32 s4, 3
	s_cbranch_scc1 .LBB16_1265
; %bb.1262:
	s_cmp_gt_i32 s4, 3
	s_cbranch_scc0 .LBB16_1266
; %bb.1263:
	global_load_dwordx2 v[14:15], v[12:13], off
	s_mov_b32 s5, 0
	s_waitcnt vmcnt(0)
	v_xor_b32_e32 v1, v14, v15
	v_ffbh_i32_e32 v3, v15
	v_ashrrev_i32_e32 v1, 31, v1
	v_add_nc_u32_e32 v3, -1, v3
	v_add_nc_u32_e32 v1, 32, v1
	v_min_u32_e32 v1, v3, v1
	v_lshlrev_b64 v[14:15], v1, v[14:15]
	v_sub_nc_u32_e32 v1, 32, v1
	v_min_u32_e32 v3, 1, v14
	v_or_b32_e32 v3, v15, v3
	v_cvt_f32_i32_e32 v3, v3
	v_ldexp_f32 v1, v3, v1
	s_branch .LBB16_1267
.LBB16_1264:
                                        ; implicit-def: $vgpr1
	s_branch .LBB16_1273
.LBB16_1265:
	s_mov_b32 s5, -1
                                        ; implicit-def: $vgpr1
	s_branch .LBB16_1270
.LBB16_1266:
	s_mov_b32 s5, -1
                                        ; implicit-def: $vgpr1
.LBB16_1267:
	s_andn2_b32 vcc_lo, exec_lo, s5
	s_cbranch_vccnz .LBB16_1269
; %bb.1268:
	global_load_dword v1, v[12:13], off
	s_waitcnt vmcnt(0)
	v_cvt_f32_i32_e32 v1, v1
.LBB16_1269:
	s_mov_b32 s5, 0
.LBB16_1270:
	s_andn2_b32 vcc_lo, exec_lo, s5
	s_cbranch_vccnz .LBB16_1272
; %bb.1271:
	global_load_sshort v1, v[12:13], off
	s_waitcnt vmcnt(0)
	v_cvt_f32_i32_e32 v1, v1
.LBB16_1272:
	s_cbranch_execnz .LBB16_1278
.LBB16_1273:
	s_cmp_gt_i32 s4, 0
	s_mov_b32 s4, 0
	s_cbranch_scc0 .LBB16_1275
; %bb.1274:
	global_load_sbyte v1, v[12:13], off
	s_waitcnt vmcnt(0)
	v_cvt_f32_i32_e32 v1, v1
	s_branch .LBB16_1276
.LBB16_1275:
	s_mov_b32 s4, -1
                                        ; implicit-def: $vgpr1
.LBB16_1276:
	s_andn2_b32 vcc_lo, exec_lo, s4
	s_cbranch_vccnz .LBB16_1278
; %bb.1277:
	global_load_ubyte v1, v[12:13], off
	s_waitcnt vmcnt(0)
	v_cvt_f32_ubyte0_e32 v1, v1
.LBB16_1278:
.LBB16_1279:
	s_mov_b32 s4, exec_lo
	s_waitcnt vmcnt(0)
	v_cmpx_nlg_f32_e64 0x7f800000, |v1|
	s_cbranch_execz .LBB16_1281
; %bb.1280:
	v_mov_b32_e32 v3, 0
	v_mov_b32_e32 v5, 1.0
	global_store_dword v3, v5, s[12:13]
.LBB16_1281:
	s_or_b32 exec_lo, exec_lo, s4
	v_mov_b32_e32 v3, 0
	v_add_co_u32 v10, s4, s10, v11
	s_lshr_b32 s0, s0, 8
	v_add_co_ci_u32_e64 v11, null, s11, 0, s4
	global_load_dword v5, v3, s[14:15]
	s_and_b32 s0, s0, 0xff
	s_cmp_lt_i32 s0, 11
	s_cbranch_scc1 .LBB16_1288
; %bb.1282:
	s_and_b32 s4, 0xffff, s0
	s_mov_b32 s6, 0
	s_cmp_gt_i32 s4, 25
	s_cbranch_scc0 .LBB16_1290
; %bb.1283:
	s_cmp_gt_i32 s4, 28
	s_cbranch_scc0 .LBB16_1291
; %bb.1284:
	;; [unrolled: 3-line block ×4, first 2 shown]
	s_cmp_eq_u32 s4, 46
	s_mov_b32 s18, 0
	s_cbranch_scc0 .LBB16_1297
; %bb.1287:
	global_load_dword v3, v[10:11], off
	s_mov_b32 s5, 0
	s_mov_b32 s7, -1
	s_waitcnt vmcnt(0)
	v_lshlrev_b32_e32 v3, 16, v3
	s_branch .LBB16_1299
.LBB16_1288:
	s_mov_b32 s7, 0
                                        ; implicit-def: $vgpr3
	s_cbranch_execnz .LBB16_1364
.LBB16_1289:
	s_andn2_b32 vcc_lo, exec_lo, s7
	s_cbranch_vccnz .LBB16_2111
	s_branch .LBB16_1411
.LBB16_1290:
	s_mov_b32 s7, 0
	s_mov_b32 s5, 0
                                        ; implicit-def: $vgpr3
	s_cbranch_execnz .LBB16_1328
	s_branch .LBB16_1360
.LBB16_1291:
	s_mov_b32 s18, -1
	s_mov_b32 s7, 0
	s_mov_b32 s5, 0
                                        ; implicit-def: $vgpr3
	s_branch .LBB16_1309
.LBB16_1292:
	s_mov_b32 s18, -1
	s_mov_b32 s7, 0
	s_mov_b32 s5, 0
                                        ; implicit-def: $vgpr3
	s_branch .LBB16_1304
.LBB16_1293:
	s_or_b32 s1, s16, exec_lo
	s_trap 2
	s_cbranch_execz .LBB16_1232
	s_branch .LBB16_1233
.LBB16_1294:
	s_mov_b32 s18, -1
	s_mov_b32 s7, 0
	s_mov_b32 s5, 0
	s_branch .LBB16_1298
.LBB16_1295:
	s_andn2_saveexec_b32 s12, s12
	s_cbranch_execz .LBB16_1022
.LBB16_1296:
	v_add_f32_e64 v0, 0x42800000, |v3|
	s_andn2_b32 s11, s11, exec_lo
	v_and_b32_e32 v0, 0xff, v0
	v_cmp_ne_u32_e32 vcc_lo, 0, v0
	s_and_b32 s13, vcc_lo, exec_lo
	s_or_b32 s11, s11, s13
	s_or_b32 exec_lo, exec_lo, s12
	v_mov_b32_e32 v4, 0
	s_and_saveexec_b32 s12, s11
	s_cbranch_execnz .LBB16_1023
	s_branch .LBB16_1024
.LBB16_1297:
	s_mov_b32 s5, -1
	s_mov_b32 s7, 0
.LBB16_1298:
                                        ; implicit-def: $vgpr3
.LBB16_1299:
	s_and_b32 vcc_lo, exec_lo, s18
	s_cbranch_vccz .LBB16_1303
; %bb.1300:
	s_cmp_eq_u32 s4, 44
	s_cbranch_scc0 .LBB16_1302
; %bb.1301:
	global_load_ubyte v3, v[10:11], off
	s_mov_b32 s5, 0
	s_mov_b32 s7, -1
	s_waitcnt vmcnt(0)
	v_lshlrev_b32_e32 v8, 23, v3
	v_cmp_ne_u32_e32 vcc_lo, 0xff, v3
	v_cndmask_b32_e32 v8, 0x7f800001, v8, vcc_lo
	v_cmp_ne_u32_e32 vcc_lo, 0, v3
	v_cndmask_b32_e32 v3, 0x400000, v8, vcc_lo
	s_branch .LBB16_1303
.LBB16_1302:
	s_mov_b32 s5, -1
                                        ; implicit-def: $vgpr3
.LBB16_1303:
	s_mov_b32 s18, 0
.LBB16_1304:
	s_and_b32 vcc_lo, exec_lo, s18
	s_cbranch_vccz .LBB16_1308
; %bb.1305:
	s_cmp_eq_u32 s4, 29
	s_cbranch_scc0 .LBB16_1307
; %bb.1306:
	global_load_dwordx2 v[12:13], v[10:11], off
	s_mov_b32 s5, 0
	s_mov_b32 s7, -1
	s_mov_b32 s18, 0
	s_waitcnt vmcnt(0)
	v_ffbh_u32_e32 v3, v13
	v_min_u32_e32 v3, 32, v3
	v_lshlrev_b64 v[12:13], v3, v[12:13]
	v_sub_nc_u32_e32 v3, 32, v3
	v_min_u32_e32 v8, 1, v12
	v_or_b32_e32 v8, v13, v8
	v_cvt_f32_u32_e32 v8, v8
	v_ldexp_f32 v3, v8, v3
	s_branch .LBB16_1309
.LBB16_1307:
	s_mov_b32 s5, -1
                                        ; implicit-def: $vgpr3
.LBB16_1308:
	s_mov_b32 s18, 0
.LBB16_1309:
	s_and_b32 vcc_lo, exec_lo, s18
	s_cbranch_vccz .LBB16_1327
; %bb.1310:
	s_cmp_lt_i32 s4, 27
	s_cbranch_scc1 .LBB16_1313
; %bb.1311:
	s_cmp_gt_i32 s4, 27
	s_cbranch_scc0 .LBB16_1314
; %bb.1312:
	global_load_dword v3, v[10:11], off
	s_mov_b32 s7, 0
	s_waitcnt vmcnt(0)
	v_cvt_f32_u32_e32 v3, v3
	s_branch .LBB16_1315
.LBB16_1313:
	s_mov_b32 s7, -1
                                        ; implicit-def: $vgpr3
	s_branch .LBB16_1318
.LBB16_1314:
	s_mov_b32 s7, -1
                                        ; implicit-def: $vgpr3
.LBB16_1315:
	s_andn2_b32 vcc_lo, exec_lo, s7
	s_cbranch_vccnz .LBB16_1317
; %bb.1316:
	global_load_ushort v3, v[10:11], off
	s_waitcnt vmcnt(0)
	v_cvt_f32_u32_e32 v3, v3
.LBB16_1317:
	s_mov_b32 s7, 0
.LBB16_1318:
	s_andn2_b32 vcc_lo, exec_lo, s7
	s_cbranch_vccnz .LBB16_1326
; %bb.1319:
	global_load_ubyte v8, v[10:11], off
	s_mov_b32 s7, 0
	s_mov_b32 s18, exec_lo
	s_waitcnt vmcnt(0)
	v_cmpx_lt_i16_e32 0x7f, v8
	s_xor_b32 s18, exec_lo, s18
	s_cbranch_execz .LBB16_1339
; %bb.1320:
	s_mov_b32 s7, -1
	s_mov_b32 s19, exec_lo
	v_cmpx_eq_u16_e32 0x80, v8
; %bb.1321:
	s_xor_b32 s7, exec_lo, -1
; %bb.1322:
	s_or_b32 exec_lo, exec_lo, s19
	s_and_b32 s7, s7, exec_lo
	s_or_saveexec_b32 s18, s18
	v_mov_b32_e32 v3, 0x7f800001
	s_xor_b32 exec_lo, exec_lo, s18
	s_cbranch_execnz .LBB16_1340
.LBB16_1323:
	s_or_b32 exec_lo, exec_lo, s18
	s_and_saveexec_b32 s18, s7
	s_cbranch_execz .LBB16_1325
.LBB16_1324:
	v_and_b32_e32 v3, 0xffff, v8
	v_lshlrev_b32_e32 v8, 24, v8
	v_and_b32_e32 v12, 7, v3
	v_bfe_u32 v15, v3, 3, 4
	v_and_b32_e32 v8, 0x80000000, v8
	v_ffbh_u32_e32 v13, v12
	v_cmp_eq_u32_e32 vcc_lo, 0, v15
	v_min_u32_e32 v13, 32, v13
	v_subrev_nc_u32_e32 v14, 28, v13
	v_sub_nc_u32_e32 v13, 29, v13
	v_lshlrev_b32_e32 v3, v14, v3
	v_cndmask_b32_e32 v13, v15, v13, vcc_lo
	v_and_b32_e32 v3, 7, v3
	v_cndmask_b32_e32 v3, v12, v3, vcc_lo
	v_lshl_add_u32 v12, v13, 23, 0x3b800000
	v_lshlrev_b32_e32 v3, 20, v3
	v_or3_b32 v3, v8, v12, v3
.LBB16_1325:
	s_or_b32 exec_lo, exec_lo, s18
.LBB16_1326:
	s_mov_b32 s7, -1
.LBB16_1327:
	s_branch .LBB16_1360
.LBB16_1328:
	s_cmp_gt_i32 s4, 22
	s_cbranch_scc0 .LBB16_1338
; %bb.1329:
	s_cmp_lt_i32 s4, 24
	s_cbranch_scc1 .LBB16_1341
; %bb.1330:
	s_cmp_gt_i32 s4, 24
	s_cbranch_scc0 .LBB16_1342
; %bb.1331:
	global_load_ubyte v8, v[10:11], off
	s_mov_b32 s7, exec_lo
	s_waitcnt vmcnt(0)
	v_cmpx_lt_i16_e32 0x7f, v8
	s_xor_b32 s7, exec_lo, s7
	s_cbranch_execz .LBB16_1354
; %bb.1332:
	s_mov_b32 s6, -1
	s_mov_b32 s18, exec_lo
	v_cmpx_eq_u16_e32 0x80, v8
; %bb.1333:
	s_xor_b32 s6, exec_lo, -1
; %bb.1334:
	s_or_b32 exec_lo, exec_lo, s18
	s_and_b32 s6, s6, exec_lo
	s_or_saveexec_b32 s7, s7
	v_mov_b32_e32 v3, 0x7f800001
	s_xor_b32 exec_lo, exec_lo, s7
	s_cbranch_execnz .LBB16_1355
.LBB16_1335:
	s_or_b32 exec_lo, exec_lo, s7
	s_and_saveexec_b32 s7, s6
	s_cbranch_execz .LBB16_1337
.LBB16_1336:
	v_and_b32_e32 v3, 0xffff, v8
	v_lshlrev_b32_e32 v8, 24, v8
	v_and_b32_e32 v12, 3, v3
	v_bfe_u32 v15, v3, 2, 5
	v_and_b32_e32 v8, 0x80000000, v8
	v_ffbh_u32_e32 v13, v12
	v_cmp_eq_u32_e32 vcc_lo, 0, v15
	v_min_u32_e32 v13, 32, v13
	v_subrev_nc_u32_e32 v14, 29, v13
	v_sub_nc_u32_e32 v13, 30, v13
	v_lshlrev_b32_e32 v3, v14, v3
	v_cndmask_b32_e32 v13, v15, v13, vcc_lo
	v_and_b32_e32 v3, 3, v3
	v_cndmask_b32_e32 v3, v12, v3, vcc_lo
	v_lshl_add_u32 v12, v13, 23, 0x37800000
	v_lshlrev_b32_e32 v3, 21, v3
	v_or3_b32 v3, v8, v12, v3
.LBB16_1337:
	s_or_b32 exec_lo, exec_lo, s7
	s_mov_b32 s6, 0
	s_branch .LBB16_1343
.LBB16_1338:
	s_mov_b32 s6, -1
                                        ; implicit-def: $vgpr3
	s_branch .LBB16_1349
.LBB16_1339:
	s_or_saveexec_b32 s18, s18
	v_mov_b32_e32 v3, 0x7f800001
	s_xor_b32 exec_lo, exec_lo, s18
	s_cbranch_execz .LBB16_1323
.LBB16_1340:
	v_cmp_ne_u16_e32 vcc_lo, 0, v8
	v_mov_b32_e32 v3, 0
	s_andn2_b32 s7, s7, exec_lo
	s_and_b32 s19, vcc_lo, exec_lo
	s_or_b32 s7, s7, s19
	s_or_b32 exec_lo, exec_lo, s18
	s_and_saveexec_b32 s18, s7
	s_cbranch_execnz .LBB16_1324
	s_branch .LBB16_1325
.LBB16_1341:
	s_mov_b32 s6, -1
                                        ; implicit-def: $vgpr3
	s_branch .LBB16_1346
.LBB16_1342:
	s_mov_b32 s6, -1
                                        ; implicit-def: $vgpr3
.LBB16_1343:
	s_and_b32 vcc_lo, exec_lo, s6
	s_cbranch_vccz .LBB16_1345
; %bb.1344:
	global_load_ubyte v3, v[10:11], off
	s_waitcnt vmcnt(0)
	v_lshlrev_b32_e32 v3, 24, v3
	v_and_b32_e32 v8, 0x7f000000, v3
	v_ffbh_u32_e32 v12, v8
	v_add_nc_u32_e32 v14, 0x1000000, v8
	v_cmp_ne_u32_e32 vcc_lo, 0, v8
	v_min_u32_e32 v12, 32, v12
	v_sub_nc_u32_e64 v12, v12, 4 clamp
	v_lshlrev_b32_e32 v13, v12, v8
	v_lshlrev_b32_e32 v12, 23, v12
	v_lshrrev_b32_e32 v13, 4, v13
	v_sub_nc_u32_e32 v12, v13, v12
	v_ashrrev_i32_e32 v13, 8, v14
	v_add_nc_u32_e32 v12, 0x3c000000, v12
	v_and_or_b32 v12, 0x7f800000, v13, v12
	v_cndmask_b32_e32 v8, 0, v12, vcc_lo
	v_and_or_b32 v3, 0x80000000, v3, v8
.LBB16_1345:
	s_mov_b32 s6, 0
.LBB16_1346:
	s_andn2_b32 vcc_lo, exec_lo, s6
	s_cbranch_vccnz .LBB16_1348
; %bb.1347:
	global_load_ubyte v3, v[10:11], off
	s_waitcnt vmcnt(0)
	v_lshlrev_b32_e32 v8, 25, v3
	v_lshlrev_b16 v3, 8, v3
	v_lshrrev_b32_e32 v12, 4, v8
	v_and_or_b32 v13, 0x7f00, v3, 0.5
	v_cmp_gt_u32_e32 vcc_lo, 0x8000000, v8
	v_bfe_i32 v3, v3, 0, 16
	v_or_b32_e32 v12, 0x70000000, v12
	v_add_f32_e32 v13, -0.5, v13
	v_mul_f32_e32 v12, 0x7800000, v12
	v_cndmask_b32_e32 v8, v12, v13, vcc_lo
	v_and_or_b32 v3, 0x80000000, v3, v8
.LBB16_1348:
	s_mov_b32 s6, 0
	s_mov_b32 s7, -1
.LBB16_1349:
	s_andn2_b32 vcc_lo, exec_lo, s6
	s_mov_b32 s6, 0
	s_cbranch_vccnz .LBB16_1360
; %bb.1350:
	s_cmp_gt_i32 s4, 14
	s_cbranch_scc0 .LBB16_1353
; %bb.1351:
	s_cmp_eq_u32 s4, 15
	s_cbranch_scc0 .LBB16_1356
; %bb.1352:
	global_load_ushort v3, v[10:11], off
	s_mov_b32 s5, 0
	s_mov_b32 s7, -1
	s_waitcnt vmcnt(0)
	v_lshlrev_b32_e32 v3, 16, v3
	s_branch .LBB16_1358
.LBB16_1353:
	s_mov_b32 s6, -1
	s_branch .LBB16_1357
.LBB16_1354:
	s_or_saveexec_b32 s7, s7
	v_mov_b32_e32 v3, 0x7f800001
	s_xor_b32 exec_lo, exec_lo, s7
	s_cbranch_execz .LBB16_1335
.LBB16_1355:
	v_cmp_ne_u16_e32 vcc_lo, 0, v8
	v_mov_b32_e32 v3, 0
	s_andn2_b32 s6, s6, exec_lo
	s_and_b32 s18, vcc_lo, exec_lo
	s_or_b32 s6, s6, s18
	s_or_b32 exec_lo, exec_lo, s7
	s_and_saveexec_b32 s7, s6
	s_cbranch_execnz .LBB16_1336
	s_branch .LBB16_1337
.LBB16_1356:
	s_mov_b32 s5, -1
.LBB16_1357:
                                        ; implicit-def: $vgpr3
.LBB16_1358:
	s_and_b32 vcc_lo, exec_lo, s6
	s_mov_b32 s6, 0
	s_cbranch_vccz .LBB16_1360
; %bb.1359:
	s_cmp_lg_u32 s4, 11
	s_mov_b32 s6, -1
	s_cselect_b32 s5, -1, 0
.LBB16_1360:
	s_and_b32 vcc_lo, exec_lo, s5
	s_cbranch_vccnz .LBB16_1425
; %bb.1361:
	s_andn2_b32 vcc_lo, exec_lo, s6
	s_cbranch_vccnz .LBB16_1363
.LBB16_1362:
	global_load_ubyte v3, v[10:11], off
	s_mov_b32 s7, -1
	s_waitcnt vmcnt(0)
	v_cmp_ne_u16_e32 vcc_lo, 0, v3
	v_cndmask_b32_e64 v3, 0, 1.0, vcc_lo
.LBB16_1363:
	s_branch .LBB16_1289
.LBB16_1364:
	s_and_b32 s4, 0xffff, s0
	s_cmp_lt_i32 s4, 5
	s_cbranch_scc1 .LBB16_1369
; %bb.1365:
	s_cmp_lt_i32 s4, 8
	s_cbranch_scc1 .LBB16_1370
; %bb.1366:
	;; [unrolled: 3-line block ×3, first 2 shown]
	s_cmp_gt_i32 s4, 9
	s_cbranch_scc0 .LBB16_1372
; %bb.1368:
	global_load_dwordx2 v[12:13], v[10:11], off
	s_mov_b32 s5, 0
	s_waitcnt vmcnt(0)
	v_cvt_f32_f64_e32 v3, v[12:13]
	s_branch .LBB16_1373
.LBB16_1369:
                                        ; implicit-def: $vgpr3
	s_branch .LBB16_1391
.LBB16_1370:
	s_mov_b32 s5, -1
                                        ; implicit-def: $vgpr3
	s_branch .LBB16_1379
.LBB16_1371:
	s_mov_b32 s5, -1
                                        ; implicit-def: $vgpr3
	s_branch .LBB16_1376
.LBB16_1372:
	s_mov_b32 s5, -1
                                        ; implicit-def: $vgpr3
.LBB16_1373:
	s_andn2_b32 vcc_lo, exec_lo, s5
	s_cbranch_vccnz .LBB16_1375
; %bb.1374:
	global_load_dword v3, v[10:11], off
.LBB16_1375:
	s_mov_b32 s5, 0
.LBB16_1376:
	s_andn2_b32 vcc_lo, exec_lo, s5
	s_cbranch_vccnz .LBB16_1378
; %bb.1377:
	global_load_dword v3, v[10:11], off
	s_waitcnt vmcnt(0)
	v_cvt_f32_f16_e32 v3, v3
.LBB16_1378:
	s_mov_b32 s5, 0
.LBB16_1379:
	s_andn2_b32 vcc_lo, exec_lo, s5
	s_cbranch_vccnz .LBB16_1390
; %bb.1380:
	s_cmp_lt_i32 s4, 6
	s_cbranch_scc1 .LBB16_1383
; %bb.1381:
	s_cmp_gt_i32 s4, 6
	s_cbranch_scc0 .LBB16_1384
; %bb.1382:
	global_load_dwordx2 v[12:13], v[10:11], off
	s_mov_b32 s5, 0
	s_waitcnt vmcnt(0)
	v_cvt_f32_f64_e32 v3, v[12:13]
	s_branch .LBB16_1385
.LBB16_1383:
	s_mov_b32 s5, -1
                                        ; implicit-def: $vgpr3
	s_branch .LBB16_1388
.LBB16_1384:
	s_mov_b32 s5, -1
                                        ; implicit-def: $vgpr3
.LBB16_1385:
	s_andn2_b32 vcc_lo, exec_lo, s5
	s_cbranch_vccnz .LBB16_1387
; %bb.1386:
	global_load_dword v3, v[10:11], off
.LBB16_1387:
	s_mov_b32 s5, 0
.LBB16_1388:
	s_andn2_b32 vcc_lo, exec_lo, s5
	s_cbranch_vccnz .LBB16_1390
; %bb.1389:
	global_load_ushort v3, v[10:11], off
	s_waitcnt vmcnt(0)
	v_cvt_f32_f16_e32 v3, v3
.LBB16_1390:
	s_cbranch_execnz .LBB16_1410
.LBB16_1391:
	s_cmp_lt_i32 s4, 2
	s_cbranch_scc1 .LBB16_1395
; %bb.1392:
	s_cmp_lt_i32 s4, 3
	s_cbranch_scc1 .LBB16_1396
; %bb.1393:
	s_cmp_gt_i32 s4, 3
	s_cbranch_scc0 .LBB16_1397
; %bb.1394:
	global_load_dwordx2 v[12:13], v[10:11], off
	s_mov_b32 s5, 0
	s_waitcnt vmcnt(0)
	v_xor_b32_e32 v3, v12, v13
	v_ffbh_i32_e32 v8, v13
	v_ashrrev_i32_e32 v3, 31, v3
	v_add_nc_u32_e32 v8, -1, v8
	v_add_nc_u32_e32 v3, 32, v3
	v_min_u32_e32 v3, v8, v3
	v_lshlrev_b64 v[12:13], v3, v[12:13]
	v_sub_nc_u32_e32 v3, 32, v3
	v_min_u32_e32 v8, 1, v12
	v_or_b32_e32 v8, v13, v8
	v_cvt_f32_i32_e32 v8, v8
	v_ldexp_f32 v3, v8, v3
	s_branch .LBB16_1398
.LBB16_1395:
	s_mov_b32 s5, -1
                                        ; implicit-def: $vgpr3
	s_branch .LBB16_1404
.LBB16_1396:
	s_mov_b32 s5, -1
                                        ; implicit-def: $vgpr3
	s_branch .LBB16_1401
.LBB16_1397:
	s_mov_b32 s5, -1
                                        ; implicit-def: $vgpr3
.LBB16_1398:
	s_andn2_b32 vcc_lo, exec_lo, s5
	s_cbranch_vccnz .LBB16_1400
; %bb.1399:
	global_load_dword v3, v[10:11], off
	s_waitcnt vmcnt(0)
	v_cvt_f32_i32_e32 v3, v3
.LBB16_1400:
	s_mov_b32 s5, 0
.LBB16_1401:
	s_andn2_b32 vcc_lo, exec_lo, s5
	s_cbranch_vccnz .LBB16_1403
; %bb.1402:
	global_load_sshort v3, v[10:11], off
	s_waitcnt vmcnt(0)
	v_cvt_f32_i32_e32 v3, v3
.LBB16_1403:
	s_mov_b32 s5, 0
.LBB16_1404:
	s_andn2_b32 vcc_lo, exec_lo, s5
	s_cbranch_vccnz .LBB16_1410
; %bb.1405:
	s_cmp_gt_i32 s4, 0
	s_mov_b32 s4, 0
	s_cbranch_scc0 .LBB16_1407
; %bb.1406:
	global_load_sbyte v3, v[10:11], off
	s_waitcnt vmcnt(0)
	v_cvt_f32_i32_e32 v3, v3
	s_branch .LBB16_1408
.LBB16_1407:
	s_mov_b32 s4, -1
                                        ; implicit-def: $vgpr3
.LBB16_1408:
	s_andn2_b32 vcc_lo, exec_lo, s4
	s_cbranch_vccnz .LBB16_1410
; %bb.1409:
	global_load_ubyte v3, v[10:11], off
	s_waitcnt vmcnt(0)
	v_cvt_f32_ubyte0_e32 v3, v3
.LBB16_1410:
.LBB16_1411:
	s_waitcnt vmcnt(0)
	v_mov_b32_e32 v11, v5
	s_mov_b32 s4, exec_lo
	v_cmpx_nlg_f32_e64 0x7f800000, |v3|
	s_cbranch_execz .LBB16_1413
; %bb.1412:
	v_mov_b32_e32 v8, 0
	v_mov_b32_e32 v10, 1.0
	global_store_dword v8, v10, s[12:13]
	global_load_dword v11, v8, s[14:15]
.LBB16_1413:
	s_or_b32 exec_lo, exec_lo, s4
	v_add_co_u32 v8, s4, s10, v9
	v_add_co_ci_u32_e64 v9, null, s11, 0, s4
	s_cmp_lt_i32 s0, 11
	s_cbranch_scc1 .LBB16_1420
; %bb.1414:
	s_and_b32 s4, 0xffff, s0
	s_mov_b32 s6, 0
	s_cmp_gt_i32 s4, 25
	s_cbranch_scc0 .LBB16_1422
; %bb.1415:
	s_cmp_gt_i32 s4, 28
	s_cbranch_scc0 .LBB16_1423
; %bb.1416:
	;; [unrolled: 3-line block ×4, first 2 shown]
	s_cmp_eq_u32 s4, 46
	s_mov_b32 s18, 0
	s_cbranch_scc0 .LBB16_1427
; %bb.1419:
	global_load_dword v10, v[8:9], off
	s_mov_b32 s5, 0
	s_mov_b32 s7, -1
	s_waitcnt vmcnt(0)
	v_lshlrev_b32_e32 v10, 16, v10
	s_branch .LBB16_1429
.LBB16_1420:
	s_mov_b32 s7, 0
                                        ; implicit-def: $vgpr10
	s_cbranch_execnz .LBB16_1495
.LBB16_1421:
	s_andn2_b32 vcc_lo, exec_lo, s7
	s_cbranch_vccnz .LBB16_2111
	s_branch .LBB16_1543
.LBB16_1422:
	s_mov_b32 s18, -1
	s_mov_b32 s7, 0
	s_mov_b32 s5, 0
                                        ; implicit-def: $vgpr10
	s_branch .LBB16_1458
.LBB16_1423:
	s_mov_b32 s18, -1
	s_mov_b32 s7, 0
	s_mov_b32 s5, 0
                                        ; implicit-def: $vgpr10
	s_branch .LBB16_1439
.LBB16_1424:
	s_mov_b32 s18, -1
	s_mov_b32 s7, 0
	s_mov_b32 s5, 0
                                        ; implicit-def: $vgpr10
	s_branch .LBB16_1434
.LBB16_1425:
	s_or_b32 s1, s1, exec_lo
	s_trap 2
	s_cbranch_execz .LBB16_1362
	s_branch .LBB16_1363
.LBB16_1426:
	s_mov_b32 s18, -1
	s_mov_b32 s7, 0
	s_mov_b32 s5, 0
	s_branch .LBB16_1428
.LBB16_1427:
	s_mov_b32 s5, -1
	s_mov_b32 s7, 0
.LBB16_1428:
                                        ; implicit-def: $vgpr10
.LBB16_1429:
	s_and_b32 vcc_lo, exec_lo, s18
	s_cbranch_vccz .LBB16_1433
; %bb.1430:
	s_cmp_eq_u32 s4, 44
	s_cbranch_scc0 .LBB16_1432
; %bb.1431:
	global_load_ubyte v10, v[8:9], off
	s_mov_b32 s5, 0
	s_mov_b32 s7, -1
	s_waitcnt vmcnt(0)
	v_lshlrev_b32_e32 v12, 23, v10
	v_cmp_ne_u32_e32 vcc_lo, 0xff, v10
	v_cndmask_b32_e32 v12, 0x7f800001, v12, vcc_lo
	v_cmp_ne_u32_e32 vcc_lo, 0, v10
	v_cndmask_b32_e32 v10, 0x400000, v12, vcc_lo
	s_branch .LBB16_1433
.LBB16_1432:
	s_mov_b32 s5, -1
                                        ; implicit-def: $vgpr10
.LBB16_1433:
	s_mov_b32 s18, 0
.LBB16_1434:
	s_and_b32 vcc_lo, exec_lo, s18
	s_cbranch_vccz .LBB16_1438
; %bb.1435:
	s_cmp_eq_u32 s4, 29
	s_cbranch_scc0 .LBB16_1437
; %bb.1436:
	global_load_dwordx2 v[12:13], v[8:9], off
	s_mov_b32 s5, 0
	s_mov_b32 s7, -1
	s_mov_b32 s18, 0
	s_waitcnt vmcnt(0)
	v_ffbh_u32_e32 v10, v13
	v_min_u32_e32 v10, 32, v10
	v_lshlrev_b64 v[12:13], v10, v[12:13]
	v_sub_nc_u32_e32 v10, 32, v10
	v_min_u32_e32 v12, 1, v12
	v_or_b32_e32 v12, v13, v12
	v_cvt_f32_u32_e32 v12, v12
	v_ldexp_f32 v10, v12, v10
	s_branch .LBB16_1439
.LBB16_1437:
	s_mov_b32 s5, -1
                                        ; implicit-def: $vgpr10
.LBB16_1438:
	s_mov_b32 s18, 0
.LBB16_1439:
	s_and_b32 vcc_lo, exec_lo, s18
	s_cbranch_vccz .LBB16_1457
; %bb.1440:
	s_cmp_lt_i32 s4, 27
	s_cbranch_scc1 .LBB16_1443
; %bb.1441:
	s_cmp_gt_i32 s4, 27
	s_cbranch_scc0 .LBB16_1444
; %bb.1442:
	global_load_dword v10, v[8:9], off
	s_mov_b32 s7, 0
	s_waitcnt vmcnt(0)
	v_cvt_f32_u32_e32 v10, v10
	s_branch .LBB16_1445
.LBB16_1443:
	s_mov_b32 s7, -1
                                        ; implicit-def: $vgpr10
	s_branch .LBB16_1448
.LBB16_1444:
	s_mov_b32 s7, -1
                                        ; implicit-def: $vgpr10
.LBB16_1445:
	s_andn2_b32 vcc_lo, exec_lo, s7
	s_cbranch_vccnz .LBB16_1447
; %bb.1446:
	global_load_ushort v10, v[8:9], off
	s_waitcnt vmcnt(0)
	v_cvt_f32_u32_e32 v10, v10
.LBB16_1447:
	s_mov_b32 s7, 0
.LBB16_1448:
	s_andn2_b32 vcc_lo, exec_lo, s7
	s_cbranch_vccnz .LBB16_1456
; %bb.1449:
	global_load_ubyte v12, v[8:9], off
	s_mov_b32 s7, 0
	s_mov_b32 s18, exec_lo
	s_waitcnt vmcnt(0)
	v_cmpx_lt_i16_e32 0x7f, v12
	s_xor_b32 s18, exec_lo, s18
	s_cbranch_execz .LBB16_1470
; %bb.1450:
	s_mov_b32 s7, -1
	s_mov_b32 s19, exec_lo
	v_cmpx_eq_u16_e32 0x80, v12
; %bb.1451:
	s_xor_b32 s7, exec_lo, -1
; %bb.1452:
	s_or_b32 exec_lo, exec_lo, s19
	s_and_b32 s7, s7, exec_lo
	s_or_saveexec_b32 s18, s18
	v_mov_b32_e32 v10, 0x7f800001
	s_xor_b32 exec_lo, exec_lo, s18
	s_cbranch_execnz .LBB16_1471
.LBB16_1453:
	s_or_b32 exec_lo, exec_lo, s18
	s_and_saveexec_b32 s18, s7
	s_cbranch_execz .LBB16_1455
.LBB16_1454:
	v_and_b32_e32 v10, 0xffff, v12
	v_lshlrev_b32_e32 v12, 24, v12
	v_and_b32_e32 v13, 7, v10
	v_bfe_u32 v16, v10, 3, 4
	v_and_b32_e32 v12, 0x80000000, v12
	v_ffbh_u32_e32 v14, v13
	v_cmp_eq_u32_e32 vcc_lo, 0, v16
	v_min_u32_e32 v14, 32, v14
	v_subrev_nc_u32_e32 v15, 28, v14
	v_sub_nc_u32_e32 v14, 29, v14
	v_lshlrev_b32_e32 v10, v15, v10
	v_cndmask_b32_e32 v14, v16, v14, vcc_lo
	v_and_b32_e32 v10, 7, v10
	v_cndmask_b32_e32 v10, v13, v10, vcc_lo
	v_lshl_add_u32 v13, v14, 23, 0x3b800000
	v_lshlrev_b32_e32 v10, 20, v10
	v_or3_b32 v10, v12, v13, v10
.LBB16_1455:
	s_or_b32 exec_lo, exec_lo, s18
.LBB16_1456:
	s_mov_b32 s7, -1
.LBB16_1457:
	s_mov_b32 s18, 0
.LBB16_1458:
	s_and_b32 vcc_lo, exec_lo, s18
	s_cbranch_vccz .LBB16_1491
; %bb.1459:
	s_cmp_gt_i32 s4, 22
	s_cbranch_scc0 .LBB16_1469
; %bb.1460:
	s_cmp_lt_i32 s4, 24
	s_cbranch_scc1 .LBB16_1472
; %bb.1461:
	s_cmp_gt_i32 s4, 24
	s_cbranch_scc0 .LBB16_1473
; %bb.1462:
	global_load_ubyte v12, v[8:9], off
	s_mov_b32 s7, exec_lo
	s_waitcnt vmcnt(0)
	v_cmpx_lt_i16_e32 0x7f, v12
	s_xor_b32 s7, exec_lo, s7
	s_cbranch_execz .LBB16_1485
; %bb.1463:
	s_mov_b32 s6, -1
	s_mov_b32 s18, exec_lo
	v_cmpx_eq_u16_e32 0x80, v12
; %bb.1464:
	s_xor_b32 s6, exec_lo, -1
; %bb.1465:
	s_or_b32 exec_lo, exec_lo, s18
	s_and_b32 s6, s6, exec_lo
	s_or_saveexec_b32 s7, s7
	v_mov_b32_e32 v10, 0x7f800001
	s_xor_b32 exec_lo, exec_lo, s7
	s_cbranch_execnz .LBB16_1486
.LBB16_1466:
	s_or_b32 exec_lo, exec_lo, s7
	s_and_saveexec_b32 s7, s6
	s_cbranch_execz .LBB16_1468
.LBB16_1467:
	v_and_b32_e32 v10, 0xffff, v12
	v_lshlrev_b32_e32 v12, 24, v12
	v_and_b32_e32 v13, 3, v10
	v_bfe_u32 v16, v10, 2, 5
	v_and_b32_e32 v12, 0x80000000, v12
	v_ffbh_u32_e32 v14, v13
	v_cmp_eq_u32_e32 vcc_lo, 0, v16
	v_min_u32_e32 v14, 32, v14
	v_subrev_nc_u32_e32 v15, 29, v14
	v_sub_nc_u32_e32 v14, 30, v14
	v_lshlrev_b32_e32 v10, v15, v10
	v_cndmask_b32_e32 v14, v16, v14, vcc_lo
	v_and_b32_e32 v10, 3, v10
	v_cndmask_b32_e32 v10, v13, v10, vcc_lo
	v_lshl_add_u32 v13, v14, 23, 0x37800000
	v_lshlrev_b32_e32 v10, 21, v10
	v_or3_b32 v10, v12, v13, v10
.LBB16_1468:
	s_or_b32 exec_lo, exec_lo, s7
	s_mov_b32 s6, 0
	s_branch .LBB16_1474
.LBB16_1469:
	s_mov_b32 s6, -1
                                        ; implicit-def: $vgpr10
	s_branch .LBB16_1480
.LBB16_1470:
	s_or_saveexec_b32 s18, s18
	v_mov_b32_e32 v10, 0x7f800001
	s_xor_b32 exec_lo, exec_lo, s18
	s_cbranch_execz .LBB16_1453
.LBB16_1471:
	v_cmp_ne_u16_e32 vcc_lo, 0, v12
	v_mov_b32_e32 v10, 0
	s_andn2_b32 s7, s7, exec_lo
	s_and_b32 s19, vcc_lo, exec_lo
	s_or_b32 s7, s7, s19
	s_or_b32 exec_lo, exec_lo, s18
	s_and_saveexec_b32 s18, s7
	s_cbranch_execnz .LBB16_1454
	s_branch .LBB16_1455
.LBB16_1472:
	s_mov_b32 s6, -1
                                        ; implicit-def: $vgpr10
	s_branch .LBB16_1477
.LBB16_1473:
	s_mov_b32 s6, -1
                                        ; implicit-def: $vgpr10
.LBB16_1474:
	s_and_b32 vcc_lo, exec_lo, s6
	s_cbranch_vccz .LBB16_1476
; %bb.1475:
	global_load_ubyte v10, v[8:9], off
	s_waitcnt vmcnt(0)
	v_lshlrev_b32_e32 v10, 24, v10
	v_and_b32_e32 v12, 0x7f000000, v10
	v_ffbh_u32_e32 v13, v12
	v_add_nc_u32_e32 v15, 0x1000000, v12
	v_cmp_ne_u32_e32 vcc_lo, 0, v12
	v_min_u32_e32 v13, 32, v13
	v_sub_nc_u32_e64 v13, v13, 4 clamp
	v_lshlrev_b32_e32 v14, v13, v12
	v_lshlrev_b32_e32 v13, 23, v13
	v_lshrrev_b32_e32 v14, 4, v14
	v_sub_nc_u32_e32 v13, v14, v13
	v_ashrrev_i32_e32 v14, 8, v15
	v_add_nc_u32_e32 v13, 0x3c000000, v13
	v_and_or_b32 v13, 0x7f800000, v14, v13
	v_cndmask_b32_e32 v12, 0, v13, vcc_lo
	v_and_or_b32 v10, 0x80000000, v10, v12
.LBB16_1476:
	s_mov_b32 s6, 0
.LBB16_1477:
	s_andn2_b32 vcc_lo, exec_lo, s6
	s_cbranch_vccnz .LBB16_1479
; %bb.1478:
	global_load_ubyte v10, v[8:9], off
	s_waitcnt vmcnt(0)
	v_lshlrev_b32_e32 v12, 25, v10
	v_lshlrev_b16 v10, 8, v10
	v_lshrrev_b32_e32 v13, 4, v12
	v_and_or_b32 v14, 0x7f00, v10, 0.5
	v_cmp_gt_u32_e32 vcc_lo, 0x8000000, v12
	v_bfe_i32 v10, v10, 0, 16
	v_or_b32_e32 v13, 0x70000000, v13
	v_add_f32_e32 v14, -0.5, v14
	v_mul_f32_e32 v13, 0x7800000, v13
	v_cndmask_b32_e32 v12, v13, v14, vcc_lo
	v_and_or_b32 v10, 0x80000000, v10, v12
.LBB16_1479:
	s_mov_b32 s6, 0
	s_mov_b32 s7, -1
.LBB16_1480:
	s_andn2_b32 vcc_lo, exec_lo, s6
	s_mov_b32 s6, 0
	s_cbranch_vccnz .LBB16_1491
; %bb.1481:
	s_cmp_gt_i32 s4, 14
	s_cbranch_scc0 .LBB16_1484
; %bb.1482:
	s_cmp_eq_u32 s4, 15
	s_cbranch_scc0 .LBB16_1487
; %bb.1483:
	global_load_ushort v10, v[8:9], off
	s_mov_b32 s5, 0
	s_mov_b32 s7, -1
	s_waitcnt vmcnt(0)
	v_lshlrev_b32_e32 v10, 16, v10
	s_branch .LBB16_1489
.LBB16_1484:
	s_mov_b32 s6, -1
	s_branch .LBB16_1488
.LBB16_1485:
	s_or_saveexec_b32 s7, s7
	v_mov_b32_e32 v10, 0x7f800001
	s_xor_b32 exec_lo, exec_lo, s7
	s_cbranch_execz .LBB16_1466
.LBB16_1486:
	v_cmp_ne_u16_e32 vcc_lo, 0, v12
	v_mov_b32_e32 v10, 0
	s_andn2_b32 s6, s6, exec_lo
	s_and_b32 s18, vcc_lo, exec_lo
	s_or_b32 s6, s6, s18
	s_or_b32 exec_lo, exec_lo, s7
	s_and_saveexec_b32 s7, s6
	s_cbranch_execnz .LBB16_1467
	s_branch .LBB16_1468
.LBB16_1487:
	s_mov_b32 s5, -1
.LBB16_1488:
                                        ; implicit-def: $vgpr10
.LBB16_1489:
	s_and_b32 vcc_lo, exec_lo, s6
	s_mov_b32 s6, 0
	s_cbranch_vccz .LBB16_1491
; %bb.1490:
	s_cmp_lg_u32 s4, 11
	s_mov_b32 s6, -1
	s_cselect_b32 s5, -1, 0
.LBB16_1491:
	s_and_b32 vcc_lo, exec_lo, s5
	s_cbranch_vccnz .LBB16_1556
; %bb.1492:
	s_andn2_b32 vcc_lo, exec_lo, s6
	s_cbranch_vccnz .LBB16_1494
.LBB16_1493:
	global_load_ubyte v10, v[8:9], off
	s_mov_b32 s7, -1
	s_waitcnt vmcnt(0)
	v_cmp_ne_u16_e32 vcc_lo, 0, v10
	v_cndmask_b32_e64 v10, 0, 1.0, vcc_lo
.LBB16_1494:
	s_branch .LBB16_1421
.LBB16_1495:
	s_and_b32 s4, 0xffff, s0
	s_cmp_lt_i32 s4, 5
	s_cbranch_scc1 .LBB16_1500
; %bb.1496:
	s_cmp_lt_i32 s4, 8
	s_cbranch_scc1 .LBB16_1501
; %bb.1497:
	;; [unrolled: 3-line block ×3, first 2 shown]
	s_cmp_gt_i32 s4, 9
	s_cbranch_scc0 .LBB16_1503
; %bb.1499:
	global_load_dwordx2 v[12:13], v[8:9], off
	s_mov_b32 s5, 0
	s_waitcnt vmcnt(0)
	v_cvt_f32_f64_e32 v10, v[12:13]
	s_branch .LBB16_1504
.LBB16_1500:
	s_mov_b32 s5, -1
                                        ; implicit-def: $vgpr10
	s_branch .LBB16_1522
.LBB16_1501:
	s_mov_b32 s5, -1
                                        ; implicit-def: $vgpr10
	s_branch .LBB16_1510
.LBB16_1502:
	s_mov_b32 s5, -1
                                        ; implicit-def: $vgpr10
	s_branch .LBB16_1507
.LBB16_1503:
	s_mov_b32 s5, -1
                                        ; implicit-def: $vgpr10
.LBB16_1504:
	s_andn2_b32 vcc_lo, exec_lo, s5
	s_cbranch_vccnz .LBB16_1506
; %bb.1505:
	global_load_dword v10, v[8:9], off
.LBB16_1506:
	s_mov_b32 s5, 0
.LBB16_1507:
	s_andn2_b32 vcc_lo, exec_lo, s5
	s_cbranch_vccnz .LBB16_1509
; %bb.1508:
	global_load_dword v10, v[8:9], off
	s_waitcnt vmcnt(0)
	v_cvt_f32_f16_e32 v10, v10
.LBB16_1509:
	s_mov_b32 s5, 0
.LBB16_1510:
	s_andn2_b32 vcc_lo, exec_lo, s5
	s_cbranch_vccnz .LBB16_1521
; %bb.1511:
	s_cmp_lt_i32 s4, 6
	s_cbranch_scc1 .LBB16_1514
; %bb.1512:
	s_cmp_gt_i32 s4, 6
	s_cbranch_scc0 .LBB16_1515
; %bb.1513:
	global_load_dwordx2 v[12:13], v[8:9], off
	s_mov_b32 s5, 0
	s_waitcnt vmcnt(0)
	v_cvt_f32_f64_e32 v10, v[12:13]
	s_branch .LBB16_1516
.LBB16_1514:
	s_mov_b32 s5, -1
                                        ; implicit-def: $vgpr10
	s_branch .LBB16_1519
.LBB16_1515:
	s_mov_b32 s5, -1
                                        ; implicit-def: $vgpr10
.LBB16_1516:
	s_andn2_b32 vcc_lo, exec_lo, s5
	s_cbranch_vccnz .LBB16_1518
; %bb.1517:
	global_load_dword v10, v[8:9], off
.LBB16_1518:
	s_mov_b32 s5, 0
.LBB16_1519:
	s_andn2_b32 vcc_lo, exec_lo, s5
	s_cbranch_vccnz .LBB16_1521
; %bb.1520:
	global_load_ushort v10, v[8:9], off
	s_waitcnt vmcnt(0)
	v_cvt_f32_f16_e32 v10, v10
.LBB16_1521:
	s_mov_b32 s5, 0
.LBB16_1522:
	s_andn2_b32 vcc_lo, exec_lo, s5
	s_cbranch_vccnz .LBB16_1542
; %bb.1523:
	s_cmp_lt_i32 s4, 2
	s_cbranch_scc1 .LBB16_1527
; %bb.1524:
	s_cmp_lt_i32 s4, 3
	s_cbranch_scc1 .LBB16_1528
; %bb.1525:
	s_cmp_gt_i32 s4, 3
	s_cbranch_scc0 .LBB16_1529
; %bb.1526:
	global_load_dwordx2 v[12:13], v[8:9], off
	s_mov_b32 s5, 0
	s_waitcnt vmcnt(0)
	v_xor_b32_e32 v10, v12, v13
	v_ffbh_i32_e32 v14, v13
	v_ashrrev_i32_e32 v10, 31, v10
	v_add_nc_u32_e32 v14, -1, v14
	v_add_nc_u32_e32 v10, 32, v10
	v_min_u32_e32 v10, v14, v10
	v_lshlrev_b64 v[12:13], v10, v[12:13]
	v_sub_nc_u32_e32 v10, 32, v10
	v_min_u32_e32 v12, 1, v12
	v_or_b32_e32 v12, v13, v12
	v_cvt_f32_i32_e32 v12, v12
	v_ldexp_f32 v10, v12, v10
	s_branch .LBB16_1530
.LBB16_1527:
	s_mov_b32 s5, -1
                                        ; implicit-def: $vgpr10
	s_branch .LBB16_1536
.LBB16_1528:
	s_mov_b32 s5, -1
                                        ; implicit-def: $vgpr10
	s_branch .LBB16_1533
.LBB16_1529:
	s_mov_b32 s5, -1
                                        ; implicit-def: $vgpr10
.LBB16_1530:
	s_andn2_b32 vcc_lo, exec_lo, s5
	s_cbranch_vccnz .LBB16_1532
; %bb.1531:
	global_load_dword v10, v[8:9], off
	s_waitcnt vmcnt(0)
	v_cvt_f32_i32_e32 v10, v10
.LBB16_1532:
	s_mov_b32 s5, 0
.LBB16_1533:
	s_andn2_b32 vcc_lo, exec_lo, s5
	s_cbranch_vccnz .LBB16_1535
; %bb.1534:
	global_load_sshort v10, v[8:9], off
	s_waitcnt vmcnt(0)
	v_cvt_f32_i32_e32 v10, v10
.LBB16_1535:
	s_mov_b32 s5, 0
.LBB16_1536:
	s_andn2_b32 vcc_lo, exec_lo, s5
	s_cbranch_vccnz .LBB16_1542
; %bb.1537:
	s_cmp_gt_i32 s4, 0
	s_mov_b32 s4, 0
	s_cbranch_scc0 .LBB16_1539
; %bb.1538:
	global_load_sbyte v10, v[8:9], off
	s_waitcnt vmcnt(0)
	v_cvt_f32_i32_e32 v10, v10
	s_branch .LBB16_1540
.LBB16_1539:
	s_mov_b32 s4, -1
                                        ; implicit-def: $vgpr10
.LBB16_1540:
	s_andn2_b32 vcc_lo, exec_lo, s4
	s_cbranch_vccnz .LBB16_1542
; %bb.1541:
	global_load_ubyte v8, v[8:9], off
	s_waitcnt vmcnt(0)
	v_cvt_f32_ubyte0_e32 v10, v8
.LBB16_1542:
.LBB16_1543:
	s_waitcnt vmcnt(0)
	v_mov_b32_e32 v12, v11
	s_mov_b32 s4, exec_lo
	v_cmpx_nlg_f32_e64 0x7f800000, |v10|
	s_cbranch_execz .LBB16_1545
; %bb.1544:
	v_mov_b32_e32 v8, 0
	v_mov_b32_e32 v9, 1.0
	global_store_dword v8, v9, s[12:13]
	global_load_dword v12, v8, s[14:15]
.LBB16_1545:
	s_or_b32 exec_lo, exec_lo, s4
	v_add_co_u32 v7, s4, s10, v7
	v_add_co_ci_u32_e64 v8, null, s11, 0, s4
	s_cmp_lt_i32 s0, 11
	s_cbranch_scc1 .LBB16_1552
; %bb.1546:
	s_and_b32 s4, 0xffff, s0
	s_mov_b32 s6, 0
	s_cmp_gt_i32 s4, 25
	s_cbranch_scc0 .LBB16_1553
; %bb.1547:
	s_cmp_gt_i32 s4, 28
	s_cbranch_scc0 .LBB16_1554
; %bb.1548:
	;; [unrolled: 3-line block ×4, first 2 shown]
	s_cmp_eq_u32 s4, 46
	s_mov_b32 s10, 0
	s_cbranch_scc0 .LBB16_1558
; %bb.1551:
	global_load_dword v9, v[7:8], off
	s_mov_b32 s5, 0
	s_mov_b32 s7, -1
	s_waitcnt vmcnt(0)
	v_lshlrev_b32_e32 v9, 16, v9
	s_branch .LBB16_1560
.LBB16_1552:
	s_mov_b32 s4, -1
	s_mov_b32 s7, 0
                                        ; implicit-def: $vgpr9
	s_branch .LBB16_1626
.LBB16_1553:
	s_mov_b32 s10, -1
	s_mov_b32 s7, 0
	s_mov_b32 s5, 0
                                        ; implicit-def: $vgpr9
	s_branch .LBB16_1589
.LBB16_1554:
	s_mov_b32 s10, -1
	s_mov_b32 s7, 0
	s_mov_b32 s5, 0
                                        ; implicit-def: $vgpr9
	s_branch .LBB16_1570
.LBB16_1555:
	s_mov_b32 s10, -1
	s_mov_b32 s7, 0
	s_mov_b32 s5, 0
                                        ; implicit-def: $vgpr9
	s_branch .LBB16_1565
.LBB16_1556:
	s_or_b32 s1, s1, exec_lo
	s_trap 2
	s_cbranch_execz .LBB16_1493
	s_branch .LBB16_1494
.LBB16_1557:
	s_mov_b32 s10, -1
	s_mov_b32 s7, 0
	s_mov_b32 s5, 0
	s_branch .LBB16_1559
.LBB16_1558:
	s_mov_b32 s5, -1
	s_mov_b32 s7, 0
.LBB16_1559:
                                        ; implicit-def: $vgpr9
.LBB16_1560:
	s_and_b32 vcc_lo, exec_lo, s10
	s_cbranch_vccz .LBB16_1564
; %bb.1561:
	s_cmp_eq_u32 s4, 44
	s_cbranch_scc0 .LBB16_1563
; %bb.1562:
	global_load_ubyte v9, v[7:8], off
	s_mov_b32 s5, 0
	s_mov_b32 s7, -1
	s_waitcnt vmcnt(0)
	v_lshlrev_b32_e32 v13, 23, v9
	v_cmp_ne_u32_e32 vcc_lo, 0xff, v9
	v_cndmask_b32_e32 v13, 0x7f800001, v13, vcc_lo
	v_cmp_ne_u32_e32 vcc_lo, 0, v9
	v_cndmask_b32_e32 v9, 0x400000, v13, vcc_lo
	s_branch .LBB16_1564
.LBB16_1563:
	s_mov_b32 s5, -1
                                        ; implicit-def: $vgpr9
.LBB16_1564:
	s_mov_b32 s10, 0
.LBB16_1565:
	s_and_b32 vcc_lo, exec_lo, s10
	s_cbranch_vccz .LBB16_1569
; %bb.1566:
	s_cmp_eq_u32 s4, 29
	s_cbranch_scc0 .LBB16_1568
; %bb.1567:
	global_load_dwordx2 v[13:14], v[7:8], off
	s_mov_b32 s5, 0
	s_mov_b32 s7, -1
	s_mov_b32 s10, 0
	s_waitcnt vmcnt(0)
	v_ffbh_u32_e32 v9, v14
	v_min_u32_e32 v9, 32, v9
	v_lshlrev_b64 v[13:14], v9, v[13:14]
	v_sub_nc_u32_e32 v9, 32, v9
	v_min_u32_e32 v13, 1, v13
	v_or_b32_e32 v13, v14, v13
	v_cvt_f32_u32_e32 v13, v13
	v_ldexp_f32 v9, v13, v9
	s_branch .LBB16_1570
.LBB16_1568:
	s_mov_b32 s5, -1
                                        ; implicit-def: $vgpr9
.LBB16_1569:
	s_mov_b32 s10, 0
.LBB16_1570:
	s_and_b32 vcc_lo, exec_lo, s10
	s_cbranch_vccz .LBB16_1588
; %bb.1571:
	s_cmp_lt_i32 s4, 27
	s_cbranch_scc1 .LBB16_1574
; %bb.1572:
	s_cmp_gt_i32 s4, 27
	s_cbranch_scc0 .LBB16_1575
; %bb.1573:
	global_load_dword v9, v[7:8], off
	s_mov_b32 s7, 0
	s_waitcnt vmcnt(0)
	v_cvt_f32_u32_e32 v9, v9
	s_branch .LBB16_1576
.LBB16_1574:
	s_mov_b32 s7, -1
                                        ; implicit-def: $vgpr9
	s_branch .LBB16_1579
.LBB16_1575:
	s_mov_b32 s7, -1
                                        ; implicit-def: $vgpr9
.LBB16_1576:
	s_andn2_b32 vcc_lo, exec_lo, s7
	s_cbranch_vccnz .LBB16_1578
; %bb.1577:
	global_load_ushort v9, v[7:8], off
	s_waitcnt vmcnt(0)
	v_cvt_f32_u32_e32 v9, v9
.LBB16_1578:
	s_mov_b32 s7, 0
.LBB16_1579:
	s_andn2_b32 vcc_lo, exec_lo, s7
	s_cbranch_vccnz .LBB16_1587
; %bb.1580:
	global_load_ubyte v13, v[7:8], off
	s_mov_b32 s7, 0
	s_mov_b32 s10, exec_lo
	s_waitcnt vmcnt(0)
	v_cmpx_lt_i16_e32 0x7f, v13
	s_xor_b32 s10, exec_lo, s10
	s_cbranch_execz .LBB16_1601
; %bb.1581:
	s_mov_b32 s7, -1
	s_mov_b32 s11, exec_lo
	v_cmpx_eq_u16_e32 0x80, v13
; %bb.1582:
	s_xor_b32 s7, exec_lo, -1
; %bb.1583:
	s_or_b32 exec_lo, exec_lo, s11
	s_and_b32 s7, s7, exec_lo
	s_or_saveexec_b32 s10, s10
	v_mov_b32_e32 v9, 0x7f800001
	s_xor_b32 exec_lo, exec_lo, s10
	s_cbranch_execnz .LBB16_1602
.LBB16_1584:
	s_or_b32 exec_lo, exec_lo, s10
	s_and_saveexec_b32 s10, s7
	s_cbranch_execz .LBB16_1586
.LBB16_1585:
	v_and_b32_e32 v9, 0xffff, v13
	v_lshlrev_b32_e32 v13, 24, v13
	v_and_b32_e32 v14, 7, v9
	v_bfe_u32 v17, v9, 3, 4
	v_and_b32_e32 v13, 0x80000000, v13
	v_ffbh_u32_e32 v15, v14
	v_cmp_eq_u32_e32 vcc_lo, 0, v17
	v_min_u32_e32 v15, 32, v15
	v_subrev_nc_u32_e32 v16, 28, v15
	v_sub_nc_u32_e32 v15, 29, v15
	v_lshlrev_b32_e32 v9, v16, v9
	v_cndmask_b32_e32 v15, v17, v15, vcc_lo
	v_and_b32_e32 v9, 7, v9
	v_cndmask_b32_e32 v9, v14, v9, vcc_lo
	v_lshl_add_u32 v14, v15, 23, 0x3b800000
	v_lshlrev_b32_e32 v9, 20, v9
	v_or3_b32 v9, v13, v14, v9
.LBB16_1586:
	s_or_b32 exec_lo, exec_lo, s10
.LBB16_1587:
	s_mov_b32 s7, -1
.LBB16_1588:
	s_mov_b32 s10, 0
.LBB16_1589:
	s_and_b32 vcc_lo, exec_lo, s10
	s_cbranch_vccz .LBB16_1622
; %bb.1590:
	s_cmp_gt_i32 s4, 22
	s_cbranch_scc0 .LBB16_1600
; %bb.1591:
	s_cmp_lt_i32 s4, 24
	s_cbranch_scc1 .LBB16_1603
; %bb.1592:
	s_cmp_gt_i32 s4, 24
	s_cbranch_scc0 .LBB16_1604
; %bb.1593:
	global_load_ubyte v13, v[7:8], off
	s_mov_b32 s7, exec_lo
	s_waitcnt vmcnt(0)
	v_cmpx_lt_i16_e32 0x7f, v13
	s_xor_b32 s7, exec_lo, s7
	s_cbranch_execz .LBB16_1616
; %bb.1594:
	s_mov_b32 s6, -1
	s_mov_b32 s10, exec_lo
	v_cmpx_eq_u16_e32 0x80, v13
; %bb.1595:
	s_xor_b32 s6, exec_lo, -1
; %bb.1596:
	s_or_b32 exec_lo, exec_lo, s10
	s_and_b32 s6, s6, exec_lo
	s_or_saveexec_b32 s7, s7
	v_mov_b32_e32 v9, 0x7f800001
	s_xor_b32 exec_lo, exec_lo, s7
	s_cbranch_execnz .LBB16_1617
.LBB16_1597:
	s_or_b32 exec_lo, exec_lo, s7
	s_and_saveexec_b32 s7, s6
	s_cbranch_execz .LBB16_1599
.LBB16_1598:
	v_and_b32_e32 v9, 0xffff, v13
	v_lshlrev_b32_e32 v13, 24, v13
	v_and_b32_e32 v14, 3, v9
	v_bfe_u32 v17, v9, 2, 5
	v_and_b32_e32 v13, 0x80000000, v13
	v_ffbh_u32_e32 v15, v14
	v_cmp_eq_u32_e32 vcc_lo, 0, v17
	v_min_u32_e32 v15, 32, v15
	v_subrev_nc_u32_e32 v16, 29, v15
	v_sub_nc_u32_e32 v15, 30, v15
	v_lshlrev_b32_e32 v9, v16, v9
	v_cndmask_b32_e32 v15, v17, v15, vcc_lo
	v_and_b32_e32 v9, 3, v9
	v_cndmask_b32_e32 v9, v14, v9, vcc_lo
	v_lshl_add_u32 v14, v15, 23, 0x37800000
	v_lshlrev_b32_e32 v9, 21, v9
	v_or3_b32 v9, v13, v14, v9
.LBB16_1599:
	s_or_b32 exec_lo, exec_lo, s7
	s_mov_b32 s6, 0
	s_branch .LBB16_1605
.LBB16_1600:
	s_mov_b32 s6, -1
                                        ; implicit-def: $vgpr9
	s_branch .LBB16_1611
.LBB16_1601:
	s_or_saveexec_b32 s10, s10
	v_mov_b32_e32 v9, 0x7f800001
	s_xor_b32 exec_lo, exec_lo, s10
	s_cbranch_execz .LBB16_1584
.LBB16_1602:
	v_cmp_ne_u16_e32 vcc_lo, 0, v13
	v_mov_b32_e32 v9, 0
	s_andn2_b32 s7, s7, exec_lo
	s_and_b32 s11, vcc_lo, exec_lo
	s_or_b32 s7, s7, s11
	s_or_b32 exec_lo, exec_lo, s10
	s_and_saveexec_b32 s10, s7
	s_cbranch_execnz .LBB16_1585
	s_branch .LBB16_1586
.LBB16_1603:
	s_mov_b32 s6, -1
                                        ; implicit-def: $vgpr9
	s_branch .LBB16_1608
.LBB16_1604:
	s_mov_b32 s6, -1
                                        ; implicit-def: $vgpr9
.LBB16_1605:
	s_and_b32 vcc_lo, exec_lo, s6
	s_cbranch_vccz .LBB16_1607
; %bb.1606:
	global_load_ubyte v9, v[7:8], off
	s_waitcnt vmcnt(0)
	v_lshlrev_b32_e32 v9, 24, v9
	v_and_b32_e32 v13, 0x7f000000, v9
	v_ffbh_u32_e32 v14, v13
	v_add_nc_u32_e32 v16, 0x1000000, v13
	v_cmp_ne_u32_e32 vcc_lo, 0, v13
	v_min_u32_e32 v14, 32, v14
	v_sub_nc_u32_e64 v14, v14, 4 clamp
	v_lshlrev_b32_e32 v15, v14, v13
	v_lshlrev_b32_e32 v14, 23, v14
	v_lshrrev_b32_e32 v15, 4, v15
	v_sub_nc_u32_e32 v14, v15, v14
	v_ashrrev_i32_e32 v15, 8, v16
	v_add_nc_u32_e32 v14, 0x3c000000, v14
	v_and_or_b32 v14, 0x7f800000, v15, v14
	v_cndmask_b32_e32 v13, 0, v14, vcc_lo
	v_and_or_b32 v9, 0x80000000, v9, v13
.LBB16_1607:
	s_mov_b32 s6, 0
.LBB16_1608:
	s_andn2_b32 vcc_lo, exec_lo, s6
	s_cbranch_vccnz .LBB16_1610
; %bb.1609:
	global_load_ubyte v9, v[7:8], off
	s_waitcnt vmcnt(0)
	v_lshlrev_b32_e32 v13, 25, v9
	v_lshlrev_b16 v9, 8, v9
	v_lshrrev_b32_e32 v14, 4, v13
	v_and_or_b32 v15, 0x7f00, v9, 0.5
	v_cmp_gt_u32_e32 vcc_lo, 0x8000000, v13
	v_bfe_i32 v9, v9, 0, 16
	v_or_b32_e32 v14, 0x70000000, v14
	v_add_f32_e32 v15, -0.5, v15
	v_mul_f32_e32 v14, 0x7800000, v14
	v_cndmask_b32_e32 v13, v14, v15, vcc_lo
	v_and_or_b32 v9, 0x80000000, v9, v13
.LBB16_1610:
	s_mov_b32 s6, 0
	s_mov_b32 s7, -1
.LBB16_1611:
	s_andn2_b32 vcc_lo, exec_lo, s6
	s_mov_b32 s6, 0
	s_cbranch_vccnz .LBB16_1622
; %bb.1612:
	s_cmp_gt_i32 s4, 14
	s_cbranch_scc0 .LBB16_1615
; %bb.1613:
	s_cmp_eq_u32 s4, 15
	s_cbranch_scc0 .LBB16_1618
; %bb.1614:
	global_load_ushort v9, v[7:8], off
	s_mov_b32 s5, 0
	s_mov_b32 s7, -1
	s_waitcnt vmcnt(0)
	v_lshlrev_b32_e32 v9, 16, v9
	s_branch .LBB16_1620
.LBB16_1615:
	s_mov_b32 s6, -1
	s_branch .LBB16_1619
.LBB16_1616:
	s_or_saveexec_b32 s7, s7
	v_mov_b32_e32 v9, 0x7f800001
	s_xor_b32 exec_lo, exec_lo, s7
	s_cbranch_execz .LBB16_1597
.LBB16_1617:
	v_cmp_ne_u16_e32 vcc_lo, 0, v13
	v_mov_b32_e32 v9, 0
	s_andn2_b32 s6, s6, exec_lo
	s_and_b32 s10, vcc_lo, exec_lo
	s_or_b32 s6, s6, s10
	s_or_b32 exec_lo, exec_lo, s7
	s_and_saveexec_b32 s7, s6
	s_cbranch_execnz .LBB16_1598
	s_branch .LBB16_1599
.LBB16_1618:
	s_mov_b32 s5, -1
.LBB16_1619:
                                        ; implicit-def: $vgpr9
.LBB16_1620:
	s_and_b32 vcc_lo, exec_lo, s6
	s_mov_b32 s6, 0
	s_cbranch_vccz .LBB16_1622
; %bb.1621:
	s_cmp_lg_u32 s4, 11
	s_mov_b32 s6, -1
	s_cselect_b32 s5, -1, 0
.LBB16_1622:
	s_and_b32 vcc_lo, exec_lo, s5
	s_cbranch_vccnz .LBB16_2157
; %bb.1623:
	s_andn2_b32 vcc_lo, exec_lo, s6
	s_cbranch_vccnz .LBB16_1625
.LBB16_1624:
	global_load_ubyte v9, v[7:8], off
	s_mov_b32 s7, -1
	s_waitcnt vmcnt(0)
	v_cmp_ne_u16_e32 vcc_lo, 0, v9
	v_cndmask_b32_e64 v9, 0, 1.0, vcc_lo
.LBB16_1625:
	s_mov_b32 s4, 0
.LBB16_1626:
	s_and_b32 vcc_lo, exec_lo, s4
	s_cbranch_vccz .LBB16_1675
; %bb.1627:
	s_and_b32 s0, 0xffff, s0
	s_cmp_lt_i32 s0, 5
	s_cbranch_scc1 .LBB16_1632
; %bb.1628:
	s_cmp_lt_i32 s0, 8
	s_cbranch_scc1 .LBB16_1633
; %bb.1629:
	;; [unrolled: 3-line block ×3, first 2 shown]
	s_cmp_gt_i32 s0, 9
	s_cbranch_scc0 .LBB16_1635
; %bb.1631:
	global_load_dwordx2 v[13:14], v[7:8], off
	s_mov_b32 s4, 0
	s_waitcnt vmcnt(0)
	v_cvt_f32_f64_e32 v9, v[13:14]
	s_branch .LBB16_1636
.LBB16_1632:
	s_mov_b32 s4, -1
                                        ; implicit-def: $vgpr9
	s_branch .LBB16_1654
.LBB16_1633:
	s_mov_b32 s4, -1
                                        ; implicit-def: $vgpr9
	s_branch .LBB16_1642
.LBB16_1634:
	s_mov_b32 s4, -1
                                        ; implicit-def: $vgpr9
	s_branch .LBB16_1639
.LBB16_1635:
	s_mov_b32 s4, -1
                                        ; implicit-def: $vgpr9
.LBB16_1636:
	s_andn2_b32 vcc_lo, exec_lo, s4
	s_cbranch_vccnz .LBB16_1638
; %bb.1637:
	global_load_dword v9, v[7:8], off
.LBB16_1638:
	s_mov_b32 s4, 0
.LBB16_1639:
	s_andn2_b32 vcc_lo, exec_lo, s4
	s_cbranch_vccnz .LBB16_1641
; %bb.1640:
	global_load_dword v9, v[7:8], off
	s_waitcnt vmcnt(0)
	v_cvt_f32_f16_e32 v9, v9
.LBB16_1641:
	s_mov_b32 s4, 0
.LBB16_1642:
	s_andn2_b32 vcc_lo, exec_lo, s4
	s_cbranch_vccnz .LBB16_1653
; %bb.1643:
	s_cmp_lt_i32 s0, 6
	s_cbranch_scc1 .LBB16_1646
; %bb.1644:
	s_cmp_gt_i32 s0, 6
	s_cbranch_scc0 .LBB16_1647
; %bb.1645:
	global_load_dwordx2 v[13:14], v[7:8], off
	s_mov_b32 s4, 0
	s_waitcnt vmcnt(0)
	v_cvt_f32_f64_e32 v9, v[13:14]
	s_branch .LBB16_1648
.LBB16_1646:
	s_mov_b32 s4, -1
                                        ; implicit-def: $vgpr9
	s_branch .LBB16_1651
.LBB16_1647:
	s_mov_b32 s4, -1
                                        ; implicit-def: $vgpr9
.LBB16_1648:
	s_andn2_b32 vcc_lo, exec_lo, s4
	s_cbranch_vccnz .LBB16_1650
; %bb.1649:
	global_load_dword v9, v[7:8], off
.LBB16_1650:
	s_mov_b32 s4, 0
.LBB16_1651:
	s_andn2_b32 vcc_lo, exec_lo, s4
	s_cbranch_vccnz .LBB16_1653
; %bb.1652:
	global_load_ushort v9, v[7:8], off
	s_waitcnt vmcnt(0)
	v_cvt_f32_f16_e32 v9, v9
.LBB16_1653:
	s_mov_b32 s4, 0
.LBB16_1654:
	s_andn2_b32 vcc_lo, exec_lo, s4
	s_cbranch_vccnz .LBB16_1674
; %bb.1655:
	s_cmp_lt_i32 s0, 2
	s_cbranch_scc1 .LBB16_1659
; %bb.1656:
	s_cmp_lt_i32 s0, 3
	s_cbranch_scc1 .LBB16_1660
; %bb.1657:
	s_cmp_gt_i32 s0, 3
	s_cbranch_scc0 .LBB16_1661
; %bb.1658:
	global_load_dwordx2 v[13:14], v[7:8], off
	s_mov_b32 s4, 0
	s_waitcnt vmcnt(0)
	v_xor_b32_e32 v9, v13, v14
	v_ffbh_i32_e32 v15, v14
	v_ashrrev_i32_e32 v9, 31, v9
	v_add_nc_u32_e32 v15, -1, v15
	v_add_nc_u32_e32 v9, 32, v9
	v_min_u32_e32 v9, v15, v9
	v_lshlrev_b64 v[13:14], v9, v[13:14]
	v_sub_nc_u32_e32 v9, 32, v9
	v_min_u32_e32 v13, 1, v13
	v_or_b32_e32 v13, v14, v13
	v_cvt_f32_i32_e32 v13, v13
	v_ldexp_f32 v9, v13, v9
	s_branch .LBB16_1662
.LBB16_1659:
	s_mov_b32 s4, -1
                                        ; implicit-def: $vgpr9
	s_branch .LBB16_1668
.LBB16_1660:
	s_mov_b32 s4, -1
                                        ; implicit-def: $vgpr9
	s_branch .LBB16_1665
.LBB16_1661:
	s_mov_b32 s4, -1
                                        ; implicit-def: $vgpr9
.LBB16_1662:
	s_andn2_b32 vcc_lo, exec_lo, s4
	s_cbranch_vccnz .LBB16_1664
; %bb.1663:
	global_load_dword v9, v[7:8], off
	s_waitcnt vmcnt(0)
	v_cvt_f32_i32_e32 v9, v9
.LBB16_1664:
	s_mov_b32 s4, 0
.LBB16_1665:
	s_andn2_b32 vcc_lo, exec_lo, s4
	s_cbranch_vccnz .LBB16_1667
; %bb.1666:
	global_load_sshort v9, v[7:8], off
	s_waitcnt vmcnt(0)
	v_cvt_f32_i32_e32 v9, v9
.LBB16_1667:
	s_mov_b32 s4, 0
.LBB16_1668:
	s_andn2_b32 vcc_lo, exec_lo, s4
	s_cbranch_vccnz .LBB16_1674
; %bb.1669:
	s_cmp_gt_i32 s0, 0
	s_mov_b32 s0, 0
	s_cbranch_scc0 .LBB16_1671
; %bb.1670:
	global_load_sbyte v9, v[7:8], off
	s_waitcnt vmcnt(0)
	v_cvt_f32_i32_e32 v9, v9
	s_branch .LBB16_1672
.LBB16_1671:
	s_mov_b32 s0, -1
                                        ; implicit-def: $vgpr9
.LBB16_1672:
	s_andn2_b32 vcc_lo, exec_lo, s0
	s_cbranch_vccnz .LBB16_1674
; %bb.1673:
	global_load_ubyte v7, v[7:8], off
	s_waitcnt vmcnt(0)
	v_cvt_f32_ubyte0_e32 v9, v7
.LBB16_1674:
	s_mov_b32 s7, -1
.LBB16_1675:
	s_andn2_b32 vcc_lo, exec_lo, s7
	s_cbranch_vccnz .LBB16_2111
; %bb.1676:
	s_waitcnt vmcnt(0)
	v_mov_b32_e32 v13, v12
	s_mov_b32 s0, exec_lo
	v_cmpx_nlg_f32_e64 0x7f800000, |v9|
	s_cbranch_execz .LBB16_1678
; %bb.1677:
	v_mov_b32_e32 v7, 0
	v_mov_b32_e32 v8, 1.0
	global_store_dword v7, v8, s[12:13]
	global_load_dword v13, v7, s[14:15]
.LBB16_1678:
	s_or_b32 exec_lo, exec_lo, s0
	s_load_dword s0, s[2:3], 0x168
	v_mul_f32_e32 v7, v1, v5
	v_cmp_eq_f32_e32 vcc_lo, 1.0, v5
	v_cndmask_b32_e32 v7, v7, v1, vcc_lo
	s_waitcnt lgkmcnt(0)
	s_and_b32 s6, s0, 0xff
	v_add_co_u32 v5, s0, s8, v6
	v_add_co_ci_u32_e64 v6, null, s9, 0, s0
	s_cmp_lt_i32 s6, 11
	s_cbranch_scc1 .LBB16_1756
; %bb.1679:
	s_and_b32 s2, 0xffff, s6
	s_mov_b32 s5, -1
	s_mov_b32 s3, 0
	s_cmp_gt_i32 s2, 25
	s_mov_b32 s4, 0
	s_mov_b32 s0, 0
	s_cbranch_scc0 .LBB16_1712
; %bb.1680:
	s_cmp_gt_i32 s2, 28
	s_cbranch_scc0 .LBB16_1695
; %bb.1681:
	s_cmp_gt_i32 s2, 43
	;; [unrolled: 3-line block ×3, first 2 shown]
	s_cbranch_scc0 .LBB16_1685
; %bb.1683:
	s_mov_b32 s0, -1
	s_mov_b32 s5, 0
	s_cmp_eq_u32 s2, 46
	s_cbranch_scc0 .LBB16_1685
; %bb.1684:
	v_bfe_u32 v1, v7, 16, 1
	v_cmp_o_f32_e32 vcc_lo, v7, v7
	v_mov_b32_e32 v8, 0x7fc0
	s_mov_b32 s0, 0
	s_mov_b32 s4, -1
	v_add3_u32 v1, v7, v1, 0x7fff
	v_cndmask_b32_sdwa v1, v8, v1, vcc_lo dst_sel:DWORD dst_unused:UNUSED_PAD src0_sel:DWORD src1_sel:WORD_1
	global_store_dword v[5:6], v1, off
.LBB16_1685:
	s_and_b32 vcc_lo, exec_lo, s5
	s_cbranch_vccz .LBB16_1690
; %bb.1686:
	s_cmp_eq_u32 s2, 44
	s_mov_b32 s0, -1
	s_cbranch_scc0 .LBB16_1690
; %bb.1687:
	v_bfe_u32 v8, v7, 23, 8
	v_mov_b32_e32 v1, 0xff
	s_mov_b32 s4, exec_lo
	v_cmpx_ne_u32_e32 0xff, v8
	s_cbranch_execz .LBB16_1689
; %bb.1688:
	v_and_b32_e32 v1, 0x400000, v7
	v_and_or_b32 v8, 0x3fffff, v7, v8
	v_cmp_ne_u32_e32 vcc_lo, 0, v1
	v_cmp_ne_u32_e64 s0, 0, v8
	v_lshrrev_b32_e32 v1, 23, v7
	s_and_b32 s0, vcc_lo, s0
	v_cndmask_b32_e64 v8, 0, 1, s0
	v_add_nc_u32_e32 v1, v1, v8
.LBB16_1689:
	s_or_b32 exec_lo, exec_lo, s4
	s_mov_b32 s0, 0
	s_mov_b32 s4, -1
	global_store_byte v[5:6], v1, off
.LBB16_1690:
	s_mov_b32 s5, 0
.LBB16_1691:
	s_and_b32 vcc_lo, exec_lo, s5
	s_cbranch_vccz .LBB16_1694
; %bb.1692:
	s_cmp_eq_u32 s2, 29
	s_mov_b32 s0, -1
	s_cbranch_scc0 .LBB16_1694
; %bb.1693:
	v_trunc_f32_e32 v1, v7
	s_mov_b32 s0, 0
	s_mov_b32 s4, -1
	v_mul_f32_e32 v8, 0x2f800000, v1
	v_floor_f32_e32 v8, v8
	v_fmamk_f32 v1, v8, 0xcf800000, v1
	v_cvt_u32_f32_e32 v15, v8
	v_cvt_u32_f32_e32 v14, v1
	global_store_dwordx2 v[5:6], v[14:15], off
.LBB16_1694:
	s_mov_b32 s5, 0
.LBB16_1695:
	s_and_b32 vcc_lo, exec_lo, s5
	s_cbranch_vccz .LBB16_1711
; %bb.1696:
	s_cmp_lt_i32 s2, 27
	s_mov_b32 s4, -1
	s_cbranch_scc1 .LBB16_1702
; %bb.1697:
	v_cvt_u32_f32_e32 v1, v7
	s_cmp_gt_i32 s2, 27
	s_cbranch_scc0 .LBB16_1699
; %bb.1698:
	s_mov_b32 s4, 0
	global_store_dword v[5:6], v1, off
.LBB16_1699:
	s_andn2_b32 vcc_lo, exec_lo, s4
	s_cbranch_vccnz .LBB16_1701
; %bb.1700:
	global_store_short v[5:6], v1, off
.LBB16_1701:
	s_mov_b32 s4, 0
.LBB16_1702:
	s_andn2_b32 vcc_lo, exec_lo, s4
	s_cbranch_vccnz .LBB16_1710
; %bb.1703:
	v_and_b32_e32 v1, 0x7fffffff, v7
	v_mov_b32_e32 v8, 0x80
	s_mov_b32 s4, exec_lo
	v_cmpx_gt_u32_e32 0x43800000, v1
	s_cbranch_execz .LBB16_1709
; %bb.1704:
	v_cmp_lt_u32_e32 vcc_lo, 0x3bffffff, v1
	s_mov_b32 s5, 0
                                        ; implicit-def: $vgpr1
	s_and_saveexec_b32 s7, vcc_lo
	s_xor_b32 s7, exec_lo, s7
	s_cbranch_execz .LBB16_2158
; %bb.1705:
	v_bfe_u32 v1, v7, 20, 1
	s_mov_b32 s5, exec_lo
	v_add3_u32 v1, v7, v1, 0x487ffff
	v_lshrrev_b32_e32 v1, 20, v1
	s_andn2_saveexec_b32 s7, s7
	s_cbranch_execnz .LBB16_2159
.LBB16_1706:
	s_or_b32 exec_lo, exec_lo, s7
	v_mov_b32_e32 v8, 0
	s_and_saveexec_b32 s7, s5
.LBB16_1707:
	v_lshrrev_b32_e32 v8, 24, v7
	v_and_or_b32 v8, 0x80, v8, v1
.LBB16_1708:
	s_or_b32 exec_lo, exec_lo, s7
.LBB16_1709:
	s_or_b32 exec_lo, exec_lo, s4
	global_store_byte v[5:6], v8, off
.LBB16_1710:
	s_mov_b32 s4, -1
.LBB16_1711:
	s_mov_b32 s5, 0
.LBB16_1712:
	s_and_b32 vcc_lo, exec_lo, s5
	s_cbranch_vccz .LBB16_1752
; %bb.1713:
	s_cmp_gt_i32 s2, 22
	s_mov_b32 s3, -1
	s_cbranch_scc0 .LBB16_1745
; %bb.1714:
	s_cmp_lt_i32 s2, 24
	s_cbranch_scc1 .LBB16_1734
; %bb.1715:
	s_cmp_gt_i32 s2, 24
	s_cbranch_scc0 .LBB16_1723
; %bb.1716:
	v_and_b32_e32 v1, 0x7fffffff, v7
	v_mov_b32_e32 v8, 0x80
	s_mov_b32 s3, exec_lo
	v_cmpx_gt_u32_e32 0x47800000, v1
	s_cbranch_execz .LBB16_1722
; %bb.1717:
	v_cmp_lt_u32_e32 vcc_lo, 0x37ffffff, v1
	s_mov_b32 s4, 0
                                        ; implicit-def: $vgpr1
	s_and_saveexec_b32 s5, vcc_lo
	s_xor_b32 s5, exec_lo, s5
	s_cbranch_execz .LBB16_2161
; %bb.1718:
	v_bfe_u32 v1, v7, 21, 1
	s_mov_b32 s4, exec_lo
	v_add3_u32 v1, v7, v1, 0x88fffff
	v_lshrrev_b32_e32 v1, 21, v1
	s_andn2_saveexec_b32 s5, s5
	s_cbranch_execnz .LBB16_2162
.LBB16_1719:
	s_or_b32 exec_lo, exec_lo, s5
	v_mov_b32_e32 v8, 0
	s_and_saveexec_b32 s5, s4
.LBB16_1720:
	v_lshrrev_b32_e32 v8, 24, v7
	v_and_or_b32 v8, 0x80, v8, v1
.LBB16_1721:
	s_or_b32 exec_lo, exec_lo, s5
.LBB16_1722:
	s_or_b32 exec_lo, exec_lo, s3
	s_mov_b32 s3, 0
	global_store_byte v[5:6], v8, off
.LBB16_1723:
	s_and_b32 vcc_lo, exec_lo, s3
	s_cbranch_vccz .LBB16_1733
; %bb.1724:
	v_and_b32_e32 v8, 0x7fffffff, v7
	s_mov_b32 s3, exec_lo
                                        ; implicit-def: $vgpr1
	v_cmpx_gt_u32_e32 0x43f00000, v8
	s_xor_b32 s3, exec_lo, s3
	s_cbranch_execz .LBB16_1730
; %bb.1725:
	s_mov_b32 s4, exec_lo
                                        ; implicit-def: $vgpr1
	v_cmpx_lt_u32_e32 0x3c7fffff, v8
	s_xor_b32 s4, exec_lo, s4
; %bb.1726:
	v_bfe_u32 v1, v7, 20, 1
	v_add3_u32 v1, v7, v1, 0x407ffff
	v_and_b32_e32 v8, 0xff00000, v1
	v_lshrrev_b32_e32 v1, 20, v1
	v_cmp_ne_u32_e32 vcc_lo, 0x7f00000, v8
	v_cndmask_b32_e32 v1, 0x7e, v1, vcc_lo
; %bb.1727:
	s_andn2_saveexec_b32 s4, s4
; %bb.1728:
	v_add_f32_e64 v1, 0x46800000, |v7|
; %bb.1729:
	s_or_b32 exec_lo, exec_lo, s4
                                        ; implicit-def: $vgpr8
.LBB16_1730:
	s_andn2_saveexec_b32 s3, s3
; %bb.1731:
	v_mov_b32_e32 v1, 0x7f
	v_cmp_lt_u32_e32 vcc_lo, 0x7f800000, v8
	v_cndmask_b32_e32 v1, 0x7e, v1, vcc_lo
; %bb.1732:
	s_or_b32 exec_lo, exec_lo, s3
	v_lshrrev_b32_e32 v8, 24, v7
	v_and_or_b32 v1, 0x80, v8, v1
	global_store_byte v[5:6], v1, off
.LBB16_1733:
	s_mov_b32 s3, 0
.LBB16_1734:
	s_andn2_b32 vcc_lo, exec_lo, s3
	s_cbranch_vccnz .LBB16_1744
; %bb.1735:
	v_and_b32_e32 v8, 0x7fffffff, v7
	s_mov_b32 s3, exec_lo
                                        ; implicit-def: $vgpr1
	v_cmpx_gt_u32_e32 0x47800000, v8
	s_xor_b32 s3, exec_lo, s3
	s_cbranch_execz .LBB16_1741
; %bb.1736:
	s_mov_b32 s4, exec_lo
                                        ; implicit-def: $vgpr1
	v_cmpx_lt_u32_e32 0x387fffff, v8
	s_xor_b32 s4, exec_lo, s4
; %bb.1737:
	v_bfe_u32 v1, v7, 21, 1
	v_add3_u32 v1, v7, v1, 0x80fffff
	v_lshrrev_b32_e32 v1, 21, v1
; %bb.1738:
	s_andn2_saveexec_b32 s4, s4
; %bb.1739:
	v_add_f32_e64 v1, 0x43000000, |v7|
; %bb.1740:
	s_or_b32 exec_lo, exec_lo, s4
                                        ; implicit-def: $vgpr8
.LBB16_1741:
	s_andn2_saveexec_b32 s3, s3
; %bb.1742:
	v_mov_b32_e32 v1, 0x7f
	v_cmp_lt_u32_e32 vcc_lo, 0x7f800000, v8
	v_cndmask_b32_e32 v1, 0x7c, v1, vcc_lo
; %bb.1743:
	s_or_b32 exec_lo, exec_lo, s3
	v_lshrrev_b32_e32 v8, 24, v7
	v_and_or_b32 v1, 0x80, v8, v1
	global_store_byte v[5:6], v1, off
.LBB16_1744:
	s_mov_b32 s3, 0
	s_mov_b32 s4, -1
.LBB16_1745:
	s_andn2_b32 vcc_lo, exec_lo, s3
	s_mov_b32 s3, 0
	s_cbranch_vccnz .LBB16_1752
; %bb.1746:
	s_cmp_gt_i32 s2, 14
	s_mov_b32 s3, -1
	s_cbranch_scc0 .LBB16_1750
; %bb.1747:
	s_cmp_eq_u32 s2, 15
	s_mov_b32 s0, -1
	s_cbranch_scc0 .LBB16_1749
; %bb.1748:
	v_bfe_u32 v1, v7, 16, 1
	v_cmp_o_f32_e32 vcc_lo, v7, v7
	v_mov_b32_e32 v8, 0x7fc0
	s_mov_b32 s0, 0
	s_mov_b32 s4, -1
	v_add3_u32 v1, v7, v1, 0x7fff
	v_cndmask_b32_sdwa v1, v8, v1, vcc_lo dst_sel:DWORD dst_unused:UNUSED_PAD src0_sel:DWORD src1_sel:WORD_1
	global_store_short v[5:6], v1, off
.LBB16_1749:
	s_mov_b32 s3, 0
.LBB16_1750:
	s_and_b32 vcc_lo, exec_lo, s3
	s_mov_b32 s3, 0
	s_cbranch_vccz .LBB16_1752
; %bb.1751:
	s_cmp_lg_u32 s2, 11
	s_mov_b32 s3, -1
	s_cselect_b32 s0, -1, 0
.LBB16_1752:
	s_and_b32 vcc_lo, exec_lo, s0
	s_cbranch_vccnz .LBB16_2160
; %bb.1753:
	s_andn2_b32 vcc_lo, exec_lo, s3
	s_cbranch_vccnz .LBB16_1755
.LBB16_1754:
	v_cmp_neq_f32_e32 vcc_lo, 0, v7
	s_mov_b32 s4, -1
	v_cndmask_b32_e64 v1, 0, 1, vcc_lo
	global_store_byte v[5:6], v1, off
.LBB16_1755:
	s_mov_b32 s0, 0
	s_branch .LBB16_1757
.LBB16_1756:
	s_mov_b32 s0, -1
	s_mov_b32 s4, 0
.LBB16_1757:
	s_and_b32 vcc_lo, exec_lo, s0
	s_cbranch_vccz .LBB16_1796
; %bb.1758:
	s_and_b32 s0, 0xffff, s6
	s_mov_b32 s2, -1
	s_cmp_lt_i32 s0, 5
	s_cbranch_scc1 .LBB16_1779
; %bb.1759:
	s_cmp_lt_i32 s0, 8
	s_cbranch_scc1 .LBB16_1769
; %bb.1760:
	;; [unrolled: 3-line block ×3, first 2 shown]
	s_cmp_gt_i32 s0, 9
	s_cbranch_scc0 .LBB16_1763
; %bb.1762:
	v_cvt_f64_f32_e32 v[14:15], v7
	v_mov_b32_e32 v16, 0
	s_mov_b32 s2, 0
	v_mov_b32_e32 v17, v16
	global_store_dwordx4 v[5:6], v[14:17], off
.LBB16_1763:
	s_andn2_b32 vcc_lo, exec_lo, s2
	s_cbranch_vccnz .LBB16_1765
; %bb.1764:
	v_mov_b32_e32 v8, 0
	global_store_dwordx2 v[5:6], v[7:8], off
.LBB16_1765:
	s_mov_b32 s2, 0
.LBB16_1766:
	s_andn2_b32 vcc_lo, exec_lo, s2
	s_cbranch_vccnz .LBB16_1768
; %bb.1767:
	v_cvt_f16_f32_e32 v1, v7
	v_and_b32_e32 v1, 0xffff, v1
	global_store_dword v[5:6], v1, off
.LBB16_1768:
	s_mov_b32 s2, 0
.LBB16_1769:
	s_andn2_b32 vcc_lo, exec_lo, s2
	s_cbranch_vccnz .LBB16_1778
; %bb.1770:
	s_cmp_lt_i32 s0, 6
	s_mov_b32 s2, -1
	s_cbranch_scc1 .LBB16_1776
; %bb.1771:
	s_cmp_gt_i32 s0, 6
	s_cbranch_scc0 .LBB16_1773
; %bb.1772:
	v_cvt_f64_f32_e32 v[14:15], v7
	s_mov_b32 s2, 0
	global_store_dwordx2 v[5:6], v[14:15], off
.LBB16_1773:
	s_andn2_b32 vcc_lo, exec_lo, s2
	s_cbranch_vccnz .LBB16_1775
; %bb.1774:
	global_store_dword v[5:6], v7, off
.LBB16_1775:
	s_mov_b32 s2, 0
.LBB16_1776:
	s_andn2_b32 vcc_lo, exec_lo, s2
	s_cbranch_vccnz .LBB16_1778
; %bb.1777:
	v_cvt_f16_f32_e32 v1, v7
	global_store_short v[5:6], v1, off
.LBB16_1778:
	s_mov_b32 s2, 0
.LBB16_1779:
	s_andn2_b32 vcc_lo, exec_lo, s2
	s_cbranch_vccnz .LBB16_1795
; %bb.1780:
	s_cmp_lt_i32 s0, 2
	s_mov_b32 s2, -1
	s_cbranch_scc1 .LBB16_1790
; %bb.1781:
	s_cmp_lt_i32 s0, 3
	s_cbranch_scc1 .LBB16_1787
; %bb.1782:
	s_cmp_gt_i32 s0, 3
	s_cbranch_scc0 .LBB16_1784
; %bb.1783:
	v_trunc_f32_e32 v1, v7
	s_mov_b32 s2, 0
	v_mul_f32_e64 v8, 0x2f800000, |v1|
	v_floor_f32_e32 v8, v8
	v_fma_f32 v14, 0xcf800000, v8, |v1|
	v_ashrrev_i32_e32 v1, 31, v1
	v_cvt_u32_f32_e32 v8, v8
	v_cvt_u32_f32_e32 v14, v14
	v_xor_b32_e32 v8, v8, v1
	v_xor_b32_e32 v14, v14, v1
	v_sub_co_u32 v14, vcc_lo, v14, v1
	v_sub_co_ci_u32_e64 v15, null, v8, v1, vcc_lo
	global_store_dwordx2 v[5:6], v[14:15], off
.LBB16_1784:
	s_andn2_b32 vcc_lo, exec_lo, s2
	s_cbranch_vccnz .LBB16_1786
; %bb.1785:
	v_cvt_i32_f32_e32 v1, v7
	global_store_dword v[5:6], v1, off
.LBB16_1786:
	s_mov_b32 s2, 0
.LBB16_1787:
	s_andn2_b32 vcc_lo, exec_lo, s2
	s_cbranch_vccnz .LBB16_1789
; %bb.1788:
	v_cvt_i32_f32_e32 v1, v7
	global_store_short v[5:6], v1, off
.LBB16_1789:
	s_mov_b32 s2, 0
.LBB16_1790:
	s_andn2_b32 vcc_lo, exec_lo, s2
	s_cbranch_vccnz .LBB16_1795
; %bb.1791:
	s_cmp_gt_i32 s0, 0
	s_mov_b32 s0, -1
	s_cbranch_scc0 .LBB16_1793
; %bb.1792:
	v_cvt_i32_f32_e32 v1, v7
	s_mov_b32 s0, 0
	global_store_byte v[5:6], v1, off
.LBB16_1793:
	s_andn2_b32 vcc_lo, exec_lo, s0
	s_cbranch_vccnz .LBB16_1795
; %bb.1794:
	v_trunc_f32_e32 v1, v7
	v_mul_f32_e64 v7, 0x2f800000, |v1|
	v_floor_f32_e32 v7, v7
	v_fma_f32 v7, 0xcf800000, v7, |v1|
	v_ashrrev_i32_e32 v1, 31, v1
	v_cvt_u32_f32_e32 v7, v7
	v_xor_b32_e32 v7, v7, v1
	v_sub_nc_u32_e32 v1, v7, v1
	global_store_byte v[5:6], v1, off
.LBB16_1795:
	s_mov_b32 s4, -1
.LBB16_1796:
	s_andn2_b32 vcc_lo, exec_lo, s4
	s_cbranch_vccnz .LBB16_2111
; %bb.1797:
	v_mul_f32_e32 v1, v3, v11
	v_cmp_eq_f32_e32 vcc_lo, 1.0, v11
	s_and_b32 s2, 0xffff, s6
	s_cmp_lt_i32 s2, 11
	v_cndmask_b32_e32 v5, v1, v3, vcc_lo
	v_add_co_u32 v3, s0, s8, v4
	v_add_co_ci_u32_e64 v4, null, s9, 0, s0
	s_cbranch_scc1 .LBB16_1875
; %bb.1798:
	s_mov_b32 s5, -1
	s_mov_b32 s3, 0
	s_cmp_gt_i32 s2, 25
	s_mov_b32 s4, 0
	s_mov_b32 s0, 0
	s_cbranch_scc0 .LBB16_1831
; %bb.1799:
	s_cmp_gt_i32 s2, 28
	s_cbranch_scc0 .LBB16_1814
; %bb.1800:
	s_cmp_gt_i32 s2, 43
	;; [unrolled: 3-line block ×3, first 2 shown]
	s_cbranch_scc0 .LBB16_1804
; %bb.1802:
	s_mov_b32 s0, -1
	s_mov_b32 s5, 0
	s_cmp_eq_u32 s2, 46
	s_cbranch_scc0 .LBB16_1804
; %bb.1803:
	v_bfe_u32 v1, v5, 16, 1
	v_cmp_o_f32_e32 vcc_lo, v5, v5
	v_mov_b32_e32 v6, 0x7fc0
	s_mov_b32 s0, 0
	s_mov_b32 s4, -1
	v_add3_u32 v1, v5, v1, 0x7fff
	v_cndmask_b32_sdwa v1, v6, v1, vcc_lo dst_sel:DWORD dst_unused:UNUSED_PAD src0_sel:DWORD src1_sel:WORD_1
	global_store_dword v[3:4], v1, off
.LBB16_1804:
	s_and_b32 vcc_lo, exec_lo, s5
	s_cbranch_vccz .LBB16_1809
; %bb.1805:
	s_cmp_eq_u32 s2, 44
	s_mov_b32 s0, -1
	s_cbranch_scc0 .LBB16_1809
; %bb.1806:
	v_bfe_u32 v6, v5, 23, 8
	v_mov_b32_e32 v1, 0xff
	s_mov_b32 s4, exec_lo
	v_cmpx_ne_u32_e32 0xff, v6
	s_cbranch_execz .LBB16_1808
; %bb.1807:
	v_and_b32_e32 v1, 0x400000, v5
	v_and_or_b32 v6, 0x3fffff, v5, v6
	v_cmp_ne_u32_e32 vcc_lo, 0, v1
	v_cmp_ne_u32_e64 s0, 0, v6
	v_lshrrev_b32_e32 v1, 23, v5
	s_and_b32 s0, vcc_lo, s0
	v_cndmask_b32_e64 v6, 0, 1, s0
	v_add_nc_u32_e32 v1, v1, v6
.LBB16_1808:
	s_or_b32 exec_lo, exec_lo, s4
	s_mov_b32 s0, 0
	s_mov_b32 s4, -1
	global_store_byte v[3:4], v1, off
.LBB16_1809:
	s_mov_b32 s5, 0
.LBB16_1810:
	s_and_b32 vcc_lo, exec_lo, s5
	s_cbranch_vccz .LBB16_1813
; %bb.1811:
	s_cmp_eq_u32 s2, 29
	s_mov_b32 s0, -1
	s_cbranch_scc0 .LBB16_1813
; %bb.1812:
	v_trunc_f32_e32 v1, v5
	s_mov_b32 s0, 0
	s_mov_b32 s4, -1
	v_mul_f32_e32 v6, 0x2f800000, v1
	v_floor_f32_e32 v6, v6
	v_fmamk_f32 v1, v6, 0xcf800000, v1
	v_cvt_u32_f32_e32 v7, v6
	v_cvt_u32_f32_e32 v6, v1
	global_store_dwordx2 v[3:4], v[6:7], off
.LBB16_1813:
	s_mov_b32 s5, 0
.LBB16_1814:
	s_and_b32 vcc_lo, exec_lo, s5
	s_cbranch_vccz .LBB16_1830
; %bb.1815:
	s_cmp_lt_i32 s2, 27
	s_mov_b32 s4, -1
	s_cbranch_scc1 .LBB16_1821
; %bb.1816:
	s_cmp_gt_i32 s2, 27
	s_cbranch_scc0 .LBB16_1818
; %bb.1817:
	v_cvt_u32_f32_e32 v1, v5
	s_mov_b32 s4, 0
	global_store_dword v[3:4], v1, off
.LBB16_1818:
	s_andn2_b32 vcc_lo, exec_lo, s4
	s_cbranch_vccnz .LBB16_1820
; %bb.1819:
	v_cvt_u32_f32_e32 v1, v5
	global_store_short v[3:4], v1, off
.LBB16_1820:
	s_mov_b32 s4, 0
.LBB16_1821:
	s_andn2_b32 vcc_lo, exec_lo, s4
	s_cbranch_vccnz .LBB16_1829
; %bb.1822:
	v_and_b32_e32 v1, 0x7fffffff, v5
	v_mov_b32_e32 v6, 0x80
	s_mov_b32 s4, exec_lo
	v_cmpx_gt_u32_e32 0x43800000, v1
	s_cbranch_execz .LBB16_1828
; %bb.1823:
	v_cmp_lt_u32_e32 vcc_lo, 0x3bffffff, v1
	s_mov_b32 s5, 0
                                        ; implicit-def: $vgpr1
	s_and_saveexec_b32 s7, vcc_lo
	s_xor_b32 s7, exec_lo, s7
	s_cbranch_execz .LBB16_2163
; %bb.1824:
	v_bfe_u32 v1, v5, 20, 1
	s_mov_b32 s5, exec_lo
	v_add3_u32 v1, v5, v1, 0x487ffff
	v_lshrrev_b32_e32 v1, 20, v1
	s_andn2_saveexec_b32 s7, s7
	s_cbranch_execnz .LBB16_2164
.LBB16_1825:
	s_or_b32 exec_lo, exec_lo, s7
	v_mov_b32_e32 v6, 0
	s_and_saveexec_b32 s7, s5
.LBB16_1826:
	v_lshrrev_b32_e32 v6, 24, v5
	v_and_or_b32 v6, 0x80, v6, v1
.LBB16_1827:
	s_or_b32 exec_lo, exec_lo, s7
.LBB16_1828:
	s_or_b32 exec_lo, exec_lo, s4
	global_store_byte v[3:4], v6, off
.LBB16_1829:
	s_mov_b32 s4, -1
.LBB16_1830:
	s_mov_b32 s5, 0
.LBB16_1831:
	s_and_b32 vcc_lo, exec_lo, s5
	s_cbranch_vccz .LBB16_1871
; %bb.1832:
	s_cmp_gt_i32 s2, 22
	s_mov_b32 s3, -1
	s_cbranch_scc0 .LBB16_1864
; %bb.1833:
	s_cmp_lt_i32 s2, 24
	s_cbranch_scc1 .LBB16_1853
; %bb.1834:
	s_cmp_gt_i32 s2, 24
	s_cbranch_scc0 .LBB16_1842
; %bb.1835:
	v_and_b32_e32 v1, 0x7fffffff, v5
	v_mov_b32_e32 v6, 0x80
	s_mov_b32 s3, exec_lo
	v_cmpx_gt_u32_e32 0x47800000, v1
	s_cbranch_execz .LBB16_1841
; %bb.1836:
	v_cmp_lt_u32_e32 vcc_lo, 0x37ffffff, v1
	s_mov_b32 s4, 0
                                        ; implicit-def: $vgpr1
	s_and_saveexec_b32 s5, vcc_lo
	s_xor_b32 s5, exec_lo, s5
	s_cbranch_execz .LBB16_2166
; %bb.1837:
	v_bfe_u32 v1, v5, 21, 1
	s_mov_b32 s4, exec_lo
	v_add3_u32 v1, v5, v1, 0x88fffff
	v_lshrrev_b32_e32 v1, 21, v1
	s_andn2_saveexec_b32 s5, s5
	s_cbranch_execnz .LBB16_2167
.LBB16_1838:
	s_or_b32 exec_lo, exec_lo, s5
	v_mov_b32_e32 v6, 0
	s_and_saveexec_b32 s5, s4
.LBB16_1839:
	v_lshrrev_b32_e32 v6, 24, v5
	v_and_or_b32 v6, 0x80, v6, v1
.LBB16_1840:
	s_or_b32 exec_lo, exec_lo, s5
.LBB16_1841:
	s_or_b32 exec_lo, exec_lo, s3
	s_mov_b32 s3, 0
	global_store_byte v[3:4], v6, off
.LBB16_1842:
	s_and_b32 vcc_lo, exec_lo, s3
	s_cbranch_vccz .LBB16_1852
; %bb.1843:
	v_and_b32_e32 v6, 0x7fffffff, v5
	s_mov_b32 s3, exec_lo
                                        ; implicit-def: $vgpr1
	v_cmpx_gt_u32_e32 0x43f00000, v6
	s_xor_b32 s3, exec_lo, s3
	s_cbranch_execz .LBB16_1849
; %bb.1844:
	s_mov_b32 s4, exec_lo
                                        ; implicit-def: $vgpr1
	v_cmpx_lt_u32_e32 0x3c7fffff, v6
	s_xor_b32 s4, exec_lo, s4
; %bb.1845:
	v_bfe_u32 v1, v5, 20, 1
	v_add3_u32 v1, v5, v1, 0x407ffff
	v_and_b32_e32 v6, 0xff00000, v1
	v_lshrrev_b32_e32 v1, 20, v1
	v_cmp_ne_u32_e32 vcc_lo, 0x7f00000, v6
	v_cndmask_b32_e32 v1, 0x7e, v1, vcc_lo
; %bb.1846:
	s_andn2_saveexec_b32 s4, s4
; %bb.1847:
	v_add_f32_e64 v1, 0x46800000, |v5|
; %bb.1848:
	s_or_b32 exec_lo, exec_lo, s4
                                        ; implicit-def: $vgpr6
.LBB16_1849:
	s_andn2_saveexec_b32 s3, s3
; %bb.1850:
	v_mov_b32_e32 v1, 0x7f
	v_cmp_lt_u32_e32 vcc_lo, 0x7f800000, v6
	v_cndmask_b32_e32 v1, 0x7e, v1, vcc_lo
; %bb.1851:
	s_or_b32 exec_lo, exec_lo, s3
	v_lshrrev_b32_e32 v6, 24, v5
	v_and_or_b32 v1, 0x80, v6, v1
	global_store_byte v[3:4], v1, off
.LBB16_1852:
	s_mov_b32 s3, 0
.LBB16_1853:
	s_andn2_b32 vcc_lo, exec_lo, s3
	s_cbranch_vccnz .LBB16_1863
; %bb.1854:
	v_and_b32_e32 v6, 0x7fffffff, v5
	s_mov_b32 s3, exec_lo
                                        ; implicit-def: $vgpr1
	v_cmpx_gt_u32_e32 0x47800000, v6
	s_xor_b32 s3, exec_lo, s3
	s_cbranch_execz .LBB16_1860
; %bb.1855:
	s_mov_b32 s4, exec_lo
                                        ; implicit-def: $vgpr1
	v_cmpx_lt_u32_e32 0x387fffff, v6
	s_xor_b32 s4, exec_lo, s4
; %bb.1856:
	v_bfe_u32 v1, v5, 21, 1
	v_add3_u32 v1, v5, v1, 0x80fffff
	v_lshrrev_b32_e32 v1, 21, v1
; %bb.1857:
	s_andn2_saveexec_b32 s4, s4
; %bb.1858:
	v_add_f32_e64 v1, 0x43000000, |v5|
; %bb.1859:
	s_or_b32 exec_lo, exec_lo, s4
                                        ; implicit-def: $vgpr6
.LBB16_1860:
	s_andn2_saveexec_b32 s3, s3
; %bb.1861:
	v_mov_b32_e32 v1, 0x7f
	v_cmp_lt_u32_e32 vcc_lo, 0x7f800000, v6
	v_cndmask_b32_e32 v1, 0x7c, v1, vcc_lo
; %bb.1862:
	s_or_b32 exec_lo, exec_lo, s3
	v_lshrrev_b32_e32 v6, 24, v5
	v_and_or_b32 v1, 0x80, v6, v1
	global_store_byte v[3:4], v1, off
.LBB16_1863:
	s_mov_b32 s3, 0
	s_mov_b32 s4, -1
.LBB16_1864:
	s_andn2_b32 vcc_lo, exec_lo, s3
	s_mov_b32 s3, 0
	s_cbranch_vccnz .LBB16_1871
; %bb.1865:
	s_cmp_gt_i32 s2, 14
	s_mov_b32 s3, -1
	s_cbranch_scc0 .LBB16_1869
; %bb.1866:
	s_cmp_eq_u32 s2, 15
	s_mov_b32 s0, -1
	s_cbranch_scc0 .LBB16_1868
; %bb.1867:
	v_bfe_u32 v1, v5, 16, 1
	v_cmp_o_f32_e32 vcc_lo, v5, v5
	v_mov_b32_e32 v6, 0x7fc0
	s_mov_b32 s0, 0
	s_mov_b32 s4, -1
	v_add3_u32 v1, v5, v1, 0x7fff
	v_cndmask_b32_sdwa v1, v6, v1, vcc_lo dst_sel:DWORD dst_unused:UNUSED_PAD src0_sel:DWORD src1_sel:WORD_1
	global_store_short v[3:4], v1, off
.LBB16_1868:
	s_mov_b32 s3, 0
.LBB16_1869:
	s_and_b32 vcc_lo, exec_lo, s3
	s_mov_b32 s3, 0
	s_cbranch_vccz .LBB16_1871
; %bb.1870:
	s_cmp_lg_u32 s2, 11
	s_mov_b32 s3, -1
	s_cselect_b32 s0, -1, 0
.LBB16_1871:
	s_and_b32 vcc_lo, exec_lo, s0
	s_cbranch_vccnz .LBB16_2165
; %bb.1872:
	s_andn2_b32 vcc_lo, exec_lo, s3
	s_cbranch_vccnz .LBB16_1874
.LBB16_1873:
	v_cmp_neq_f32_e32 vcc_lo, 0, v5
	s_mov_b32 s4, -1
	v_cndmask_b32_e64 v1, 0, 1, vcc_lo
	global_store_byte v[3:4], v1, off
.LBB16_1874:
	s_mov_b32 s0, 0
	s_branch .LBB16_1876
.LBB16_1875:
	s_mov_b32 s0, -1
	s_mov_b32 s4, 0
.LBB16_1876:
	s_and_b32 vcc_lo, exec_lo, s0
	s_cbranch_vccz .LBB16_1915
; %bb.1877:
	s_cmp_lt_i32 s2, 5
	s_mov_b32 s0, -1
	s_cbranch_scc1 .LBB16_1898
; %bb.1878:
	s_cmp_lt_i32 s2, 8
	s_cbranch_scc1 .LBB16_1888
; %bb.1879:
	s_cmp_lt_i32 s2, 9
	s_cbranch_scc1 .LBB16_1885
; %bb.1880:
	s_cmp_gt_i32 s2, 9
	s_cbranch_scc0 .LBB16_1882
; %bb.1881:
	v_cvt_f64_f32_e32 v[14:15], v5
	v_mov_b32_e32 v16, 0
	s_mov_b32 s0, 0
	v_mov_b32_e32 v17, v16
	global_store_dwordx4 v[3:4], v[14:17], off
.LBB16_1882:
	s_andn2_b32 vcc_lo, exec_lo, s0
	s_cbranch_vccnz .LBB16_1884
; %bb.1883:
	v_mov_b32_e32 v6, 0
	global_store_dwordx2 v[3:4], v[5:6], off
.LBB16_1884:
	s_mov_b32 s0, 0
.LBB16_1885:
	s_andn2_b32 vcc_lo, exec_lo, s0
	s_cbranch_vccnz .LBB16_1887
; %bb.1886:
	v_cvt_f16_f32_e32 v1, v5
	v_and_b32_e32 v1, 0xffff, v1
	global_store_dword v[3:4], v1, off
.LBB16_1887:
	s_mov_b32 s0, 0
.LBB16_1888:
	s_andn2_b32 vcc_lo, exec_lo, s0
	s_cbranch_vccnz .LBB16_1897
; %bb.1889:
	s_cmp_lt_i32 s2, 6
	s_mov_b32 s0, -1
	s_cbranch_scc1 .LBB16_1895
; %bb.1890:
	s_cmp_gt_i32 s2, 6
	s_cbranch_scc0 .LBB16_1892
; %bb.1891:
	v_cvt_f64_f32_e32 v[6:7], v5
	s_mov_b32 s0, 0
	global_store_dwordx2 v[3:4], v[6:7], off
.LBB16_1892:
	s_andn2_b32 vcc_lo, exec_lo, s0
	s_cbranch_vccnz .LBB16_1894
; %bb.1893:
	global_store_dword v[3:4], v5, off
.LBB16_1894:
	s_mov_b32 s0, 0
.LBB16_1895:
	s_andn2_b32 vcc_lo, exec_lo, s0
	s_cbranch_vccnz .LBB16_1897
; %bb.1896:
	v_cvt_f16_f32_e32 v1, v5
	global_store_short v[3:4], v1, off
.LBB16_1897:
	s_mov_b32 s0, 0
.LBB16_1898:
	s_andn2_b32 vcc_lo, exec_lo, s0
	s_cbranch_vccnz .LBB16_1914
; %bb.1899:
	s_cmp_lt_i32 s2, 2
	s_mov_b32 s0, -1
	s_cbranch_scc1 .LBB16_1909
; %bb.1900:
	s_cmp_lt_i32 s2, 3
	s_cbranch_scc1 .LBB16_1906
; %bb.1901:
	s_cmp_gt_i32 s2, 3
	s_cbranch_scc0 .LBB16_1903
; %bb.1902:
	v_trunc_f32_e32 v1, v5
	s_mov_b32 s0, 0
	v_mul_f32_e64 v6, 0x2f800000, |v1|
	v_floor_f32_e32 v6, v6
	v_fma_f32 v7, 0xcf800000, v6, |v1|
	v_ashrrev_i32_e32 v1, 31, v1
	v_cvt_u32_f32_e32 v6, v6
	v_cvt_u32_f32_e32 v7, v7
	v_xor_b32_e32 v8, v6, v1
	v_xor_b32_e32 v7, v7, v1
	v_sub_co_u32 v6, vcc_lo, v7, v1
	v_sub_co_ci_u32_e64 v7, null, v8, v1, vcc_lo
	global_store_dwordx2 v[3:4], v[6:7], off
.LBB16_1903:
	s_andn2_b32 vcc_lo, exec_lo, s0
	s_cbranch_vccnz .LBB16_1905
; %bb.1904:
	v_cvt_i32_f32_e32 v1, v5
	global_store_dword v[3:4], v1, off
.LBB16_1905:
	s_mov_b32 s0, 0
.LBB16_1906:
	s_andn2_b32 vcc_lo, exec_lo, s0
	s_cbranch_vccnz .LBB16_1908
; %bb.1907:
	v_cvt_i32_f32_e32 v1, v5
	global_store_short v[3:4], v1, off
.LBB16_1908:
	s_mov_b32 s0, 0
.LBB16_1909:
	s_andn2_b32 vcc_lo, exec_lo, s0
	s_cbranch_vccnz .LBB16_1914
; %bb.1910:
	s_cmp_gt_i32 s2, 0
	s_mov_b32 s0, -1
	s_cbranch_scc0 .LBB16_1912
; %bb.1911:
	v_cvt_i32_f32_e32 v1, v5
	s_mov_b32 s0, 0
	global_store_byte v[3:4], v1, off
.LBB16_1912:
	s_andn2_b32 vcc_lo, exec_lo, s0
	s_cbranch_vccnz .LBB16_1914
; %bb.1913:
	v_trunc_f32_e32 v1, v5
	v_mul_f32_e64 v5, 0x2f800000, |v1|
	v_floor_f32_e32 v5, v5
	v_fma_f32 v5, 0xcf800000, v5, |v1|
	v_ashrrev_i32_e32 v1, 31, v1
	v_cvt_u32_f32_e32 v5, v5
	v_xor_b32_e32 v5, v5, v1
	v_sub_nc_u32_e32 v1, v5, v1
	global_store_byte v[3:4], v1, off
.LBB16_1914:
	s_mov_b32 s4, -1
.LBB16_1915:
	s_andn2_b32 vcc_lo, exec_lo, s4
	s_cbranch_vccnz .LBB16_2111
; %bb.1916:
	v_mul_f32_e32 v1, v10, v12
	v_cmp_eq_f32_e32 vcc_lo, 1.0, v12
	s_cmp_lt_i32 s2, 11
	v_cndmask_b32_e32 v3, v1, v10, vcc_lo
	v_add_co_u32 v1, s0, s8, v2
	v_add_co_ci_u32_e64 v2, null, s9, 0, s0
	s_cbranch_scc1 .LBB16_1994
; %bb.1917:
	s_mov_b32 s5, -1
	s_mov_b32 s3, 0
	s_cmp_gt_i32 s2, 25
	s_mov_b32 s4, 0
	s_mov_b32 s0, 0
	s_cbranch_scc0 .LBB16_1950
; %bb.1918:
	s_cmp_gt_i32 s2, 28
	s_cbranch_scc0 .LBB16_1933
; %bb.1919:
	s_cmp_gt_i32 s2, 43
	;; [unrolled: 3-line block ×3, first 2 shown]
	s_cbranch_scc0 .LBB16_1923
; %bb.1921:
	s_mov_b32 s0, -1
	s_mov_b32 s5, 0
	s_cmp_eq_u32 s2, 46
	s_cbranch_scc0 .LBB16_1923
; %bb.1922:
	v_bfe_u32 v4, v3, 16, 1
	v_cmp_o_f32_e32 vcc_lo, v3, v3
	v_mov_b32_e32 v5, 0x7fc0
	s_mov_b32 s0, 0
	s_mov_b32 s4, -1
	v_add3_u32 v4, v3, v4, 0x7fff
	v_cndmask_b32_sdwa v4, v5, v4, vcc_lo dst_sel:DWORD dst_unused:UNUSED_PAD src0_sel:DWORD src1_sel:WORD_1
	global_store_dword v[1:2], v4, off
.LBB16_1923:
	s_and_b32 vcc_lo, exec_lo, s5
	s_cbranch_vccz .LBB16_1928
; %bb.1924:
	s_cmp_eq_u32 s2, 44
	s_mov_b32 s0, -1
	s_cbranch_scc0 .LBB16_1928
; %bb.1925:
	v_bfe_u32 v5, v3, 23, 8
	v_mov_b32_e32 v4, 0xff
	s_mov_b32 s4, exec_lo
	v_cmpx_ne_u32_e32 0xff, v5
	s_cbranch_execz .LBB16_1927
; %bb.1926:
	v_and_b32_e32 v4, 0x400000, v3
	v_and_or_b32 v5, 0x3fffff, v3, v5
	v_cmp_ne_u32_e32 vcc_lo, 0, v4
	v_cmp_ne_u32_e64 s0, 0, v5
	v_lshrrev_b32_e32 v4, 23, v3
	s_and_b32 s0, vcc_lo, s0
	v_cndmask_b32_e64 v5, 0, 1, s0
	v_add_nc_u32_e32 v4, v4, v5
.LBB16_1927:
	s_or_b32 exec_lo, exec_lo, s4
	s_mov_b32 s0, 0
	s_mov_b32 s4, -1
	global_store_byte v[1:2], v4, off
.LBB16_1928:
	s_mov_b32 s5, 0
.LBB16_1929:
	s_and_b32 vcc_lo, exec_lo, s5
	s_cbranch_vccz .LBB16_1932
; %bb.1930:
	s_cmp_eq_u32 s2, 29
	s_mov_b32 s0, -1
	s_cbranch_scc0 .LBB16_1932
; %bb.1931:
	v_trunc_f32_e32 v4, v3
	s_mov_b32 s0, 0
	s_mov_b32 s4, -1
	v_mul_f32_e32 v5, 0x2f800000, v4
	v_floor_f32_e32 v5, v5
	v_fmamk_f32 v4, v5, 0xcf800000, v4
	v_cvt_u32_f32_e32 v5, v5
	v_cvt_u32_f32_e32 v4, v4
	global_store_dwordx2 v[1:2], v[4:5], off
.LBB16_1932:
	s_mov_b32 s5, 0
.LBB16_1933:
	s_and_b32 vcc_lo, exec_lo, s5
	s_cbranch_vccz .LBB16_1949
; %bb.1934:
	s_cmp_lt_i32 s2, 27
	s_mov_b32 s4, -1
	s_cbranch_scc1 .LBB16_1940
; %bb.1935:
	v_cvt_u32_f32_e32 v4, v3
	s_cmp_gt_i32 s2, 27
	s_cbranch_scc0 .LBB16_1937
; %bb.1936:
	s_mov_b32 s4, 0
	global_store_dword v[1:2], v4, off
.LBB16_1937:
	s_andn2_b32 vcc_lo, exec_lo, s4
	s_cbranch_vccnz .LBB16_1939
; %bb.1938:
	global_store_short v[1:2], v4, off
.LBB16_1939:
	s_mov_b32 s4, 0
.LBB16_1940:
	s_andn2_b32 vcc_lo, exec_lo, s4
	s_cbranch_vccnz .LBB16_1948
; %bb.1941:
	v_and_b32_e32 v4, 0x7fffffff, v3
	v_mov_b32_e32 v5, 0x80
	s_mov_b32 s4, exec_lo
	v_cmpx_gt_u32_e32 0x43800000, v4
	s_cbranch_execz .LBB16_1947
; %bb.1942:
	v_cmp_lt_u32_e32 vcc_lo, 0x3bffffff, v4
	s_mov_b32 s5, 0
                                        ; implicit-def: $vgpr4
	s_and_saveexec_b32 s7, vcc_lo
	s_xor_b32 s7, exec_lo, s7
	s_cbranch_execz .LBB16_2168
; %bb.1943:
	v_bfe_u32 v4, v3, 20, 1
	s_mov_b32 s5, exec_lo
	v_add3_u32 v4, v3, v4, 0x487ffff
	v_lshrrev_b32_e32 v4, 20, v4
	s_andn2_saveexec_b32 s7, s7
	s_cbranch_execnz .LBB16_2169
.LBB16_1944:
	s_or_b32 exec_lo, exec_lo, s7
	v_mov_b32_e32 v5, 0
	s_and_saveexec_b32 s7, s5
.LBB16_1945:
	v_lshrrev_b32_e32 v5, 24, v3
	v_and_or_b32 v5, 0x80, v5, v4
.LBB16_1946:
	s_or_b32 exec_lo, exec_lo, s7
.LBB16_1947:
	s_or_b32 exec_lo, exec_lo, s4
	global_store_byte v[1:2], v5, off
.LBB16_1948:
	s_mov_b32 s4, -1
.LBB16_1949:
	s_mov_b32 s5, 0
.LBB16_1950:
	s_and_b32 vcc_lo, exec_lo, s5
	s_cbranch_vccz .LBB16_1990
; %bb.1951:
	s_cmp_gt_i32 s2, 22
	s_mov_b32 s3, -1
	s_cbranch_scc0 .LBB16_1983
; %bb.1952:
	s_cmp_lt_i32 s2, 24
	s_cbranch_scc1 .LBB16_1972
; %bb.1953:
	s_cmp_gt_i32 s2, 24
	s_cbranch_scc0 .LBB16_1961
; %bb.1954:
	v_and_b32_e32 v4, 0x7fffffff, v3
	v_mov_b32_e32 v5, 0x80
	s_mov_b32 s3, exec_lo
	v_cmpx_gt_u32_e32 0x47800000, v4
	s_cbranch_execz .LBB16_1960
; %bb.1955:
	v_cmp_lt_u32_e32 vcc_lo, 0x37ffffff, v4
	s_mov_b32 s4, 0
                                        ; implicit-def: $vgpr4
	s_and_saveexec_b32 s5, vcc_lo
	s_xor_b32 s5, exec_lo, s5
	s_cbranch_execz .LBB16_2171
; %bb.1956:
	v_bfe_u32 v4, v3, 21, 1
	s_mov_b32 s4, exec_lo
	v_add3_u32 v4, v3, v4, 0x88fffff
	v_lshrrev_b32_e32 v4, 21, v4
	s_andn2_saveexec_b32 s5, s5
	s_cbranch_execnz .LBB16_2172
.LBB16_1957:
	s_or_b32 exec_lo, exec_lo, s5
	v_mov_b32_e32 v5, 0
	s_and_saveexec_b32 s5, s4
.LBB16_1958:
	v_lshrrev_b32_e32 v5, 24, v3
	v_and_or_b32 v5, 0x80, v5, v4
.LBB16_1959:
	s_or_b32 exec_lo, exec_lo, s5
.LBB16_1960:
	s_or_b32 exec_lo, exec_lo, s3
	s_mov_b32 s3, 0
	global_store_byte v[1:2], v5, off
.LBB16_1961:
	s_and_b32 vcc_lo, exec_lo, s3
	s_cbranch_vccz .LBB16_1971
; %bb.1962:
	v_and_b32_e32 v5, 0x7fffffff, v3
	s_mov_b32 s3, exec_lo
                                        ; implicit-def: $vgpr4
	v_cmpx_gt_u32_e32 0x43f00000, v5
	s_xor_b32 s3, exec_lo, s3
	s_cbranch_execz .LBB16_1968
; %bb.1963:
	s_mov_b32 s4, exec_lo
                                        ; implicit-def: $vgpr4
	v_cmpx_lt_u32_e32 0x3c7fffff, v5
	s_xor_b32 s4, exec_lo, s4
; %bb.1964:
	v_bfe_u32 v4, v3, 20, 1
	v_add3_u32 v4, v3, v4, 0x407ffff
	v_and_b32_e32 v5, 0xff00000, v4
	v_lshrrev_b32_e32 v4, 20, v4
	v_cmp_ne_u32_e32 vcc_lo, 0x7f00000, v5
	v_cndmask_b32_e32 v4, 0x7e, v4, vcc_lo
; %bb.1965:
	s_andn2_saveexec_b32 s4, s4
; %bb.1966:
	v_add_f32_e64 v4, 0x46800000, |v3|
; %bb.1967:
	s_or_b32 exec_lo, exec_lo, s4
                                        ; implicit-def: $vgpr5
.LBB16_1968:
	s_andn2_saveexec_b32 s3, s3
; %bb.1969:
	v_mov_b32_e32 v4, 0x7f
	v_cmp_lt_u32_e32 vcc_lo, 0x7f800000, v5
	v_cndmask_b32_e32 v4, 0x7e, v4, vcc_lo
; %bb.1970:
	s_or_b32 exec_lo, exec_lo, s3
	v_lshrrev_b32_e32 v5, 24, v3
	v_and_or_b32 v4, 0x80, v5, v4
	global_store_byte v[1:2], v4, off
.LBB16_1971:
	s_mov_b32 s3, 0
.LBB16_1972:
	s_andn2_b32 vcc_lo, exec_lo, s3
	s_cbranch_vccnz .LBB16_1982
; %bb.1973:
	v_and_b32_e32 v5, 0x7fffffff, v3
	s_mov_b32 s3, exec_lo
                                        ; implicit-def: $vgpr4
	v_cmpx_gt_u32_e32 0x47800000, v5
	s_xor_b32 s3, exec_lo, s3
	s_cbranch_execz .LBB16_1979
; %bb.1974:
	s_mov_b32 s4, exec_lo
                                        ; implicit-def: $vgpr4
	v_cmpx_lt_u32_e32 0x387fffff, v5
	s_xor_b32 s4, exec_lo, s4
; %bb.1975:
	v_bfe_u32 v4, v3, 21, 1
	v_add3_u32 v4, v3, v4, 0x80fffff
	v_lshrrev_b32_e32 v4, 21, v4
; %bb.1976:
	s_andn2_saveexec_b32 s4, s4
; %bb.1977:
	v_add_f32_e64 v4, 0x43000000, |v3|
; %bb.1978:
	s_or_b32 exec_lo, exec_lo, s4
                                        ; implicit-def: $vgpr5
.LBB16_1979:
	s_andn2_saveexec_b32 s3, s3
; %bb.1980:
	v_mov_b32_e32 v4, 0x7f
	v_cmp_lt_u32_e32 vcc_lo, 0x7f800000, v5
	v_cndmask_b32_e32 v4, 0x7c, v4, vcc_lo
; %bb.1981:
	s_or_b32 exec_lo, exec_lo, s3
	v_lshrrev_b32_e32 v5, 24, v3
	v_and_or_b32 v4, 0x80, v5, v4
	global_store_byte v[1:2], v4, off
.LBB16_1982:
	s_mov_b32 s3, 0
	s_mov_b32 s4, -1
.LBB16_1983:
	s_andn2_b32 vcc_lo, exec_lo, s3
	s_mov_b32 s3, 0
	s_cbranch_vccnz .LBB16_1990
; %bb.1984:
	s_cmp_gt_i32 s2, 14
	s_mov_b32 s3, -1
	s_cbranch_scc0 .LBB16_1988
; %bb.1985:
	s_cmp_eq_u32 s2, 15
	s_mov_b32 s0, -1
	s_cbranch_scc0 .LBB16_1987
; %bb.1986:
	v_bfe_u32 v4, v3, 16, 1
	v_cmp_o_f32_e32 vcc_lo, v3, v3
	v_mov_b32_e32 v5, 0x7fc0
	s_mov_b32 s0, 0
	s_mov_b32 s4, -1
	v_add3_u32 v4, v3, v4, 0x7fff
	v_cndmask_b32_sdwa v4, v5, v4, vcc_lo dst_sel:DWORD dst_unused:UNUSED_PAD src0_sel:DWORD src1_sel:WORD_1
	global_store_short v[1:2], v4, off
.LBB16_1987:
	s_mov_b32 s3, 0
.LBB16_1988:
	s_and_b32 vcc_lo, exec_lo, s3
	s_mov_b32 s3, 0
	s_cbranch_vccz .LBB16_1990
; %bb.1989:
	s_cmp_lg_u32 s2, 11
	s_mov_b32 s3, -1
	s_cselect_b32 s0, -1, 0
.LBB16_1990:
	s_and_b32 vcc_lo, exec_lo, s0
	s_cbranch_vccnz .LBB16_2170
; %bb.1991:
	s_andn2_b32 vcc_lo, exec_lo, s3
	s_cbranch_vccnz .LBB16_1993
.LBB16_1992:
	v_cmp_neq_f32_e32 vcc_lo, 0, v3
	s_mov_b32 s4, -1
	v_cndmask_b32_e64 v4, 0, 1, vcc_lo
	global_store_byte v[1:2], v4, off
.LBB16_1993:
	s_mov_b32 s0, 0
	s_branch .LBB16_1995
.LBB16_1994:
	s_mov_b32 s0, -1
	s_mov_b32 s4, 0
.LBB16_1995:
	s_and_b32 vcc_lo, exec_lo, s0
	s_cbranch_vccz .LBB16_2034
; %bb.1996:
	s_cmp_lt_i32 s2, 5
	s_mov_b32 s0, -1
	s_cbranch_scc1 .LBB16_2017
; %bb.1997:
	s_cmp_lt_i32 s2, 8
	s_cbranch_scc1 .LBB16_2007
; %bb.1998:
	s_cmp_lt_i32 s2, 9
	s_cbranch_scc1 .LBB16_2004
; %bb.1999:
	s_cmp_gt_i32 s2, 9
	s_cbranch_scc0 .LBB16_2001
; %bb.2000:
	v_cvt_f64_f32_e32 v[4:5], v3
	v_mov_b32_e32 v6, 0
	s_mov_b32 s0, 0
	v_mov_b32_e32 v7, v6
	global_store_dwordx4 v[1:2], v[4:7], off
.LBB16_2001:
	s_andn2_b32 vcc_lo, exec_lo, s0
	s_cbranch_vccnz .LBB16_2003
; %bb.2002:
	v_mov_b32_e32 v4, 0
	global_store_dwordx2 v[1:2], v[3:4], off
.LBB16_2003:
	s_mov_b32 s0, 0
.LBB16_2004:
	s_andn2_b32 vcc_lo, exec_lo, s0
	s_cbranch_vccnz .LBB16_2006
; %bb.2005:
	v_cvt_f16_f32_e32 v4, v3
	v_and_b32_e32 v4, 0xffff, v4
	global_store_dword v[1:2], v4, off
.LBB16_2006:
	s_mov_b32 s0, 0
.LBB16_2007:
	s_andn2_b32 vcc_lo, exec_lo, s0
	s_cbranch_vccnz .LBB16_2016
; %bb.2008:
	s_cmp_lt_i32 s2, 6
	s_mov_b32 s0, -1
	s_cbranch_scc1 .LBB16_2014
; %bb.2009:
	s_cmp_gt_i32 s2, 6
	s_cbranch_scc0 .LBB16_2011
; %bb.2010:
	v_cvt_f64_f32_e32 v[4:5], v3
	s_mov_b32 s0, 0
	global_store_dwordx2 v[1:2], v[4:5], off
.LBB16_2011:
	s_andn2_b32 vcc_lo, exec_lo, s0
	s_cbranch_vccnz .LBB16_2013
; %bb.2012:
	global_store_dword v[1:2], v3, off
.LBB16_2013:
	s_mov_b32 s0, 0
.LBB16_2014:
	s_andn2_b32 vcc_lo, exec_lo, s0
	s_cbranch_vccnz .LBB16_2016
; %bb.2015:
	v_cvt_f16_f32_e32 v4, v3
	global_store_short v[1:2], v4, off
.LBB16_2016:
	s_mov_b32 s0, 0
.LBB16_2017:
	s_andn2_b32 vcc_lo, exec_lo, s0
	s_cbranch_vccnz .LBB16_2033
; %bb.2018:
	s_cmp_lt_i32 s2, 2
	s_mov_b32 s0, -1
	s_cbranch_scc1 .LBB16_2028
; %bb.2019:
	s_cmp_lt_i32 s2, 3
	s_cbranch_scc1 .LBB16_2025
; %bb.2020:
	s_cmp_gt_i32 s2, 3
	s_cbranch_scc0 .LBB16_2022
; %bb.2021:
	v_trunc_f32_e32 v4, v3
	s_mov_b32 s0, 0
	v_mul_f32_e64 v5, 0x2f800000, |v4|
	v_ashrrev_i32_e32 v7, 31, v4
	v_floor_f32_e32 v5, v5
	v_fma_f32 v6, 0xcf800000, v5, |v4|
	v_cvt_u32_f32_e32 v5, v5
	v_cvt_u32_f32_e32 v4, v6
	v_xor_b32_e32 v5, v5, v7
	v_xor_b32_e32 v4, v4, v7
	v_sub_co_u32 v4, vcc_lo, v4, v7
	v_sub_co_ci_u32_e64 v5, null, v5, v7, vcc_lo
	global_store_dwordx2 v[1:2], v[4:5], off
.LBB16_2022:
	s_andn2_b32 vcc_lo, exec_lo, s0
	s_cbranch_vccnz .LBB16_2024
; %bb.2023:
	v_cvt_i32_f32_e32 v4, v3
	global_store_dword v[1:2], v4, off
.LBB16_2024:
	s_mov_b32 s0, 0
.LBB16_2025:
	s_andn2_b32 vcc_lo, exec_lo, s0
	s_cbranch_vccnz .LBB16_2027
; %bb.2026:
	v_cvt_i32_f32_e32 v4, v3
	global_store_short v[1:2], v4, off
.LBB16_2027:
	s_mov_b32 s0, 0
.LBB16_2028:
	s_andn2_b32 vcc_lo, exec_lo, s0
	s_cbranch_vccnz .LBB16_2033
; %bb.2029:
	s_cmp_gt_i32 s2, 0
	s_mov_b32 s0, -1
	s_cbranch_scc0 .LBB16_2031
; %bb.2030:
	v_cvt_i32_f32_e32 v4, v3
	s_mov_b32 s0, 0
	global_store_byte v[1:2], v4, off
.LBB16_2031:
	s_andn2_b32 vcc_lo, exec_lo, s0
	s_cbranch_vccnz .LBB16_2033
; %bb.2032:
	v_trunc_f32_e32 v3, v3
	v_mul_f32_e64 v4, 0x2f800000, |v3|
	v_floor_f32_e32 v4, v4
	v_fma_f32 v4, 0xcf800000, v4, |v3|
	v_ashrrev_i32_e32 v3, 31, v3
	v_cvt_u32_f32_e32 v4, v4
	v_xor_b32_e32 v4, v4, v3
	v_sub_nc_u32_e32 v3, v4, v3
	global_store_byte v[1:2], v3, off
.LBB16_2033:
	s_mov_b32 s4, -1
.LBB16_2034:
	s_andn2_b32 vcc_lo, exec_lo, s4
	s_cbranch_vccnz .LBB16_2111
; %bb.2035:
	s_waitcnt vmcnt(0)
	v_mul_f32_e32 v1, v9, v13
	v_cmp_eq_f32_e32 vcc_lo, 1.0, v13
	v_add_co_u32 v0, s0, s8, v0
	s_cmp_lt_i32 s2, 11
	v_cndmask_b32_e32 v2, v1, v9, vcc_lo
	v_add_co_ci_u32_e64 v1, null, s9, 0, s0
	s_cbranch_scc1 .LBB16_2156
; %bb.2036:
	s_mov_b32 s4, -1
	s_mov_b32 s3, 0
	s_cmp_gt_i32 s2, 25
	s_mov_b32 s0, 0
	s_cbranch_scc0 .LBB16_2069
; %bb.2037:
	s_cmp_gt_i32 s2, 28
	s_cbranch_scc0 .LBB16_2053
; %bb.2038:
	s_cmp_gt_i32 s2, 43
	;; [unrolled: 3-line block ×3, first 2 shown]
	s_cbranch_scc0 .LBB16_2043
; %bb.2040:
	s_cmp_eq_u32 s2, 46
	s_mov_b32 s0, -1
	s_cbranch_scc0 .LBB16_2042
; %bb.2041:
	v_bfe_u32 v3, v2, 16, 1
	v_cmp_o_f32_e32 vcc_lo, v2, v2
	v_mov_b32_e32 v4, 0x7fc0
	s_mov_b32 s0, 0
	v_add3_u32 v3, v2, v3, 0x7fff
	v_cndmask_b32_sdwa v3, v4, v3, vcc_lo dst_sel:DWORD dst_unused:UNUSED_PAD src0_sel:DWORD src1_sel:WORD_1
	global_store_dword v[0:1], v3, off
.LBB16_2042:
	s_mov_b32 s4, 0
.LBB16_2043:
	s_and_b32 vcc_lo, exec_lo, s4
	s_cbranch_vccz .LBB16_2048
; %bb.2044:
	s_cmp_eq_u32 s2, 44
	s_mov_b32 s0, -1
	s_cbranch_scc0 .LBB16_2048
; %bb.2045:
	v_bfe_u32 v4, v2, 23, 8
	v_mov_b32_e32 v3, 0xff
	s_mov_b32 s4, exec_lo
	v_cmpx_ne_u32_e32 0xff, v4
	s_cbranch_execz .LBB16_2047
; %bb.2046:
	v_and_b32_e32 v3, 0x400000, v2
	v_and_or_b32 v4, 0x3fffff, v2, v4
	v_cmp_ne_u32_e32 vcc_lo, 0, v3
	v_cmp_ne_u32_e64 s0, 0, v4
	v_lshrrev_b32_e32 v3, 23, v2
	s_and_b32 s0, vcc_lo, s0
	v_cndmask_b32_e64 v4, 0, 1, s0
	v_add_nc_u32_e32 v3, v3, v4
.LBB16_2047:
	s_or_b32 exec_lo, exec_lo, s4
	s_mov_b32 s0, 0
	global_store_byte v[0:1], v3, off
.LBB16_2048:
	s_mov_b32 s4, 0
.LBB16_2049:
	s_and_b32 vcc_lo, exec_lo, s4
	s_cbranch_vccz .LBB16_2052
; %bb.2050:
	s_cmp_eq_u32 s2, 29
	s_mov_b32 s0, -1
	s_cbranch_scc0 .LBB16_2052
; %bb.2051:
	v_trunc_f32_e32 v3, v2
	s_mov_b32 s0, 0
	v_mul_f32_e32 v4, 0x2f800000, v3
	v_floor_f32_e32 v4, v4
	v_fmamk_f32 v3, v4, 0xcf800000, v3
	v_cvt_u32_f32_e32 v4, v4
	v_cvt_u32_f32_e32 v3, v3
	global_store_dwordx2 v[0:1], v[3:4], off
.LBB16_2052:
	s_mov_b32 s4, 0
.LBB16_2053:
	s_and_b32 vcc_lo, exec_lo, s4
	s_cbranch_vccz .LBB16_2068
; %bb.2054:
	s_cmp_lt_i32 s2, 27
	s_mov_b32 s4, -1
	s_cbranch_scc1 .LBB16_2060
; %bb.2055:
	s_cmp_gt_i32 s2, 27
	s_cbranch_scc0 .LBB16_2057
; %bb.2056:
	v_cvt_u32_f32_e32 v3, v2
	s_mov_b32 s4, 0
	global_store_dword v[0:1], v3, off
.LBB16_2057:
	s_andn2_b32 vcc_lo, exec_lo, s4
	s_cbranch_vccnz .LBB16_2059
; %bb.2058:
	v_cvt_u32_f32_e32 v3, v2
	global_store_short v[0:1], v3, off
.LBB16_2059:
	s_mov_b32 s4, 0
.LBB16_2060:
	s_andn2_b32 vcc_lo, exec_lo, s4
	s_cbranch_vccnz .LBB16_2068
; %bb.2061:
	v_and_b32_e32 v3, 0x7fffffff, v2
	v_mov_b32_e32 v4, 0x80
	s_mov_b32 s4, exec_lo
	v_cmpx_gt_u32_e32 0x43800000, v3
	s_cbranch_execz .LBB16_2067
; %bb.2062:
	v_cmp_lt_u32_e32 vcc_lo, 0x3bffffff, v3
	s_mov_b32 s5, 0
                                        ; implicit-def: $vgpr3
	s_and_saveexec_b32 s7, vcc_lo
	s_xor_b32 s7, exec_lo, s7
	s_cbranch_execz .LBB16_2173
; %bb.2063:
	v_bfe_u32 v3, v2, 20, 1
	s_mov_b32 s5, exec_lo
	v_add3_u32 v3, v2, v3, 0x487ffff
	v_lshrrev_b32_e32 v3, 20, v3
	s_andn2_saveexec_b32 s7, s7
	s_cbranch_execnz .LBB16_2174
.LBB16_2064:
	s_or_b32 exec_lo, exec_lo, s7
	v_mov_b32_e32 v4, 0
	s_and_saveexec_b32 s7, s5
.LBB16_2065:
	v_lshrrev_b32_e32 v4, 24, v2
	v_and_or_b32 v4, 0x80, v4, v3
.LBB16_2066:
	s_or_b32 exec_lo, exec_lo, s7
.LBB16_2067:
	s_or_b32 exec_lo, exec_lo, s4
	global_store_byte v[0:1], v4, off
.LBB16_2068:
	s_mov_b32 s4, 0
.LBB16_2069:
	s_and_b32 vcc_lo, exec_lo, s4
	s_cbranch_vccz .LBB16_2109
; %bb.2070:
	s_cmp_gt_i32 s2, 22
	s_mov_b32 s3, -1
	s_cbranch_scc0 .LBB16_2102
; %bb.2071:
	s_cmp_lt_i32 s2, 24
	s_cbranch_scc1 .LBB16_2091
; %bb.2072:
	s_cmp_gt_i32 s2, 24
	s_cbranch_scc0 .LBB16_2080
; %bb.2073:
	v_and_b32_e32 v3, 0x7fffffff, v2
	v_mov_b32_e32 v4, 0x80
	s_mov_b32 s3, exec_lo
	v_cmpx_gt_u32_e32 0x47800000, v3
	s_cbranch_execz .LBB16_2079
; %bb.2074:
	v_cmp_lt_u32_e32 vcc_lo, 0x37ffffff, v3
	s_mov_b32 s4, 0
                                        ; implicit-def: $vgpr3
	s_and_saveexec_b32 s5, vcc_lo
	s_xor_b32 s5, exec_lo, s5
	s_cbranch_execz .LBB16_2176
; %bb.2075:
	v_bfe_u32 v3, v2, 21, 1
	s_mov_b32 s4, exec_lo
	v_add3_u32 v3, v2, v3, 0x88fffff
	v_lshrrev_b32_e32 v3, 21, v3
	s_andn2_saveexec_b32 s5, s5
	s_cbranch_execnz .LBB16_2177
.LBB16_2076:
	s_or_b32 exec_lo, exec_lo, s5
	v_mov_b32_e32 v4, 0
	s_and_saveexec_b32 s5, s4
.LBB16_2077:
	v_lshrrev_b32_e32 v4, 24, v2
	v_and_or_b32 v4, 0x80, v4, v3
.LBB16_2078:
	s_or_b32 exec_lo, exec_lo, s5
.LBB16_2079:
	s_or_b32 exec_lo, exec_lo, s3
	s_mov_b32 s3, 0
	global_store_byte v[0:1], v4, off
.LBB16_2080:
	s_and_b32 vcc_lo, exec_lo, s3
	s_cbranch_vccz .LBB16_2090
; %bb.2081:
	v_and_b32_e32 v4, 0x7fffffff, v2
	s_mov_b32 s3, exec_lo
                                        ; implicit-def: $vgpr3
	v_cmpx_gt_u32_e32 0x43f00000, v4
	s_xor_b32 s3, exec_lo, s3
	s_cbranch_execz .LBB16_2087
; %bb.2082:
	s_mov_b32 s4, exec_lo
                                        ; implicit-def: $vgpr3
	v_cmpx_lt_u32_e32 0x3c7fffff, v4
	s_xor_b32 s4, exec_lo, s4
; %bb.2083:
	v_bfe_u32 v3, v2, 20, 1
	v_add3_u32 v3, v2, v3, 0x407ffff
	v_and_b32_e32 v4, 0xff00000, v3
	v_lshrrev_b32_e32 v3, 20, v3
	v_cmp_ne_u32_e32 vcc_lo, 0x7f00000, v4
	v_cndmask_b32_e32 v3, 0x7e, v3, vcc_lo
; %bb.2084:
	s_andn2_saveexec_b32 s4, s4
; %bb.2085:
	v_add_f32_e64 v3, 0x46800000, |v2|
; %bb.2086:
	s_or_b32 exec_lo, exec_lo, s4
                                        ; implicit-def: $vgpr4
.LBB16_2087:
	s_andn2_saveexec_b32 s3, s3
; %bb.2088:
	v_mov_b32_e32 v3, 0x7f
	v_cmp_lt_u32_e32 vcc_lo, 0x7f800000, v4
	v_cndmask_b32_e32 v3, 0x7e, v3, vcc_lo
; %bb.2089:
	s_or_b32 exec_lo, exec_lo, s3
	v_lshrrev_b32_e32 v4, 24, v2
	v_and_or_b32 v3, 0x80, v4, v3
	global_store_byte v[0:1], v3, off
.LBB16_2090:
	s_mov_b32 s3, 0
.LBB16_2091:
	s_andn2_b32 vcc_lo, exec_lo, s3
	s_cbranch_vccnz .LBB16_2101
; %bb.2092:
	v_and_b32_e32 v4, 0x7fffffff, v2
	s_mov_b32 s3, exec_lo
                                        ; implicit-def: $vgpr3
	v_cmpx_gt_u32_e32 0x47800000, v4
	s_xor_b32 s3, exec_lo, s3
	s_cbranch_execz .LBB16_2098
; %bb.2093:
	s_mov_b32 s4, exec_lo
                                        ; implicit-def: $vgpr3
	v_cmpx_lt_u32_e32 0x387fffff, v4
	s_xor_b32 s4, exec_lo, s4
; %bb.2094:
	v_bfe_u32 v3, v2, 21, 1
	v_add3_u32 v3, v2, v3, 0x80fffff
	v_lshrrev_b32_e32 v3, 21, v3
; %bb.2095:
	s_andn2_saveexec_b32 s4, s4
; %bb.2096:
	v_add_f32_e64 v3, 0x43000000, |v2|
; %bb.2097:
	s_or_b32 exec_lo, exec_lo, s4
                                        ; implicit-def: $vgpr4
.LBB16_2098:
	s_andn2_saveexec_b32 s3, s3
; %bb.2099:
	v_mov_b32_e32 v3, 0x7f
	v_cmp_lt_u32_e32 vcc_lo, 0x7f800000, v4
	v_cndmask_b32_e32 v3, 0x7c, v3, vcc_lo
; %bb.2100:
	s_or_b32 exec_lo, exec_lo, s3
	v_lshrrev_b32_e32 v4, 24, v2
	v_and_or_b32 v3, 0x80, v4, v3
	global_store_byte v[0:1], v3, off
.LBB16_2101:
	s_mov_b32 s3, 0
.LBB16_2102:
	s_andn2_b32 vcc_lo, exec_lo, s3
	s_mov_b32 s3, 0
	s_cbranch_vccnz .LBB16_2109
; %bb.2103:
	s_cmp_gt_i32 s2, 14
	s_mov_b32 s3, -1
	s_cbranch_scc0 .LBB16_2107
; %bb.2104:
	s_cmp_eq_u32 s2, 15
	s_mov_b32 s0, -1
	s_cbranch_scc0 .LBB16_2106
; %bb.2105:
	v_bfe_u32 v3, v2, 16, 1
	v_cmp_o_f32_e32 vcc_lo, v2, v2
	v_mov_b32_e32 v4, 0x7fc0
	s_mov_b32 s0, 0
	v_add3_u32 v3, v2, v3, 0x7fff
	v_cndmask_b32_sdwa v3, v4, v3, vcc_lo dst_sel:DWORD dst_unused:UNUSED_PAD src0_sel:DWORD src1_sel:WORD_1
	global_store_short v[0:1], v3, off
.LBB16_2106:
	s_mov_b32 s3, 0
.LBB16_2107:
	s_and_b32 vcc_lo, exec_lo, s3
	s_mov_b32 s3, 0
	s_cbranch_vccz .LBB16_2109
; %bb.2108:
	s_cmp_lg_u32 s2, 11
	s_mov_b32 s3, -1
	s_cselect_b32 s0, -1, 0
.LBB16_2109:
	s_and_b32 vcc_lo, exec_lo, s0
	s_cbranch_vccnz .LBB16_2175
.LBB16_2110:
	s_mov_b32 s0, 0
	s_branch .LBB16_2112
.LBB16_2111:
	s_mov_b32 s0, 0
	s_mov_b32 s3, 0
                                        ; implicit-def: $vgpr0_vgpr1
                                        ; implicit-def: $sgpr6
                                        ; implicit-def: $vgpr2
.LBB16_2112:
	s_andn2_b32 s2, s16, exec_lo
	s_and_b32 s1, s1, exec_lo
	s_and_b32 s0, s0, exec_lo
	;; [unrolled: 1-line block ×3, first 2 shown]
	s_or_b32 s16, s2, s1
.LBB16_2113:
	s_or_b32 exec_lo, exec_lo, s17
	s_and_saveexec_b32 s1, s16
	s_cbranch_execz .LBB16_2116
; %bb.2114:
	; divergent unreachable
	s_or_b32 exec_lo, exec_lo, s1
	s_and_saveexec_b32 s1, s30
	s_xor_b32 s1, exec_lo, s1
	s_cbranch_execnz .LBB16_2117
.LBB16_2115:
	s_or_b32 exec_lo, exec_lo, s1
	s_and_saveexec_b32 s1, s0
	s_cbranch_execnz .LBB16_2118
	s_branch .LBB16_2155
.LBB16_2116:
	s_or_b32 exec_lo, exec_lo, s1
	s_and_saveexec_b32 s1, s30
	s_xor_b32 s1, exec_lo, s1
	s_cbranch_execz .LBB16_2115
.LBB16_2117:
	v_cmp_neq_f32_e32 vcc_lo, 0, v2
	s_waitcnt vmcnt(0)
	v_cndmask_b32_e64 v3, 0, 1, vcc_lo
	global_store_byte v[0:1], v3, off
	s_or_b32 exec_lo, exec_lo, s1
	s_and_saveexec_b32 s1, s0
	s_cbranch_execz .LBB16_2155
.LBB16_2118:
	s_sext_i32_i16 s1, s6
	s_mov_b32 s0, -1
	s_cmp_lt_i32 s1, 5
	s_cbranch_scc1 .LBB16_2139
; %bb.2119:
	s_cmp_lt_i32 s1, 8
	s_cbranch_scc1 .LBB16_2129
; %bb.2120:
	;; [unrolled: 3-line block ×3, first 2 shown]
	s_cmp_gt_i32 s1, 9
	s_cbranch_scc0 .LBB16_2123
; %bb.2122:
	s_waitcnt vmcnt(0)
	v_cvt_f64_f32_e32 v[3:4], v2
	v_mov_b32_e32 v5, 0
	s_mov_b32 s0, 0
	v_mov_b32_e32 v6, v5
	global_store_dwordx4 v[0:1], v[3:6], off
.LBB16_2123:
	s_andn2_b32 vcc_lo, exec_lo, s0
	s_cbranch_vccnz .LBB16_2125
; %bb.2124:
	s_waitcnt vmcnt(0)
	v_mov_b32_e32 v3, 0
	global_store_dwordx2 v[0:1], v[2:3], off
.LBB16_2125:
	s_mov_b32 s0, 0
.LBB16_2126:
	s_andn2_b32 vcc_lo, exec_lo, s0
	s_cbranch_vccnz .LBB16_2128
; %bb.2127:
	s_waitcnt vmcnt(0)
	v_cvt_f16_f32_e32 v3, v2
	v_and_b32_e32 v3, 0xffff, v3
	global_store_dword v[0:1], v3, off
.LBB16_2128:
	s_mov_b32 s0, 0
.LBB16_2129:
	s_andn2_b32 vcc_lo, exec_lo, s0
	s_cbranch_vccnz .LBB16_2138
; %bb.2130:
	s_sext_i32_i16 s1, s6
	s_mov_b32 s0, -1
	s_cmp_lt_i32 s1, 6
	s_cbranch_scc1 .LBB16_2136
; %bb.2131:
	s_cmp_gt_i32 s1, 6
	s_cbranch_scc0 .LBB16_2133
; %bb.2132:
	s_waitcnt vmcnt(0)
	v_cvt_f64_f32_e32 v[3:4], v2
	s_mov_b32 s0, 0
	global_store_dwordx2 v[0:1], v[3:4], off
.LBB16_2133:
	s_andn2_b32 vcc_lo, exec_lo, s0
	s_cbranch_vccnz .LBB16_2135
; %bb.2134:
	s_waitcnt vmcnt(0)
	global_store_dword v[0:1], v2, off
.LBB16_2135:
	s_mov_b32 s0, 0
.LBB16_2136:
	s_andn2_b32 vcc_lo, exec_lo, s0
	s_cbranch_vccnz .LBB16_2138
; %bb.2137:
	s_waitcnt vmcnt(0)
	v_cvt_f16_f32_e32 v3, v2
	global_store_short v[0:1], v3, off
.LBB16_2138:
	s_mov_b32 s0, 0
.LBB16_2139:
	s_andn2_b32 vcc_lo, exec_lo, s0
	s_cbranch_vccnz .LBB16_2155
; %bb.2140:
	s_sext_i32_i16 s1, s6
	s_mov_b32 s0, -1
	s_cmp_lt_i32 s1, 2
	s_cbranch_scc1 .LBB16_2150
; %bb.2141:
	s_cmp_lt_i32 s1, 3
	s_cbranch_scc1 .LBB16_2147
; %bb.2142:
	s_cmp_gt_i32 s1, 3
	s_cbranch_scc0 .LBB16_2144
; %bb.2143:
	s_waitcnt vmcnt(0)
	v_trunc_f32_e32 v3, v2
	s_mov_b32 s0, 0
	v_mul_f32_e64 v4, 0x2f800000, |v3|
	v_ashrrev_i32_e32 v6, 31, v3
	v_floor_f32_e32 v4, v4
	v_fma_f32 v5, 0xcf800000, v4, |v3|
	v_cvt_u32_f32_e32 v4, v4
	v_cvt_u32_f32_e32 v3, v5
	v_xor_b32_e32 v4, v4, v6
	v_xor_b32_e32 v3, v3, v6
	v_sub_co_u32 v3, vcc_lo, v3, v6
	v_sub_co_ci_u32_e64 v4, null, v4, v6, vcc_lo
	global_store_dwordx2 v[0:1], v[3:4], off
.LBB16_2144:
	s_andn2_b32 vcc_lo, exec_lo, s0
	s_cbranch_vccnz .LBB16_2146
; %bb.2145:
	s_waitcnt vmcnt(0)
	v_cvt_i32_f32_e32 v3, v2
	global_store_dword v[0:1], v3, off
.LBB16_2146:
	s_mov_b32 s0, 0
.LBB16_2147:
	s_andn2_b32 vcc_lo, exec_lo, s0
	s_cbranch_vccnz .LBB16_2149
; %bb.2148:
	s_waitcnt vmcnt(0)
	v_cvt_i32_f32_e32 v3, v2
	global_store_short v[0:1], v3, off
.LBB16_2149:
	s_mov_b32 s0, 0
.LBB16_2150:
	s_andn2_b32 vcc_lo, exec_lo, s0
	s_cbranch_vccnz .LBB16_2155
; %bb.2151:
	s_sext_i32_i16 s0, s6
	s_cmp_gt_i32 s0, 0
	s_mov_b32 s0, -1
	s_cbranch_scc0 .LBB16_2153
; %bb.2152:
	s_waitcnt vmcnt(0)
	v_cvt_i32_f32_e32 v3, v2
	s_mov_b32 s0, 0
	global_store_byte v[0:1], v3, off
.LBB16_2153:
	s_andn2_b32 vcc_lo, exec_lo, s0
	s_cbranch_vccnz .LBB16_2155
; %bb.2154:
	v_trunc_f32_e32 v2, v2
	s_waitcnt vmcnt(0)
	v_mul_f32_e64 v3, 0x2f800000, |v2|
	v_floor_f32_e32 v3, v3
	v_fma_f32 v3, 0xcf800000, v3, |v2|
	v_ashrrev_i32_e32 v2, 31, v2
	v_cvt_u32_f32_e32 v3, v3
	v_xor_b32_e32 v3, v3, v2
	v_sub_nc_u32_e32 v2, v3, v2
	global_store_byte v[0:1], v2, off
	s_endpgm
.LBB16_2155:
	s_endpgm
.LBB16_2156:
	s_mov_b32 s3, 0
	s_mov_b32 s0, -1
	s_branch .LBB16_2112
.LBB16_2157:
	s_or_b32 s1, s1, exec_lo
	s_trap 2
	s_cbranch_execz .LBB16_1624
	s_branch .LBB16_1625
.LBB16_2158:
	s_andn2_saveexec_b32 s7, s7
	s_cbranch_execz .LBB16_1706
.LBB16_2159:
	v_add_f32_e64 v1, 0x46000000, |v7|
	s_andn2_b32 s5, s5, exec_lo
	v_and_b32_e32 v1, 0xff, v1
	v_cmp_ne_u32_e32 vcc_lo, 0, v1
	s_and_b32 s10, vcc_lo, exec_lo
	s_or_b32 s5, s5, s10
	s_or_b32 exec_lo, exec_lo, s7
	v_mov_b32_e32 v8, 0
	s_and_saveexec_b32 s7, s5
	s_cbranch_execnz .LBB16_1707
	s_branch .LBB16_1708
.LBB16_2160:
	s_or_b32 s1, s1, exec_lo
	s_trap 2
	s_cbranch_execz .LBB16_1754
	s_branch .LBB16_1755
.LBB16_2161:
	s_andn2_saveexec_b32 s5, s5
	s_cbranch_execz .LBB16_1719
.LBB16_2162:
	v_add_f32_e64 v1, 0x42800000, |v7|
	s_andn2_b32 s4, s4, exec_lo
	v_and_b32_e32 v1, 0xff, v1
	v_cmp_ne_u32_e32 vcc_lo, 0, v1
	s_and_b32 s7, vcc_lo, exec_lo
	s_or_b32 s4, s4, s7
	s_or_b32 exec_lo, exec_lo, s5
	v_mov_b32_e32 v8, 0
	s_and_saveexec_b32 s5, s4
	s_cbranch_execnz .LBB16_1720
	s_branch .LBB16_1721
.LBB16_2163:
	s_andn2_saveexec_b32 s7, s7
	s_cbranch_execz .LBB16_1825
.LBB16_2164:
	v_add_f32_e64 v1, 0x46000000, |v5|
	s_andn2_b32 s5, s5, exec_lo
	v_and_b32_e32 v1, 0xff, v1
	v_cmp_ne_u32_e32 vcc_lo, 0, v1
	s_and_b32 s10, vcc_lo, exec_lo
	s_or_b32 s5, s5, s10
	s_or_b32 exec_lo, exec_lo, s7
	v_mov_b32_e32 v6, 0
	s_and_saveexec_b32 s7, s5
	s_cbranch_execnz .LBB16_1826
	s_branch .LBB16_1827
.LBB16_2165:
	s_or_b32 s1, s1, exec_lo
	s_trap 2
	s_cbranch_execz .LBB16_1873
	s_branch .LBB16_1874
.LBB16_2166:
	s_andn2_saveexec_b32 s5, s5
	s_cbranch_execz .LBB16_1838
.LBB16_2167:
	v_add_f32_e64 v1, 0x42800000, |v5|
	s_andn2_b32 s4, s4, exec_lo
	v_and_b32_e32 v1, 0xff, v1
	v_cmp_ne_u32_e32 vcc_lo, 0, v1
	s_and_b32 s7, vcc_lo, exec_lo
	s_or_b32 s4, s4, s7
	s_or_b32 exec_lo, exec_lo, s5
	v_mov_b32_e32 v6, 0
	s_and_saveexec_b32 s5, s4
	s_cbranch_execnz .LBB16_1839
	s_branch .LBB16_1840
.LBB16_2168:
	s_andn2_saveexec_b32 s7, s7
	s_cbranch_execz .LBB16_1944
.LBB16_2169:
	v_add_f32_e64 v4, 0x46000000, |v3|
	s_andn2_b32 s5, s5, exec_lo
	v_and_b32_e32 v4, 0xff, v4
	v_cmp_ne_u32_e32 vcc_lo, 0, v4
	s_and_b32 s10, vcc_lo, exec_lo
	s_or_b32 s5, s5, s10
	s_or_b32 exec_lo, exec_lo, s7
	v_mov_b32_e32 v5, 0
	s_and_saveexec_b32 s7, s5
	s_cbranch_execnz .LBB16_1945
	s_branch .LBB16_1946
.LBB16_2170:
	s_or_b32 s1, s1, exec_lo
	s_trap 2
	s_cbranch_execz .LBB16_1992
	s_branch .LBB16_1993
.LBB16_2171:
	s_andn2_saveexec_b32 s5, s5
	s_cbranch_execz .LBB16_1957
.LBB16_2172:
	v_add_f32_e64 v4, 0x42800000, |v3|
	s_andn2_b32 s4, s4, exec_lo
	v_and_b32_e32 v4, 0xff, v4
	v_cmp_ne_u32_e32 vcc_lo, 0, v4
	s_and_b32 s7, vcc_lo, exec_lo
	s_or_b32 s4, s4, s7
	s_or_b32 exec_lo, exec_lo, s5
	v_mov_b32_e32 v5, 0
	s_and_saveexec_b32 s5, s4
	s_cbranch_execnz .LBB16_1958
	s_branch .LBB16_1959
.LBB16_2173:
	s_andn2_saveexec_b32 s7, s7
	s_cbranch_execz .LBB16_2064
.LBB16_2174:
	v_add_f32_e64 v3, 0x46000000, |v2|
	s_andn2_b32 s5, s5, exec_lo
	v_and_b32_e32 v3, 0xff, v3
	v_cmp_ne_u32_e32 vcc_lo, 0, v3
	s_and_b32 s8, vcc_lo, exec_lo
	s_or_b32 s5, s5, s8
	s_or_b32 exec_lo, exec_lo, s7
	v_mov_b32_e32 v4, 0
	s_and_saveexec_b32 s7, s5
	s_cbranch_execnz .LBB16_2065
	s_branch .LBB16_2066
.LBB16_2175:
	s_mov_b32 s3, 0
	s_or_b32 s1, s1, exec_lo
	s_trap 2
	s_branch .LBB16_2110
.LBB16_2176:
	s_andn2_saveexec_b32 s5, s5
	s_cbranch_execz .LBB16_2076
.LBB16_2177:
	v_add_f32_e64 v3, 0x42800000, |v2|
	s_andn2_b32 s4, s4, exec_lo
	v_and_b32_e32 v3, 0xff, v3
	v_cmp_ne_u32_e32 vcc_lo, 0, v3
	s_and_b32 s7, vcc_lo, exec_lo
	s_or_b32 s4, s4, s7
	s_or_b32 exec_lo, exec_lo, s5
	v_mov_b32_e32 v4, 0
	s_and_saveexec_b32 s5, s4
	s_cbranch_execnz .LBB16_2077
	s_branch .LBB16_2078
	.section	.rodata,"a",@progbits
	.p2align	6, 0x0
	.amdhsa_kernel _ZN2at6native32elementwise_kernel_manual_unrollILi128ELi4EZNS0_15gpu_kernel_implIZZZNS0_12_GLOBAL__N_139_amp_non_finite_check_and_unscale_cuda_ERNS_6TensorES5_RKS4_ENKUlvE_clEvENKUlvE0_clEvEUlfE_EEvRNS_18TensorIteratorBaseERKT_EUlibE0_EEviT1_
		.amdhsa_group_segment_fixed_size 0
		.amdhsa_private_segment_fixed_size 0
		.amdhsa_kernarg_size 376
		.amdhsa_user_sgpr_count 6
		.amdhsa_user_sgpr_private_segment_buffer 1
		.amdhsa_user_sgpr_dispatch_ptr 0
		.amdhsa_user_sgpr_queue_ptr 0
		.amdhsa_user_sgpr_kernarg_segment_ptr 1
		.amdhsa_user_sgpr_dispatch_id 0
		.amdhsa_user_sgpr_flat_scratch_init 0
		.amdhsa_user_sgpr_private_segment_size 0
		.amdhsa_wavefront_size32 1
		.amdhsa_uses_dynamic_stack 0
		.amdhsa_system_sgpr_private_segment_wavefront_offset 0
		.amdhsa_system_sgpr_workgroup_id_x 1
		.amdhsa_system_sgpr_workgroup_id_y 0
		.amdhsa_system_sgpr_workgroup_id_z 0
		.amdhsa_system_sgpr_workgroup_info 0
		.amdhsa_system_vgpr_workitem_id 0
		.amdhsa_next_free_vgpr 18
		.amdhsa_next_free_sgpr 72
		.amdhsa_reserve_vcc 1
		.amdhsa_reserve_flat_scratch 0
		.amdhsa_float_round_mode_32 0
		.amdhsa_float_round_mode_16_64 0
		.amdhsa_float_denorm_mode_32 3
		.amdhsa_float_denorm_mode_16_64 3
		.amdhsa_dx10_clamp 1
		.amdhsa_ieee_mode 1
		.amdhsa_fp16_overflow 0
		.amdhsa_workgroup_processor_mode 1
		.amdhsa_memory_ordered 1
		.amdhsa_forward_progress 1
		.amdhsa_shared_vgpr_count 0
		.amdhsa_exception_fp_ieee_invalid_op 0
		.amdhsa_exception_fp_denorm_src 0
		.amdhsa_exception_fp_ieee_div_zero 0
		.amdhsa_exception_fp_ieee_overflow 0
		.amdhsa_exception_fp_ieee_underflow 0
		.amdhsa_exception_fp_ieee_inexact 0
		.amdhsa_exception_int_div_zero 0
	.end_amdhsa_kernel
	.section	.text._ZN2at6native32elementwise_kernel_manual_unrollILi128ELi4EZNS0_15gpu_kernel_implIZZZNS0_12_GLOBAL__N_139_amp_non_finite_check_and_unscale_cuda_ERNS_6TensorES5_RKS4_ENKUlvE_clEvENKUlvE0_clEvEUlfE_EEvRNS_18TensorIteratorBaseERKT_EUlibE0_EEviT1_,"axG",@progbits,_ZN2at6native32elementwise_kernel_manual_unrollILi128ELi4EZNS0_15gpu_kernel_implIZZZNS0_12_GLOBAL__N_139_amp_non_finite_check_and_unscale_cuda_ERNS_6TensorES5_RKS4_ENKUlvE_clEvENKUlvE0_clEvEUlfE_EEvRNS_18TensorIteratorBaseERKT_EUlibE0_EEviT1_,comdat
.Lfunc_end16:
	.size	_ZN2at6native32elementwise_kernel_manual_unrollILi128ELi4EZNS0_15gpu_kernel_implIZZZNS0_12_GLOBAL__N_139_amp_non_finite_check_and_unscale_cuda_ERNS_6TensorES5_RKS4_ENKUlvE_clEvENKUlvE0_clEvEUlfE_EEvRNS_18TensorIteratorBaseERKT_EUlibE0_EEviT1_, .Lfunc_end16-_ZN2at6native32elementwise_kernel_manual_unrollILi128ELi4EZNS0_15gpu_kernel_implIZZZNS0_12_GLOBAL__N_139_amp_non_finite_check_and_unscale_cuda_ERNS_6TensorES5_RKS4_ENKUlvE_clEvENKUlvE0_clEvEUlfE_EEvRNS_18TensorIteratorBaseERKT_EUlibE0_EEviT1_
                                        ; -- End function
	.set _ZN2at6native32elementwise_kernel_manual_unrollILi128ELi4EZNS0_15gpu_kernel_implIZZZNS0_12_GLOBAL__N_139_amp_non_finite_check_and_unscale_cuda_ERNS_6TensorES5_RKS4_ENKUlvE_clEvENKUlvE0_clEvEUlfE_EEvRNS_18TensorIteratorBaseERKT_EUlibE0_EEviT1_.num_vgpr, 18
	.set _ZN2at6native32elementwise_kernel_manual_unrollILi128ELi4EZNS0_15gpu_kernel_implIZZZNS0_12_GLOBAL__N_139_amp_non_finite_check_and_unscale_cuda_ERNS_6TensorES5_RKS4_ENKUlvE_clEvENKUlvE0_clEvEUlfE_EEvRNS_18TensorIteratorBaseERKT_EUlibE0_EEviT1_.num_agpr, 0
	.set _ZN2at6native32elementwise_kernel_manual_unrollILi128ELi4EZNS0_15gpu_kernel_implIZZZNS0_12_GLOBAL__N_139_amp_non_finite_check_and_unscale_cuda_ERNS_6TensorES5_RKS4_ENKUlvE_clEvENKUlvE0_clEvEUlfE_EEvRNS_18TensorIteratorBaseERKT_EUlibE0_EEviT1_.numbered_sgpr, 72
	.set _ZN2at6native32elementwise_kernel_manual_unrollILi128ELi4EZNS0_15gpu_kernel_implIZZZNS0_12_GLOBAL__N_139_amp_non_finite_check_and_unscale_cuda_ERNS_6TensorES5_RKS4_ENKUlvE_clEvENKUlvE0_clEvEUlfE_EEvRNS_18TensorIteratorBaseERKT_EUlibE0_EEviT1_.num_named_barrier, 0
	.set _ZN2at6native32elementwise_kernel_manual_unrollILi128ELi4EZNS0_15gpu_kernel_implIZZZNS0_12_GLOBAL__N_139_amp_non_finite_check_and_unscale_cuda_ERNS_6TensorES5_RKS4_ENKUlvE_clEvENKUlvE0_clEvEUlfE_EEvRNS_18TensorIteratorBaseERKT_EUlibE0_EEviT1_.private_seg_size, 0
	.set _ZN2at6native32elementwise_kernel_manual_unrollILi128ELi4EZNS0_15gpu_kernel_implIZZZNS0_12_GLOBAL__N_139_amp_non_finite_check_and_unscale_cuda_ERNS_6TensorES5_RKS4_ENKUlvE_clEvENKUlvE0_clEvEUlfE_EEvRNS_18TensorIteratorBaseERKT_EUlibE0_EEviT1_.uses_vcc, 1
	.set _ZN2at6native32elementwise_kernel_manual_unrollILi128ELi4EZNS0_15gpu_kernel_implIZZZNS0_12_GLOBAL__N_139_amp_non_finite_check_and_unscale_cuda_ERNS_6TensorES5_RKS4_ENKUlvE_clEvENKUlvE0_clEvEUlfE_EEvRNS_18TensorIteratorBaseERKT_EUlibE0_EEviT1_.uses_flat_scratch, 0
	.set _ZN2at6native32elementwise_kernel_manual_unrollILi128ELi4EZNS0_15gpu_kernel_implIZZZNS0_12_GLOBAL__N_139_amp_non_finite_check_and_unscale_cuda_ERNS_6TensorES5_RKS4_ENKUlvE_clEvENKUlvE0_clEvEUlfE_EEvRNS_18TensorIteratorBaseERKT_EUlibE0_EEviT1_.has_dyn_sized_stack, 0
	.set _ZN2at6native32elementwise_kernel_manual_unrollILi128ELi4EZNS0_15gpu_kernel_implIZZZNS0_12_GLOBAL__N_139_amp_non_finite_check_and_unscale_cuda_ERNS_6TensorES5_RKS4_ENKUlvE_clEvENKUlvE0_clEvEUlfE_EEvRNS_18TensorIteratorBaseERKT_EUlibE0_EEviT1_.has_recursion, 0
	.set _ZN2at6native32elementwise_kernel_manual_unrollILi128ELi4EZNS0_15gpu_kernel_implIZZZNS0_12_GLOBAL__N_139_amp_non_finite_check_and_unscale_cuda_ERNS_6TensorES5_RKS4_ENKUlvE_clEvENKUlvE0_clEvEUlfE_EEvRNS_18TensorIteratorBaseERKT_EUlibE0_EEviT1_.has_indirect_call, 0
	.section	.AMDGPU.csdata,"",@progbits
; Kernel info:
; codeLenInByte = 37636
; TotalNumSgprs: 74
; NumVgprs: 18
; ScratchSize: 0
; MemoryBound: 1
; FloatMode: 240
; IeeeMode: 1
; LDSByteSize: 0 bytes/workgroup (compile time only)
; SGPRBlocks: 0
; VGPRBlocks: 2
; NumSGPRsForWavesPerEU: 74
; NumVGPRsForWavesPerEU: 18
; Occupancy: 16
; WaveLimiterHint : 1
; COMPUTE_PGM_RSRC2:SCRATCH_EN: 0
; COMPUTE_PGM_RSRC2:USER_SGPR: 6
; COMPUTE_PGM_RSRC2:TRAP_HANDLER: 0
; COMPUTE_PGM_RSRC2:TGID_X_EN: 1
; COMPUTE_PGM_RSRC2:TGID_Y_EN: 0
; COMPUTE_PGM_RSRC2:TGID_Z_EN: 0
; COMPUTE_PGM_RSRC2:TIDIG_COMP_CNT: 0
	.section	.text._ZN2at6native29vectorized_elementwise_kernelILi16EZZZNS0_12_GLOBAL__N_139_amp_non_finite_check_and_unscale_cuda_ERNS_6TensorES4_RKS3_ENKUlvE_clEvENKUlvE1_clEvEUlN3c104HalfEE_St5arrayIPcLm2EEEEviT0_T1_,"axG",@progbits,_ZN2at6native29vectorized_elementwise_kernelILi16EZZZNS0_12_GLOBAL__N_139_amp_non_finite_check_and_unscale_cuda_ERNS_6TensorES4_RKS3_ENKUlvE_clEvENKUlvE1_clEvEUlN3c104HalfEE_St5arrayIPcLm2EEEEviT0_T1_,comdat
	.globl	_ZN2at6native29vectorized_elementwise_kernelILi16EZZZNS0_12_GLOBAL__N_139_amp_non_finite_check_and_unscale_cuda_ERNS_6TensorES4_RKS3_ENKUlvE_clEvENKUlvE1_clEvEUlN3c104HalfEE_St5arrayIPcLm2EEEEviT0_T1_ ; -- Begin function _ZN2at6native29vectorized_elementwise_kernelILi16EZZZNS0_12_GLOBAL__N_139_amp_non_finite_check_and_unscale_cuda_ERNS_6TensorES4_RKS3_ENKUlvE_clEvENKUlvE1_clEvEUlN3c104HalfEE_St5arrayIPcLm2EEEEviT0_T1_
	.p2align	8
	.type	_ZN2at6native29vectorized_elementwise_kernelILi16EZZZNS0_12_GLOBAL__N_139_amp_non_finite_check_and_unscale_cuda_ERNS_6TensorES4_RKS3_ENKUlvE_clEvENKUlvE1_clEvEUlN3c104HalfEE_St5arrayIPcLm2EEEEviT0_T1_,@function
_ZN2at6native29vectorized_elementwise_kernelILi16EZZZNS0_12_GLOBAL__N_139_amp_non_finite_check_and_unscale_cuda_ERNS_6TensorES4_RKS3_ENKUlvE_clEvENKUlvE1_clEvEUlN3c104HalfEE_St5arrayIPcLm2EEEEviT0_T1_: ; @_ZN2at6native29vectorized_elementwise_kernelILi16EZZZNS0_12_GLOBAL__N_139_amp_non_finite_check_and_unscale_cuda_ERNS_6TensorES4_RKS3_ENKUlvE_clEvENKUlvE1_clEvEUlN3c104HalfEE_St5arrayIPcLm2EEEEviT0_T1_
; %bb.0:
	s_clause 0x1
	s_load_dword s0, s[4:5], 0x0
	s_load_dwordx8 s[8:15], s[4:5], 0x8
	s_lshl_b32 s2, s6, 11
	s_waitcnt lgkmcnt(0)
	s_sub_i32 s4, s0, s2
	s_mov_b32 s0, -1
	s_cmpk_gt_i32 s4, 0x7ff
	s_cbranch_scc0 .LBB17_18
; %bb.1:
	s_ashr_i32 s3, s2, 31
	v_lshlrev_b32_e32 v5, 4, v0
	s_lshl_b64 s[0:1], s[2:3], 1
	v_mov_b32_e32 v7, 0
	s_add_u32 s6, s14, s0
	s_addc_u32 s7, s15, s1
	s_mov_b32 s3, exec_lo
	global_load_dwordx4 v[1:4], v5, s[6:7]
	s_waitcnt vmcnt(0)
	v_cvt_f32_f16_e32 v6, v1
	v_cmpx_nlg_f32_e64 0x7f800000, |v6|
	s_cbranch_execz .LBB17_3
; %bb.2:
	v_mov_b32_e32 v8, 1.0
	global_store_dword v7, v8, s[8:9]
.LBB17_3:
	s_or_b32 exec_lo, exec_lo, s3
	global_load_dword v7, v7, s[10:11]
	v_lshrrev_b32_e32 v8, 16, v1
	s_mov_b32 s3, exec_lo
	v_cvt_f32_f16_e32 v9, v8
	s_waitcnt vmcnt(0)
	v_mov_b32_e32 v10, v7
	v_cmpx_nlg_f32_e64 0x7f800000, |v9|
	s_cbranch_execz .LBB17_5
; %bb.4:
	v_mov_b32_e32 v10, 0
	v_mov_b32_e32 v11, 1.0
	global_store_dword v10, v11, s[8:9]
	global_load_dword v10, v10, s[10:11]
.LBB17_5:
	s_or_b32 exec_lo, exec_lo, s3
	v_cvt_f32_f16_e32 v12, v2
	s_waitcnt vmcnt(0)
	v_mov_b32_e32 v11, v10
	s_mov_b32 s3, exec_lo
	v_cmpx_nlg_f32_e64 0x7f800000, |v12|
	s_cbranch_execz .LBB17_7
; %bb.6:
	v_mov_b32_e32 v11, 0
	v_mov_b32_e32 v13, 1.0
	global_store_dword v11, v13, s[8:9]
	global_load_dword v11, v11, s[10:11]
.LBB17_7:
	s_or_b32 exec_lo, exec_lo, s3
	v_lshrrev_b32_e32 v13, 16, v2
	s_waitcnt vmcnt(0)
	v_mov_b32_e32 v15, v11
	s_mov_b32 s3, exec_lo
	v_cvt_f32_f16_e32 v14, v13
	v_cmpx_nlg_f32_e64 0x7f800000, |v14|
	s_cbranch_execz .LBB17_9
; %bb.8:
	v_mov_b32_e32 v15, 0
	v_mov_b32_e32 v16, 1.0
	global_store_dword v15, v16, s[8:9]
	global_load_dword v15, v15, s[10:11]
.LBB17_9:
	s_or_b32 exec_lo, exec_lo, s3
	v_cvt_f32_f16_e32 v17, v3
	s_waitcnt vmcnt(0)
	v_mov_b32_e32 v16, v15
	s_mov_b32 s3, exec_lo
	v_cmpx_nlg_f32_e64 0x7f800000, |v17|
	s_cbranch_execz .LBB17_11
; %bb.10:
	v_mov_b32_e32 v16, 0
	v_mov_b32_e32 v18, 1.0
	global_store_dword v16, v18, s[8:9]
	global_load_dword v16, v16, s[10:11]
.LBB17_11:
	s_or_b32 exec_lo, exec_lo, s3
	v_lshrrev_b32_e32 v18, 16, v3
	s_waitcnt vmcnt(0)
	v_mov_b32_e32 v20, v16
	s_mov_b32 s3, exec_lo
	v_cvt_f32_f16_e32 v19, v18
	;; [unrolled: 27-line block ×3, first 2 shown]
	v_cmpx_nlg_f32_e64 0x7f800000, |v22|
	s_cbranch_execz .LBB17_17
; %bb.16:
	v_mov_b32_e32 v23, 0
	v_mov_b32_e32 v26, 1.0
	global_store_dword v23, v26, s[8:9]
	global_load_dword v23, v23, s[10:11]
.LBB17_17:
	s_or_b32 exec_lo, exec_lo, s3
	v_fma_mixlo_f16 v25, v24, v25, 0
	v_cmp_eq_f32_e32 vcc_lo, 1.0, v24
	v_fma_mixlo_f16 v19, v20, v19, 0
	v_fma_mixlo_f16 v17, v16, v17, 0
	;; [unrolled: 1-line block ×4, first 2 shown]
	v_cndmask_b32_e32 v4, v25, v4, vcc_lo
	v_cmp_eq_f32_e32 vcc_lo, 1.0, v20
	v_fma_mixlo_f16 v9, v10, v9, 0
	v_fma_mixlo_f16 v6, v7, v6, 0
	s_add_u32 s6, s12, s0
	s_addc_u32 s7, s13, s1
	v_cndmask_b32_e32 v18, v19, v18, vcc_lo
	v_cmp_eq_f32_e32 vcc_lo, 1.0, v16
	s_mov_b32 s0, 0
	v_cndmask_b32_e32 v3, v17, v3, vcc_lo
	v_cmp_eq_f32_e32 vcc_lo, 1.0, v15
	v_perm_b32 v3, v18, v3, 0x5040100
	v_cndmask_b32_e32 v13, v14, v13, vcc_lo
	v_cmp_eq_f32_e32 vcc_lo, 1.0, v11
	s_waitcnt vmcnt(0)
	v_fma_mixlo_f16 v14, v23, v22, 0
	v_cndmask_b32_e32 v2, v12, v2, vcc_lo
	v_cmp_eq_f32_e32 vcc_lo, 1.0, v23
	v_perm_b32 v2, v13, v2, 0x5040100
	v_cndmask_b32_e32 v11, v14, v21, vcc_lo
	v_cmp_eq_f32_e32 vcc_lo, 1.0, v10
	v_perm_b32 v4, v11, v4, 0x5040100
	v_cndmask_b32_e32 v8, v9, v8, vcc_lo
	v_cmp_eq_f32_e32 vcc_lo, 1.0, v7
	v_cndmask_b32_e32 v1, v6, v1, vcc_lo
	v_perm_b32 v1, v8, v1, 0x5040100
	global_store_dwordx4 v5, v[1:4], s[6:7]
.LBB17_18:
	s_and_b32 vcc_lo, exec_lo, s0
	s_cbranch_vccz .LBB17_75
; %bb.19:
	v_cmp_gt_i32_e32 vcc_lo, s4, v0
	v_mov_b32_e32 v9, 0
	v_or_b32_e32 v1, s2, v0
	v_or_b32_e32 v3, 0x100, v0
	v_mov_b32_e32 v8, 0
	v_mov_b32_e32 v5, v0
	s_and_saveexec_b32 s1, vcc_lo
	s_cbranch_execz .LBB17_21
; %bb.20:
	v_mov_b32_e32 v2, 0
	v_lshlrev_b64 v[4:5], 1, v[1:2]
	v_add_co_u32 v4, s0, s14, v4
	v_add_co_ci_u32_e64 v5, null, s15, v5, s0
	global_load_ushort v8, v[4:5], off
	v_or_b32_e32 v5, 0x100, v0
.LBB17_21:
	s_or_b32 exec_lo, exec_lo, s1
	s_mov_b32 s1, exec_lo
	v_cmpx_gt_i32_e64 s4, v5
	s_cbranch_execz .LBB17_23
; %bb.22:
	v_add_nc_u32_e32 v6, s2, v5
	v_mov_b32_e32 v7, 0
	v_add_nc_u32_e32 v5, 0x100, v5
	v_lshlrev_b64 v[6:7], 1, v[6:7]
	v_add_co_u32 v6, s0, s14, v6
	v_add_co_ci_u32_e64 v7, null, s15, v7, s0
	global_load_ushort v9, v[6:7], off
.LBB17_23:
	s_or_b32 exec_lo, exec_lo, s1
	v_mov_b32_e32 v6, 0
	v_mov_b32_e32 v11, 0
	s_mov_b32 s1, exec_lo
	v_cmpx_gt_i32_e64 s4, v5
	s_cbranch_execz .LBB17_25
; %bb.24:
	v_add_nc_u32_e32 v10, s2, v5
	v_mov_b32_e32 v11, 0
	v_add_nc_u32_e32 v5, 0x100, v5
	v_lshlrev_b64 v[10:11], 1, v[10:11]
	v_add_co_u32 v10, s0, s14, v10
	v_add_co_ci_u32_e64 v11, null, s15, v11, s0
	global_load_ushort v11, v[10:11], off
.LBB17_25:
	s_or_b32 exec_lo, exec_lo, s1
	s_mov_b32 s1, exec_lo
	v_cmpx_gt_i32_e64 s4, v5
	s_cbranch_execz .LBB17_27
; %bb.26:
	v_add_nc_u32_e32 v6, s2, v5
	v_mov_b32_e32 v7, 0
	v_add_nc_u32_e32 v5, 0x100, v5
	v_lshlrev_b64 v[6:7], 1, v[6:7]
	v_add_co_u32 v6, s0, s14, v6
	v_add_co_ci_u32_e64 v7, null, s15, v7, s0
	global_load_ushort v6, v[6:7], off
.LBB17_27:
	s_or_b32 exec_lo, exec_lo, s1
	v_mov_b32_e32 v4, 0
	v_mov_b32_e32 v10, 0
	s_mov_b32 s1, exec_lo
	v_cmpx_gt_i32_e64 s4, v5
	s_cbranch_execz .LBB17_29
; %bb.28:
	v_add_nc_u32_e32 v12, s2, v5
	v_mov_b32_e32 v13, 0
	v_add_nc_u32_e32 v5, 0x100, v5
	v_lshlrev_b64 v[12:13], 1, v[12:13]
	v_add_co_u32 v12, s0, s14, v12
	v_add_co_ci_u32_e64 v13, null, s15, v13, s0
	global_load_ushort v10, v[12:13], off
.LBB17_29:
	s_or_b32 exec_lo, exec_lo, s1
	s_mov_b32 s1, exec_lo
	v_cmpx_gt_i32_e64 s4, v5
	s_cbranch_execz .LBB17_31
; %bb.30:
	v_add_nc_u32_e32 v12, s2, v5
	v_mov_b32_e32 v13, 0
	v_add_nc_u32_e32 v5, 0x100, v5
	v_lshlrev_b64 v[12:13], 1, v[12:13]
	v_add_co_u32 v12, s0, s14, v12
	v_add_co_ci_u32_e64 v13, null, s15, v13, s0
	global_load_ushort v4, v[12:13], off
.LBB17_31:
	s_or_b32 exec_lo, exec_lo, s1
	v_mov_b32_e32 v2, 0
	v_mov_b32_e32 v7, 0
	s_mov_b32 s1, exec_lo
	v_cmpx_gt_i32_e64 s4, v5
	s_cbranch_execz .LBB17_35
; %bb.32:
	v_add_nc_u32_e32 v12, s2, v5
	v_mov_b32_e32 v13, 0
	v_add_nc_u32_e32 v5, 0x100, v5
	v_lshlrev_b64 v[12:13], 1, v[12:13]
	v_add_co_u32 v12, s0, s14, v12
	v_add_co_ci_u32_e64 v13, null, s15, v13, s0
	global_load_ushort v7, v[12:13], off
	s_or_b32 exec_lo, exec_lo, s1
	s_mov_b32 s1, exec_lo
	v_cmpx_gt_i32_e64 s4, v5
	s_cbranch_execnz .LBB17_36
.LBB17_33:
	s_or_b32 exec_lo, exec_lo, s1
                                        ; implicit-def: $vgpr5
	s_and_saveexec_b32 s1, vcc_lo
	s_cbranch_execnz .LBB17_37
.LBB17_34:
	s_or_b32 exec_lo, exec_lo, s1
	s_mov_b32 s1, exec_lo
                                        ; implicit-def: $vgpr8
	v_cmpx_gt_i32_e64 s4, v3
	s_cbranch_execz .LBB17_43
	s_branch .LBB17_40
.LBB17_35:
	s_or_b32 exec_lo, exec_lo, s1
	s_mov_b32 s1, exec_lo
	v_cmpx_gt_i32_e64 s4, v5
	s_cbranch_execz .LBB17_33
.LBB17_36:
	v_add_nc_u32_e32 v12, s2, v5
	v_mov_b32_e32 v13, 0
	v_lshlrev_b64 v[12:13], 1, v[12:13]
	v_add_co_u32 v12, s0, s14, v12
	v_add_co_ci_u32_e64 v13, null, s15, v13, s0
	global_load_ushort v2, v[12:13], off
	s_or_b32 exec_lo, exec_lo, s1
                                        ; implicit-def: $vgpr5
	s_and_saveexec_b32 s1, vcc_lo
	s_cbranch_execz .LBB17_34
.LBB17_37:
	s_waitcnt vmcnt(0)
	v_cvt_f32_f16_e32 v5, v8
	s_mov_b32 s0, exec_lo
	v_cmpx_nlg_f32_e64 0x7f800000, |v5|
	s_cbranch_execz .LBB17_39
; %bb.38:
	v_mov_b32_e32 v12, 0
	v_mov_b32_e32 v13, 1.0
	global_store_dword v12, v13, s[8:9]
.LBB17_39:
	s_or_b32 exec_lo, exec_lo, s0
	v_mov_b32_e32 v12, 0
	global_load_dword v12, v12, s[10:11]
	s_waitcnt vmcnt(0)
	v_fma_mixlo_f16 v5, v12, v5, 0
	v_cmp_eq_f32_e64 s0, 1.0, v12
	v_cndmask_b32_e64 v5, v5, v8, s0
	s_or_b32 exec_lo, exec_lo, s1
	s_mov_b32 s1, exec_lo
                                        ; implicit-def: $vgpr8
	v_cmpx_gt_i32_e64 s4, v3
	s_cbranch_execz .LBB17_43
.LBB17_40:
	s_waitcnt vmcnt(0)
	v_cvt_f32_f16_e32 v8, v9
	s_mov_b32 s0, exec_lo
	v_cmpx_nlg_f32_e64 0x7f800000, |v8|
	s_cbranch_execz .LBB17_42
; %bb.41:
	v_mov_b32_e32 v12, 0
	v_mov_b32_e32 v13, 1.0
	global_store_dword v12, v13, s[8:9]
.LBB17_42:
	s_or_b32 exec_lo, exec_lo, s0
	v_mov_b32_e32 v12, 0
	global_load_dword v12, v12, s[10:11]
	s_waitcnt vmcnt(0)
	v_fma_mixlo_f16 v8, v12, v8, 0
	v_cmp_eq_f32_e64 s0, 1.0, v12
	v_cndmask_b32_e64 v8, v8, v9, s0
.LBB17_43:
	s_or_b32 exec_lo, exec_lo, s1
	s_waitcnt vmcnt(0)
	v_or_b32_e32 v9, 0x200, v0
	v_cmp_gt_i32_e64 s0, s4, v9
                                        ; implicit-def: $vgpr9
	s_and_saveexec_b32 s1, s0
	s_cbranch_execz .LBB17_47
; %bb.44:
	v_cvt_f32_f16_e32 v9, v11
	s_mov_b32 s0, exec_lo
	v_cmpx_nlg_f32_e64 0x7f800000, |v9|
	s_cbranch_execz .LBB17_46
; %bb.45:
	v_mov_b32_e32 v12, 0
	v_mov_b32_e32 v13, 1.0
	global_store_dword v12, v13, s[8:9]
.LBB17_46:
	s_or_b32 exec_lo, exec_lo, s0
	v_mov_b32_e32 v12, 0
	global_load_dword v12, v12, s[10:11]
	s_waitcnt vmcnt(0)
	v_fma_mixlo_f16 v9, v12, v9, 0
	v_cmp_eq_f32_e64 s0, 1.0, v12
	v_cndmask_b32_e64 v9, v9, v11, s0
.LBB17_47:
	s_or_b32 exec_lo, exec_lo, s1
	v_or_b32_e32 v11, 0x300, v0
	v_cmp_gt_i32_e64 s0, s4, v11
                                        ; implicit-def: $vgpr11
	s_and_saveexec_b32 s1, s0
	s_cbranch_execz .LBB17_51
; %bb.48:
	v_cvt_f32_f16_e32 v11, v6
	s_mov_b32 s0, exec_lo
	v_cmpx_nlg_f32_e64 0x7f800000, |v11|
	s_cbranch_execz .LBB17_50
; %bb.49:
	v_mov_b32_e32 v12, 0
	v_mov_b32_e32 v13, 1.0
	global_store_dword v12, v13, s[8:9]
.LBB17_50:
	s_or_b32 exec_lo, exec_lo, s0
	v_mov_b32_e32 v12, 0
	global_load_dword v12, v12, s[10:11]
	s_waitcnt vmcnt(0)
	v_fma_mixlo_f16 v11, v12, v11, 0
	v_cmp_eq_f32_e64 s0, 1.0, v12
	v_cndmask_b32_e64 v11, v11, v6, s0
.LBB17_51:
	s_or_b32 exec_lo, exec_lo, s1
	v_or_b32_e32 v6, 0x400, v0
	v_cmp_gt_i32_e64 s0, s4, v6
                                        ; implicit-def: $vgpr6
	s_and_saveexec_b32 s1, s0
	s_cbranch_execz .LBB17_55
; %bb.52:
	v_cvt_f32_f16_e32 v6, v10
	s_mov_b32 s0, exec_lo
	v_cmpx_nlg_f32_e64 0x7f800000, |v6|
	s_cbranch_execz .LBB17_54
; %bb.53:
	v_mov_b32_e32 v12, 0
	v_mov_b32_e32 v13, 1.0
	global_store_dword v12, v13, s[8:9]
.LBB17_54:
	s_or_b32 exec_lo, exec_lo, s0
	v_mov_b32_e32 v12, 0
	global_load_dword v12, v12, s[10:11]
	s_waitcnt vmcnt(0)
	v_fma_mixlo_f16 v6, v12, v6, 0
	v_cmp_eq_f32_e64 s0, 1.0, v12
	v_cndmask_b32_e64 v6, v6, v10, s0
.LBB17_55:
	s_or_b32 exec_lo, exec_lo, s1
	v_or_b32_e32 v10, 0x500, v0
	v_cmp_gt_i32_e64 s0, s4, v10
                                        ; implicit-def: $vgpr10
	s_and_saveexec_b32 s1, s0
	s_cbranch_execz .LBB17_59
; %bb.56:
	v_cvt_f32_f16_e32 v10, v4
	s_mov_b32 s0, exec_lo
	v_cmpx_nlg_f32_e64 0x7f800000, |v10|
	s_cbranch_execz .LBB17_58
; %bb.57:
	v_mov_b32_e32 v12, 0
	v_mov_b32_e32 v13, 1.0
	global_store_dword v12, v13, s[8:9]
.LBB17_58:
	s_or_b32 exec_lo, exec_lo, s0
	v_mov_b32_e32 v12, 0
	global_load_dword v12, v12, s[10:11]
	s_waitcnt vmcnt(0)
	v_fma_mixlo_f16 v10, v12, v10, 0
	v_cmp_eq_f32_e64 s0, 1.0, v12
	v_cndmask_b32_e64 v10, v10, v4, s0
.LBB17_59:
	s_or_b32 exec_lo, exec_lo, s1
	v_or_b32_e32 v4, 0x600, v0
	v_cmp_gt_i32_e64 s0, s4, v4
                                        ; implicit-def: $vgpr4
	s_and_saveexec_b32 s1, s0
	s_cbranch_execz .LBB17_63
; %bb.60:
	v_cvt_f32_f16_e32 v4, v7
	s_mov_b32 s0, exec_lo
	v_cmpx_nlg_f32_e64 0x7f800000, |v4|
	s_cbranch_execz .LBB17_62
; %bb.61:
	v_mov_b32_e32 v12, 0
	v_mov_b32_e32 v13, 1.0
	global_store_dword v12, v13, s[8:9]
.LBB17_62:
	s_or_b32 exec_lo, exec_lo, s0
	v_mov_b32_e32 v12, 0
	global_load_dword v12, v12, s[10:11]
	s_waitcnt vmcnt(0)
	v_fma_mixlo_f16 v4, v12, v4, 0
	v_cmp_eq_f32_e64 s0, 1.0, v12
	v_cndmask_b32_e64 v4, v4, v7, s0
.LBB17_63:
	s_or_b32 exec_lo, exec_lo, s1
	v_or_b32_e32 v7, 0x700, v0
	v_cmp_gt_i32_e64 s0, s4, v7
                                        ; implicit-def: $vgpr7
	s_and_saveexec_b32 s1, s0
	s_cbranch_execz .LBB17_76
; %bb.64:
	v_cvt_f32_f16_e32 v7, v2
	s_mov_b32 s0, exec_lo
	v_cmpx_nlg_f32_e64 0x7f800000, |v7|
	s_cbranch_execz .LBB17_66
; %bb.65:
	v_mov_b32_e32 v12, 0
	v_mov_b32_e32 v13, 1.0
	global_store_dword v12, v13, s[8:9]
.LBB17_66:
	s_or_b32 exec_lo, exec_lo, s0
	v_mov_b32_e32 v12, 0
	global_load_dword v12, v12, s[10:11]
	s_waitcnt vmcnt(0)
	v_fma_mixlo_f16 v7, v12, v7, 0
	v_cmp_eq_f32_e64 s0, 1.0, v12
	v_cndmask_b32_e64 v7, v7, v2, s0
	s_or_b32 exec_lo, exec_lo, s1
	s_and_saveexec_b32 s0, vcc_lo
	s_xor_b32 s0, exec_lo, s0
	s_cbranch_execnz .LBB17_77
.LBB17_67:
	s_or_b32 exec_lo, exec_lo, s0
	s_mov_b32 s0, exec_lo
	v_cmpx_gt_i32_e64 s4, v0
	s_cbranch_execz .LBB17_78
.LBB17_68:
	v_add_nc_u32_e32 v1, s2, v0
	v_mov_b32_e32 v2, 0
	v_add_nc_u32_e32 v0, 0x100, v0
	v_lshlrev_b64 v[1:2], 1, v[1:2]
	v_add_co_u32 v1, vcc_lo, s12, v1
	v_add_co_ci_u32_e64 v2, null, s13, v2, vcc_lo
	global_store_short v[1:2], v8, off
	s_or_b32 exec_lo, exec_lo, s0
	s_mov_b32 s0, exec_lo
	v_cmpx_gt_i32_e64 s4, v0
	s_cbranch_execnz .LBB17_79
.LBB17_69:
	s_or_b32 exec_lo, exec_lo, s0
	s_mov_b32 s0, exec_lo
	v_cmpx_gt_i32_e64 s4, v0
	s_cbranch_execz .LBB17_80
.LBB17_70:
	v_add_nc_u32_e32 v1, s2, v0
	v_mov_b32_e32 v2, 0
	v_add_nc_u32_e32 v0, 0x100, v0
	v_lshlrev_b64 v[1:2], 1, v[1:2]
	v_add_co_u32 v1, vcc_lo, s12, v1
	v_add_co_ci_u32_e64 v2, null, s13, v2, vcc_lo
	global_store_short v[1:2], v11, off
	s_or_b32 exec_lo, exec_lo, s0
	s_mov_b32 s0, exec_lo
	v_cmpx_gt_i32_e64 s4, v0
	s_cbranch_execnz .LBB17_81
.LBB17_71:
	s_or_b32 exec_lo, exec_lo, s0
	s_mov_b32 s0, exec_lo
	v_cmpx_gt_i32_e64 s4, v0
	s_cbranch_execz .LBB17_82
.LBB17_72:
	v_add_nc_u32_e32 v1, s2, v0
	v_mov_b32_e32 v2, 0
	v_add_nc_u32_e32 v0, 0x100, v0
	v_lshlrev_b64 v[1:2], 1, v[1:2]
	v_add_co_u32 v1, vcc_lo, s12, v1
	v_add_co_ci_u32_e64 v2, null, s13, v2, vcc_lo
	global_store_short v[1:2], v10, off
	s_or_b32 exec_lo, exec_lo, s0
	s_mov_b32 s0, exec_lo
	v_cmpx_gt_i32_e64 s4, v0
	s_cbranch_execnz .LBB17_83
.LBB17_73:
	s_or_b32 exec_lo, exec_lo, s0
	s_mov_b32 s0, exec_lo
	v_cmpx_gt_i32_e64 s4, v0
	s_cbranch_execz .LBB17_75
.LBB17_74:
	v_add_nc_u32_e32 v0, s2, v0
	v_mov_b32_e32 v1, 0
	v_lshlrev_b64 v[0:1], 1, v[0:1]
	v_add_co_u32 v0, vcc_lo, s12, v0
	v_add_co_ci_u32_e64 v1, null, s13, v1, vcc_lo
	global_store_short v[0:1], v7, off
.LBB17_75:
	s_endpgm
.LBB17_76:
	s_or_b32 exec_lo, exec_lo, s1
	s_and_saveexec_b32 s0, vcc_lo
	s_xor_b32 s0, exec_lo, s0
	s_cbranch_execz .LBB17_67
.LBB17_77:
	v_mov_b32_e32 v2, 0
	v_lshlrev_b64 v[0:1], 1, v[1:2]
	v_add_co_u32 v12, vcc_lo, s12, v0
	v_add_co_ci_u32_e64 v13, null, s13, v1, vcc_lo
	v_mov_b32_e32 v0, v3
	global_store_short v[12:13], v5, off
	s_or_b32 exec_lo, exec_lo, s0
	s_mov_b32 s0, exec_lo
	v_cmpx_gt_i32_e64 s4, v0
	s_cbranch_execnz .LBB17_68
.LBB17_78:
	s_or_b32 exec_lo, exec_lo, s0
	s_mov_b32 s0, exec_lo
	v_cmpx_gt_i32_e64 s4, v0
	s_cbranch_execz .LBB17_69
.LBB17_79:
	v_add_nc_u32_e32 v1, s2, v0
	v_mov_b32_e32 v2, 0
	v_add_nc_u32_e32 v0, 0x100, v0
	v_lshlrev_b64 v[1:2], 1, v[1:2]
	v_add_co_u32 v1, vcc_lo, s12, v1
	v_add_co_ci_u32_e64 v2, null, s13, v2, vcc_lo
	global_store_short v[1:2], v9, off
	s_or_b32 exec_lo, exec_lo, s0
	s_mov_b32 s0, exec_lo
	v_cmpx_gt_i32_e64 s4, v0
	s_cbranch_execnz .LBB17_70
.LBB17_80:
	s_or_b32 exec_lo, exec_lo, s0
	s_mov_b32 s0, exec_lo
	v_cmpx_gt_i32_e64 s4, v0
	s_cbranch_execz .LBB17_71
.LBB17_81:
	v_add_nc_u32_e32 v1, s2, v0
	v_mov_b32_e32 v2, 0
	v_add_nc_u32_e32 v0, 0x100, v0
	v_lshlrev_b64 v[1:2], 1, v[1:2]
	v_add_co_u32 v1, vcc_lo, s12, v1
	v_add_co_ci_u32_e64 v2, null, s13, v2, vcc_lo
	global_store_short v[1:2], v6, off
	s_or_b32 exec_lo, exec_lo, s0
	s_mov_b32 s0, exec_lo
	v_cmpx_gt_i32_e64 s4, v0
	s_cbranch_execnz .LBB17_72
.LBB17_82:
	s_or_b32 exec_lo, exec_lo, s0
	s_mov_b32 s0, exec_lo
	v_cmpx_gt_i32_e64 s4, v0
	s_cbranch_execz .LBB17_73
.LBB17_83:
	v_add_nc_u32_e32 v1, s2, v0
	v_mov_b32_e32 v2, 0
	v_add_nc_u32_e32 v0, 0x100, v0
	v_lshlrev_b64 v[1:2], 1, v[1:2]
	v_add_co_u32 v1, vcc_lo, s12, v1
	v_add_co_ci_u32_e64 v2, null, s13, v2, vcc_lo
	global_store_short v[1:2], v4, off
	s_or_b32 exec_lo, exec_lo, s0
	s_mov_b32 s0, exec_lo
	v_cmpx_gt_i32_e64 s4, v0
	s_cbranch_execnz .LBB17_74
	s_branch .LBB17_75
	.section	.rodata,"a",@progbits
	.p2align	6, 0x0
	.amdhsa_kernel _ZN2at6native29vectorized_elementwise_kernelILi16EZZZNS0_12_GLOBAL__N_139_amp_non_finite_check_and_unscale_cuda_ERNS_6TensorES4_RKS3_ENKUlvE_clEvENKUlvE1_clEvEUlN3c104HalfEE_St5arrayIPcLm2EEEEviT0_T1_
		.amdhsa_group_segment_fixed_size 0
		.amdhsa_private_segment_fixed_size 0
		.amdhsa_kernarg_size 40
		.amdhsa_user_sgpr_count 6
		.amdhsa_user_sgpr_private_segment_buffer 1
		.amdhsa_user_sgpr_dispatch_ptr 0
		.amdhsa_user_sgpr_queue_ptr 0
		.amdhsa_user_sgpr_kernarg_segment_ptr 1
		.amdhsa_user_sgpr_dispatch_id 0
		.amdhsa_user_sgpr_flat_scratch_init 0
		.amdhsa_user_sgpr_private_segment_size 0
		.amdhsa_wavefront_size32 1
		.amdhsa_uses_dynamic_stack 0
		.amdhsa_system_sgpr_private_segment_wavefront_offset 0
		.amdhsa_system_sgpr_workgroup_id_x 1
		.amdhsa_system_sgpr_workgroup_id_y 0
		.amdhsa_system_sgpr_workgroup_id_z 0
		.amdhsa_system_sgpr_workgroup_info 0
		.amdhsa_system_vgpr_workitem_id 0
		.amdhsa_next_free_vgpr 27
		.amdhsa_next_free_sgpr 16
		.amdhsa_reserve_vcc 1
		.amdhsa_reserve_flat_scratch 0
		.amdhsa_float_round_mode_32 0
		.amdhsa_float_round_mode_16_64 0
		.amdhsa_float_denorm_mode_32 3
		.amdhsa_float_denorm_mode_16_64 3
		.amdhsa_dx10_clamp 1
		.amdhsa_ieee_mode 1
		.amdhsa_fp16_overflow 0
		.amdhsa_workgroup_processor_mode 1
		.amdhsa_memory_ordered 1
		.amdhsa_forward_progress 1
		.amdhsa_shared_vgpr_count 0
		.amdhsa_exception_fp_ieee_invalid_op 0
		.amdhsa_exception_fp_denorm_src 0
		.amdhsa_exception_fp_ieee_div_zero 0
		.amdhsa_exception_fp_ieee_overflow 0
		.amdhsa_exception_fp_ieee_underflow 0
		.amdhsa_exception_fp_ieee_inexact 0
		.amdhsa_exception_int_div_zero 0
	.end_amdhsa_kernel
	.section	.text._ZN2at6native29vectorized_elementwise_kernelILi16EZZZNS0_12_GLOBAL__N_139_amp_non_finite_check_and_unscale_cuda_ERNS_6TensorES4_RKS3_ENKUlvE_clEvENKUlvE1_clEvEUlN3c104HalfEE_St5arrayIPcLm2EEEEviT0_T1_,"axG",@progbits,_ZN2at6native29vectorized_elementwise_kernelILi16EZZZNS0_12_GLOBAL__N_139_amp_non_finite_check_and_unscale_cuda_ERNS_6TensorES4_RKS3_ENKUlvE_clEvENKUlvE1_clEvEUlN3c104HalfEE_St5arrayIPcLm2EEEEviT0_T1_,comdat
.Lfunc_end17:
	.size	_ZN2at6native29vectorized_elementwise_kernelILi16EZZZNS0_12_GLOBAL__N_139_amp_non_finite_check_and_unscale_cuda_ERNS_6TensorES4_RKS3_ENKUlvE_clEvENKUlvE1_clEvEUlN3c104HalfEE_St5arrayIPcLm2EEEEviT0_T1_, .Lfunc_end17-_ZN2at6native29vectorized_elementwise_kernelILi16EZZZNS0_12_GLOBAL__N_139_amp_non_finite_check_and_unscale_cuda_ERNS_6TensorES4_RKS3_ENKUlvE_clEvENKUlvE1_clEvEUlN3c104HalfEE_St5arrayIPcLm2EEEEviT0_T1_
                                        ; -- End function
	.set _ZN2at6native29vectorized_elementwise_kernelILi16EZZZNS0_12_GLOBAL__N_139_amp_non_finite_check_and_unscale_cuda_ERNS_6TensorES4_RKS3_ENKUlvE_clEvENKUlvE1_clEvEUlN3c104HalfEE_St5arrayIPcLm2EEEEviT0_T1_.num_vgpr, 27
	.set _ZN2at6native29vectorized_elementwise_kernelILi16EZZZNS0_12_GLOBAL__N_139_amp_non_finite_check_and_unscale_cuda_ERNS_6TensorES4_RKS3_ENKUlvE_clEvENKUlvE1_clEvEUlN3c104HalfEE_St5arrayIPcLm2EEEEviT0_T1_.num_agpr, 0
	.set _ZN2at6native29vectorized_elementwise_kernelILi16EZZZNS0_12_GLOBAL__N_139_amp_non_finite_check_and_unscale_cuda_ERNS_6TensorES4_RKS3_ENKUlvE_clEvENKUlvE1_clEvEUlN3c104HalfEE_St5arrayIPcLm2EEEEviT0_T1_.numbered_sgpr, 16
	.set _ZN2at6native29vectorized_elementwise_kernelILi16EZZZNS0_12_GLOBAL__N_139_amp_non_finite_check_and_unscale_cuda_ERNS_6TensorES4_RKS3_ENKUlvE_clEvENKUlvE1_clEvEUlN3c104HalfEE_St5arrayIPcLm2EEEEviT0_T1_.num_named_barrier, 0
	.set _ZN2at6native29vectorized_elementwise_kernelILi16EZZZNS0_12_GLOBAL__N_139_amp_non_finite_check_and_unscale_cuda_ERNS_6TensorES4_RKS3_ENKUlvE_clEvENKUlvE1_clEvEUlN3c104HalfEE_St5arrayIPcLm2EEEEviT0_T1_.private_seg_size, 0
	.set _ZN2at6native29vectorized_elementwise_kernelILi16EZZZNS0_12_GLOBAL__N_139_amp_non_finite_check_and_unscale_cuda_ERNS_6TensorES4_RKS3_ENKUlvE_clEvENKUlvE1_clEvEUlN3c104HalfEE_St5arrayIPcLm2EEEEviT0_T1_.uses_vcc, 1
	.set _ZN2at6native29vectorized_elementwise_kernelILi16EZZZNS0_12_GLOBAL__N_139_amp_non_finite_check_and_unscale_cuda_ERNS_6TensorES4_RKS3_ENKUlvE_clEvENKUlvE1_clEvEUlN3c104HalfEE_St5arrayIPcLm2EEEEviT0_T1_.uses_flat_scratch, 0
	.set _ZN2at6native29vectorized_elementwise_kernelILi16EZZZNS0_12_GLOBAL__N_139_amp_non_finite_check_and_unscale_cuda_ERNS_6TensorES4_RKS3_ENKUlvE_clEvENKUlvE1_clEvEUlN3c104HalfEE_St5arrayIPcLm2EEEEviT0_T1_.has_dyn_sized_stack, 0
	.set _ZN2at6native29vectorized_elementwise_kernelILi16EZZZNS0_12_GLOBAL__N_139_amp_non_finite_check_and_unscale_cuda_ERNS_6TensorES4_RKS3_ENKUlvE_clEvENKUlvE1_clEvEUlN3c104HalfEE_St5arrayIPcLm2EEEEviT0_T1_.has_recursion, 0
	.set _ZN2at6native29vectorized_elementwise_kernelILi16EZZZNS0_12_GLOBAL__N_139_amp_non_finite_check_and_unscale_cuda_ERNS_6TensorES4_RKS3_ENKUlvE_clEvENKUlvE1_clEvEUlN3c104HalfEE_St5arrayIPcLm2EEEEviT0_T1_.has_indirect_call, 0
	.section	.AMDGPU.csdata,"",@progbits
; Kernel info:
; codeLenInByte = 2972
; TotalNumSgprs: 18
; NumVgprs: 27
; ScratchSize: 0
; MemoryBound: 0
; FloatMode: 240
; IeeeMode: 1
; LDSByteSize: 0 bytes/workgroup (compile time only)
; SGPRBlocks: 0
; VGPRBlocks: 3
; NumSGPRsForWavesPerEU: 18
; NumVGPRsForWavesPerEU: 27
; Occupancy: 16
; WaveLimiterHint : 0
; COMPUTE_PGM_RSRC2:SCRATCH_EN: 0
; COMPUTE_PGM_RSRC2:USER_SGPR: 6
; COMPUTE_PGM_RSRC2:TRAP_HANDLER: 0
; COMPUTE_PGM_RSRC2:TGID_X_EN: 1
; COMPUTE_PGM_RSRC2:TGID_Y_EN: 0
; COMPUTE_PGM_RSRC2:TGID_Z_EN: 0
; COMPUTE_PGM_RSRC2:TIDIG_COMP_CNT: 0
	.section	.text._ZN2at6native29vectorized_elementwise_kernelILi8EZZZNS0_12_GLOBAL__N_139_amp_non_finite_check_and_unscale_cuda_ERNS_6TensorES4_RKS3_ENKUlvE_clEvENKUlvE1_clEvEUlN3c104HalfEE_St5arrayIPcLm2EEEEviT0_T1_,"axG",@progbits,_ZN2at6native29vectorized_elementwise_kernelILi8EZZZNS0_12_GLOBAL__N_139_amp_non_finite_check_and_unscale_cuda_ERNS_6TensorES4_RKS3_ENKUlvE_clEvENKUlvE1_clEvEUlN3c104HalfEE_St5arrayIPcLm2EEEEviT0_T1_,comdat
	.globl	_ZN2at6native29vectorized_elementwise_kernelILi8EZZZNS0_12_GLOBAL__N_139_amp_non_finite_check_and_unscale_cuda_ERNS_6TensorES4_RKS3_ENKUlvE_clEvENKUlvE1_clEvEUlN3c104HalfEE_St5arrayIPcLm2EEEEviT0_T1_ ; -- Begin function _ZN2at6native29vectorized_elementwise_kernelILi8EZZZNS0_12_GLOBAL__N_139_amp_non_finite_check_and_unscale_cuda_ERNS_6TensorES4_RKS3_ENKUlvE_clEvENKUlvE1_clEvEUlN3c104HalfEE_St5arrayIPcLm2EEEEviT0_T1_
	.p2align	8
	.type	_ZN2at6native29vectorized_elementwise_kernelILi8EZZZNS0_12_GLOBAL__N_139_amp_non_finite_check_and_unscale_cuda_ERNS_6TensorES4_RKS3_ENKUlvE_clEvENKUlvE1_clEvEUlN3c104HalfEE_St5arrayIPcLm2EEEEviT0_T1_,@function
_ZN2at6native29vectorized_elementwise_kernelILi8EZZZNS0_12_GLOBAL__N_139_amp_non_finite_check_and_unscale_cuda_ERNS_6TensorES4_RKS3_ENKUlvE_clEvENKUlvE1_clEvEUlN3c104HalfEE_St5arrayIPcLm2EEEEviT0_T1_: ; @_ZN2at6native29vectorized_elementwise_kernelILi8EZZZNS0_12_GLOBAL__N_139_amp_non_finite_check_and_unscale_cuda_ERNS_6TensorES4_RKS3_ENKUlvE_clEvENKUlvE1_clEvEUlN3c104HalfEE_St5arrayIPcLm2EEEEviT0_T1_
; %bb.0:
	s_clause 0x1
	s_load_dword s0, s[4:5], 0x0
	s_load_dwordx8 s[8:15], s[4:5], 0x8
	s_lshl_b32 s2, s6, 11
	s_waitcnt lgkmcnt(0)
	s_sub_i32 s4, s0, s2
	s_mov_b32 s0, -1
	s_cmpk_gt_i32 s4, 0x7ff
	s_cbranch_scc0 .LBB18_18
; %bb.1:
	s_ashr_i32 s3, s2, 31
	v_lshlrev_b32_e32 v5, 4, v0
	s_lshl_b64 s[0:1], s[2:3], 1
	v_mov_b32_e32 v7, 0
	s_add_u32 s6, s14, s0
	s_addc_u32 s7, s15, s1
	s_mov_b32 s3, exec_lo
	global_load_dwordx4 v[1:4], v5, s[6:7]
	s_waitcnt vmcnt(0)
	v_cvt_f32_f16_e32 v6, v1
	v_cmpx_nlg_f32_e64 0x7f800000, |v6|
	s_cbranch_execz .LBB18_3
; %bb.2:
	v_mov_b32_e32 v8, 1.0
	global_store_dword v7, v8, s[8:9]
.LBB18_3:
	s_or_b32 exec_lo, exec_lo, s3
	global_load_dword v7, v7, s[10:11]
	v_lshrrev_b32_e32 v8, 16, v1
	s_mov_b32 s3, exec_lo
	v_cvt_f32_f16_e32 v9, v8
	s_waitcnt vmcnt(0)
	v_mov_b32_e32 v10, v7
	v_cmpx_nlg_f32_e64 0x7f800000, |v9|
	s_cbranch_execz .LBB18_5
; %bb.4:
	v_mov_b32_e32 v10, 0
	v_mov_b32_e32 v11, 1.0
	global_store_dword v10, v11, s[8:9]
	global_load_dword v10, v10, s[10:11]
.LBB18_5:
	s_or_b32 exec_lo, exec_lo, s3
	v_cvt_f32_f16_e32 v12, v2
	s_waitcnt vmcnt(0)
	v_mov_b32_e32 v11, v10
	s_mov_b32 s3, exec_lo
	v_cmpx_nlg_f32_e64 0x7f800000, |v12|
	s_cbranch_execz .LBB18_7
; %bb.6:
	v_mov_b32_e32 v11, 0
	v_mov_b32_e32 v13, 1.0
	global_store_dword v11, v13, s[8:9]
	global_load_dword v11, v11, s[10:11]
.LBB18_7:
	s_or_b32 exec_lo, exec_lo, s3
	v_lshrrev_b32_e32 v13, 16, v2
	s_waitcnt vmcnt(0)
	v_mov_b32_e32 v15, v11
	s_mov_b32 s3, exec_lo
	v_cvt_f32_f16_e32 v14, v13
	v_cmpx_nlg_f32_e64 0x7f800000, |v14|
	s_cbranch_execz .LBB18_9
; %bb.8:
	v_mov_b32_e32 v15, 0
	v_mov_b32_e32 v16, 1.0
	global_store_dword v15, v16, s[8:9]
	global_load_dword v15, v15, s[10:11]
.LBB18_9:
	s_or_b32 exec_lo, exec_lo, s3
	v_cvt_f32_f16_e32 v17, v3
	s_waitcnt vmcnt(0)
	v_mov_b32_e32 v16, v15
	s_mov_b32 s3, exec_lo
	v_cmpx_nlg_f32_e64 0x7f800000, |v17|
	s_cbranch_execz .LBB18_11
; %bb.10:
	v_mov_b32_e32 v16, 0
	v_mov_b32_e32 v18, 1.0
	global_store_dword v16, v18, s[8:9]
	global_load_dword v16, v16, s[10:11]
.LBB18_11:
	s_or_b32 exec_lo, exec_lo, s3
	v_lshrrev_b32_e32 v18, 16, v3
	s_waitcnt vmcnt(0)
	v_mov_b32_e32 v20, v16
	s_mov_b32 s3, exec_lo
	v_cvt_f32_f16_e32 v19, v18
	;; [unrolled: 27-line block ×3, first 2 shown]
	v_cmpx_nlg_f32_e64 0x7f800000, |v22|
	s_cbranch_execz .LBB18_17
; %bb.16:
	v_mov_b32_e32 v23, 0
	v_mov_b32_e32 v26, 1.0
	global_store_dword v23, v26, s[8:9]
	global_load_dword v23, v23, s[10:11]
.LBB18_17:
	s_or_b32 exec_lo, exec_lo, s3
	v_fma_mixlo_f16 v25, v24, v25, 0
	v_cmp_eq_f32_e32 vcc_lo, 1.0, v24
	v_fma_mixlo_f16 v19, v20, v19, 0
	v_fma_mixlo_f16 v17, v16, v17, 0
	;; [unrolled: 1-line block ×4, first 2 shown]
	v_cndmask_b32_e32 v4, v25, v4, vcc_lo
	v_cmp_eq_f32_e32 vcc_lo, 1.0, v20
	v_fma_mixlo_f16 v9, v10, v9, 0
	v_fma_mixlo_f16 v6, v7, v6, 0
	s_add_u32 s6, s12, s0
	s_addc_u32 s7, s13, s1
	v_cndmask_b32_e32 v18, v19, v18, vcc_lo
	v_cmp_eq_f32_e32 vcc_lo, 1.0, v16
	s_mov_b32 s0, 0
	v_cndmask_b32_e32 v3, v17, v3, vcc_lo
	v_cmp_eq_f32_e32 vcc_lo, 1.0, v15
	v_perm_b32 v3, v18, v3, 0x5040100
	v_cndmask_b32_e32 v13, v14, v13, vcc_lo
	v_cmp_eq_f32_e32 vcc_lo, 1.0, v11
	s_waitcnt vmcnt(0)
	v_fma_mixlo_f16 v14, v23, v22, 0
	v_cndmask_b32_e32 v2, v12, v2, vcc_lo
	v_cmp_eq_f32_e32 vcc_lo, 1.0, v23
	v_perm_b32 v2, v13, v2, 0x5040100
	v_cndmask_b32_e32 v11, v14, v21, vcc_lo
	v_cmp_eq_f32_e32 vcc_lo, 1.0, v10
	v_perm_b32 v4, v11, v4, 0x5040100
	v_cndmask_b32_e32 v8, v9, v8, vcc_lo
	v_cmp_eq_f32_e32 vcc_lo, 1.0, v7
	v_cndmask_b32_e32 v1, v6, v1, vcc_lo
	v_perm_b32 v1, v8, v1, 0x5040100
	global_store_dwordx4 v5, v[1:4], s[6:7]
.LBB18_18:
	s_and_b32 vcc_lo, exec_lo, s0
	s_cbranch_vccz .LBB18_75
; %bb.19:
	v_cmp_gt_i32_e32 vcc_lo, s4, v0
	v_mov_b32_e32 v9, 0
	v_or_b32_e32 v1, s2, v0
	v_or_b32_e32 v3, 0x100, v0
	v_mov_b32_e32 v8, 0
	v_mov_b32_e32 v5, v0
	s_and_saveexec_b32 s1, vcc_lo
	s_cbranch_execz .LBB18_21
; %bb.20:
	v_mov_b32_e32 v2, 0
	v_lshlrev_b64 v[4:5], 1, v[1:2]
	v_add_co_u32 v4, s0, s14, v4
	v_add_co_ci_u32_e64 v5, null, s15, v5, s0
	global_load_ushort v8, v[4:5], off
	v_or_b32_e32 v5, 0x100, v0
.LBB18_21:
	s_or_b32 exec_lo, exec_lo, s1
	s_mov_b32 s1, exec_lo
	v_cmpx_gt_i32_e64 s4, v5
	s_cbranch_execz .LBB18_23
; %bb.22:
	v_add_nc_u32_e32 v6, s2, v5
	v_mov_b32_e32 v7, 0
	v_add_nc_u32_e32 v5, 0x100, v5
	v_lshlrev_b64 v[6:7], 1, v[6:7]
	v_add_co_u32 v6, s0, s14, v6
	v_add_co_ci_u32_e64 v7, null, s15, v7, s0
	global_load_ushort v9, v[6:7], off
.LBB18_23:
	s_or_b32 exec_lo, exec_lo, s1
	v_mov_b32_e32 v6, 0
	v_mov_b32_e32 v11, 0
	s_mov_b32 s1, exec_lo
	v_cmpx_gt_i32_e64 s4, v5
	s_cbranch_execz .LBB18_25
; %bb.24:
	v_add_nc_u32_e32 v10, s2, v5
	v_mov_b32_e32 v11, 0
	v_add_nc_u32_e32 v5, 0x100, v5
	v_lshlrev_b64 v[10:11], 1, v[10:11]
	v_add_co_u32 v10, s0, s14, v10
	v_add_co_ci_u32_e64 v11, null, s15, v11, s0
	global_load_ushort v11, v[10:11], off
.LBB18_25:
	s_or_b32 exec_lo, exec_lo, s1
	s_mov_b32 s1, exec_lo
	v_cmpx_gt_i32_e64 s4, v5
	s_cbranch_execz .LBB18_27
; %bb.26:
	v_add_nc_u32_e32 v6, s2, v5
	v_mov_b32_e32 v7, 0
	v_add_nc_u32_e32 v5, 0x100, v5
	v_lshlrev_b64 v[6:7], 1, v[6:7]
	v_add_co_u32 v6, s0, s14, v6
	v_add_co_ci_u32_e64 v7, null, s15, v7, s0
	global_load_ushort v6, v[6:7], off
.LBB18_27:
	s_or_b32 exec_lo, exec_lo, s1
	v_mov_b32_e32 v4, 0
	v_mov_b32_e32 v10, 0
	s_mov_b32 s1, exec_lo
	v_cmpx_gt_i32_e64 s4, v5
	s_cbranch_execz .LBB18_29
; %bb.28:
	v_add_nc_u32_e32 v12, s2, v5
	v_mov_b32_e32 v13, 0
	v_add_nc_u32_e32 v5, 0x100, v5
	v_lshlrev_b64 v[12:13], 1, v[12:13]
	v_add_co_u32 v12, s0, s14, v12
	v_add_co_ci_u32_e64 v13, null, s15, v13, s0
	global_load_ushort v10, v[12:13], off
.LBB18_29:
	s_or_b32 exec_lo, exec_lo, s1
	s_mov_b32 s1, exec_lo
	v_cmpx_gt_i32_e64 s4, v5
	s_cbranch_execz .LBB18_31
; %bb.30:
	v_add_nc_u32_e32 v12, s2, v5
	v_mov_b32_e32 v13, 0
	v_add_nc_u32_e32 v5, 0x100, v5
	v_lshlrev_b64 v[12:13], 1, v[12:13]
	v_add_co_u32 v12, s0, s14, v12
	v_add_co_ci_u32_e64 v13, null, s15, v13, s0
	global_load_ushort v4, v[12:13], off
.LBB18_31:
	s_or_b32 exec_lo, exec_lo, s1
	v_mov_b32_e32 v2, 0
	v_mov_b32_e32 v7, 0
	s_mov_b32 s1, exec_lo
	v_cmpx_gt_i32_e64 s4, v5
	s_cbranch_execz .LBB18_35
; %bb.32:
	v_add_nc_u32_e32 v12, s2, v5
	v_mov_b32_e32 v13, 0
	v_add_nc_u32_e32 v5, 0x100, v5
	v_lshlrev_b64 v[12:13], 1, v[12:13]
	v_add_co_u32 v12, s0, s14, v12
	v_add_co_ci_u32_e64 v13, null, s15, v13, s0
	global_load_ushort v7, v[12:13], off
	s_or_b32 exec_lo, exec_lo, s1
	s_mov_b32 s1, exec_lo
	v_cmpx_gt_i32_e64 s4, v5
	s_cbranch_execnz .LBB18_36
.LBB18_33:
	s_or_b32 exec_lo, exec_lo, s1
                                        ; implicit-def: $vgpr5
	s_and_saveexec_b32 s1, vcc_lo
	s_cbranch_execnz .LBB18_37
.LBB18_34:
	s_or_b32 exec_lo, exec_lo, s1
	s_mov_b32 s1, exec_lo
                                        ; implicit-def: $vgpr8
	v_cmpx_gt_i32_e64 s4, v3
	s_cbranch_execz .LBB18_43
	s_branch .LBB18_40
.LBB18_35:
	s_or_b32 exec_lo, exec_lo, s1
	s_mov_b32 s1, exec_lo
	v_cmpx_gt_i32_e64 s4, v5
	s_cbranch_execz .LBB18_33
.LBB18_36:
	v_add_nc_u32_e32 v12, s2, v5
	v_mov_b32_e32 v13, 0
	v_lshlrev_b64 v[12:13], 1, v[12:13]
	v_add_co_u32 v12, s0, s14, v12
	v_add_co_ci_u32_e64 v13, null, s15, v13, s0
	global_load_ushort v2, v[12:13], off
	s_or_b32 exec_lo, exec_lo, s1
                                        ; implicit-def: $vgpr5
	s_and_saveexec_b32 s1, vcc_lo
	s_cbranch_execz .LBB18_34
.LBB18_37:
	s_waitcnt vmcnt(0)
	v_cvt_f32_f16_e32 v5, v8
	s_mov_b32 s0, exec_lo
	v_cmpx_nlg_f32_e64 0x7f800000, |v5|
	s_cbranch_execz .LBB18_39
; %bb.38:
	v_mov_b32_e32 v12, 0
	v_mov_b32_e32 v13, 1.0
	global_store_dword v12, v13, s[8:9]
.LBB18_39:
	s_or_b32 exec_lo, exec_lo, s0
	v_mov_b32_e32 v12, 0
	global_load_dword v12, v12, s[10:11]
	s_waitcnt vmcnt(0)
	v_fma_mixlo_f16 v5, v12, v5, 0
	v_cmp_eq_f32_e64 s0, 1.0, v12
	v_cndmask_b32_e64 v5, v5, v8, s0
	s_or_b32 exec_lo, exec_lo, s1
	s_mov_b32 s1, exec_lo
                                        ; implicit-def: $vgpr8
	v_cmpx_gt_i32_e64 s4, v3
	s_cbranch_execz .LBB18_43
.LBB18_40:
	s_waitcnt vmcnt(0)
	v_cvt_f32_f16_e32 v8, v9
	s_mov_b32 s0, exec_lo
	v_cmpx_nlg_f32_e64 0x7f800000, |v8|
	s_cbranch_execz .LBB18_42
; %bb.41:
	v_mov_b32_e32 v12, 0
	v_mov_b32_e32 v13, 1.0
	global_store_dword v12, v13, s[8:9]
.LBB18_42:
	s_or_b32 exec_lo, exec_lo, s0
	v_mov_b32_e32 v12, 0
	global_load_dword v12, v12, s[10:11]
	s_waitcnt vmcnt(0)
	v_fma_mixlo_f16 v8, v12, v8, 0
	v_cmp_eq_f32_e64 s0, 1.0, v12
	v_cndmask_b32_e64 v8, v8, v9, s0
.LBB18_43:
	s_or_b32 exec_lo, exec_lo, s1
	s_waitcnt vmcnt(0)
	v_or_b32_e32 v9, 0x200, v0
	v_cmp_gt_i32_e64 s0, s4, v9
                                        ; implicit-def: $vgpr9
	s_and_saveexec_b32 s1, s0
	s_cbranch_execz .LBB18_47
; %bb.44:
	v_cvt_f32_f16_e32 v9, v11
	s_mov_b32 s0, exec_lo
	v_cmpx_nlg_f32_e64 0x7f800000, |v9|
	s_cbranch_execz .LBB18_46
; %bb.45:
	v_mov_b32_e32 v12, 0
	v_mov_b32_e32 v13, 1.0
	global_store_dword v12, v13, s[8:9]
.LBB18_46:
	s_or_b32 exec_lo, exec_lo, s0
	v_mov_b32_e32 v12, 0
	global_load_dword v12, v12, s[10:11]
	s_waitcnt vmcnt(0)
	v_fma_mixlo_f16 v9, v12, v9, 0
	v_cmp_eq_f32_e64 s0, 1.0, v12
	v_cndmask_b32_e64 v9, v9, v11, s0
.LBB18_47:
	s_or_b32 exec_lo, exec_lo, s1
	v_or_b32_e32 v11, 0x300, v0
	v_cmp_gt_i32_e64 s0, s4, v11
                                        ; implicit-def: $vgpr11
	s_and_saveexec_b32 s1, s0
	s_cbranch_execz .LBB18_51
; %bb.48:
	v_cvt_f32_f16_e32 v11, v6
	s_mov_b32 s0, exec_lo
	v_cmpx_nlg_f32_e64 0x7f800000, |v11|
	s_cbranch_execz .LBB18_50
; %bb.49:
	v_mov_b32_e32 v12, 0
	v_mov_b32_e32 v13, 1.0
	global_store_dword v12, v13, s[8:9]
.LBB18_50:
	s_or_b32 exec_lo, exec_lo, s0
	v_mov_b32_e32 v12, 0
	global_load_dword v12, v12, s[10:11]
	s_waitcnt vmcnt(0)
	v_fma_mixlo_f16 v11, v12, v11, 0
	v_cmp_eq_f32_e64 s0, 1.0, v12
	v_cndmask_b32_e64 v11, v11, v6, s0
.LBB18_51:
	s_or_b32 exec_lo, exec_lo, s1
	v_or_b32_e32 v6, 0x400, v0
	v_cmp_gt_i32_e64 s0, s4, v6
                                        ; implicit-def: $vgpr6
	s_and_saveexec_b32 s1, s0
	s_cbranch_execz .LBB18_55
; %bb.52:
	v_cvt_f32_f16_e32 v6, v10
	s_mov_b32 s0, exec_lo
	v_cmpx_nlg_f32_e64 0x7f800000, |v6|
	s_cbranch_execz .LBB18_54
; %bb.53:
	v_mov_b32_e32 v12, 0
	v_mov_b32_e32 v13, 1.0
	global_store_dword v12, v13, s[8:9]
.LBB18_54:
	s_or_b32 exec_lo, exec_lo, s0
	v_mov_b32_e32 v12, 0
	global_load_dword v12, v12, s[10:11]
	s_waitcnt vmcnt(0)
	v_fma_mixlo_f16 v6, v12, v6, 0
	v_cmp_eq_f32_e64 s0, 1.0, v12
	v_cndmask_b32_e64 v6, v6, v10, s0
.LBB18_55:
	s_or_b32 exec_lo, exec_lo, s1
	v_or_b32_e32 v10, 0x500, v0
	v_cmp_gt_i32_e64 s0, s4, v10
                                        ; implicit-def: $vgpr10
	s_and_saveexec_b32 s1, s0
	s_cbranch_execz .LBB18_59
; %bb.56:
	v_cvt_f32_f16_e32 v10, v4
	s_mov_b32 s0, exec_lo
	v_cmpx_nlg_f32_e64 0x7f800000, |v10|
	s_cbranch_execz .LBB18_58
; %bb.57:
	v_mov_b32_e32 v12, 0
	v_mov_b32_e32 v13, 1.0
	global_store_dword v12, v13, s[8:9]
.LBB18_58:
	s_or_b32 exec_lo, exec_lo, s0
	v_mov_b32_e32 v12, 0
	global_load_dword v12, v12, s[10:11]
	s_waitcnt vmcnt(0)
	v_fma_mixlo_f16 v10, v12, v10, 0
	v_cmp_eq_f32_e64 s0, 1.0, v12
	v_cndmask_b32_e64 v10, v10, v4, s0
.LBB18_59:
	s_or_b32 exec_lo, exec_lo, s1
	v_or_b32_e32 v4, 0x600, v0
	v_cmp_gt_i32_e64 s0, s4, v4
                                        ; implicit-def: $vgpr4
	s_and_saveexec_b32 s1, s0
	s_cbranch_execz .LBB18_63
; %bb.60:
	v_cvt_f32_f16_e32 v4, v7
	s_mov_b32 s0, exec_lo
	v_cmpx_nlg_f32_e64 0x7f800000, |v4|
	s_cbranch_execz .LBB18_62
; %bb.61:
	v_mov_b32_e32 v12, 0
	v_mov_b32_e32 v13, 1.0
	global_store_dword v12, v13, s[8:9]
.LBB18_62:
	s_or_b32 exec_lo, exec_lo, s0
	v_mov_b32_e32 v12, 0
	global_load_dword v12, v12, s[10:11]
	s_waitcnt vmcnt(0)
	v_fma_mixlo_f16 v4, v12, v4, 0
	v_cmp_eq_f32_e64 s0, 1.0, v12
	v_cndmask_b32_e64 v4, v4, v7, s0
.LBB18_63:
	s_or_b32 exec_lo, exec_lo, s1
	v_or_b32_e32 v7, 0x700, v0
	v_cmp_gt_i32_e64 s0, s4, v7
                                        ; implicit-def: $vgpr7
	s_and_saveexec_b32 s1, s0
	s_cbranch_execz .LBB18_76
; %bb.64:
	v_cvt_f32_f16_e32 v7, v2
	s_mov_b32 s0, exec_lo
	v_cmpx_nlg_f32_e64 0x7f800000, |v7|
	s_cbranch_execz .LBB18_66
; %bb.65:
	v_mov_b32_e32 v12, 0
	v_mov_b32_e32 v13, 1.0
	global_store_dword v12, v13, s[8:9]
.LBB18_66:
	s_or_b32 exec_lo, exec_lo, s0
	v_mov_b32_e32 v12, 0
	global_load_dword v12, v12, s[10:11]
	s_waitcnt vmcnt(0)
	v_fma_mixlo_f16 v7, v12, v7, 0
	v_cmp_eq_f32_e64 s0, 1.0, v12
	v_cndmask_b32_e64 v7, v7, v2, s0
	s_or_b32 exec_lo, exec_lo, s1
	s_and_saveexec_b32 s0, vcc_lo
	s_xor_b32 s0, exec_lo, s0
	s_cbranch_execnz .LBB18_77
.LBB18_67:
	s_or_b32 exec_lo, exec_lo, s0
	s_mov_b32 s0, exec_lo
	v_cmpx_gt_i32_e64 s4, v0
	s_cbranch_execz .LBB18_78
.LBB18_68:
	v_add_nc_u32_e32 v1, s2, v0
	v_mov_b32_e32 v2, 0
	v_add_nc_u32_e32 v0, 0x100, v0
	v_lshlrev_b64 v[1:2], 1, v[1:2]
	v_add_co_u32 v1, vcc_lo, s12, v1
	v_add_co_ci_u32_e64 v2, null, s13, v2, vcc_lo
	global_store_short v[1:2], v8, off
	s_or_b32 exec_lo, exec_lo, s0
	s_mov_b32 s0, exec_lo
	v_cmpx_gt_i32_e64 s4, v0
	s_cbranch_execnz .LBB18_79
.LBB18_69:
	s_or_b32 exec_lo, exec_lo, s0
	s_mov_b32 s0, exec_lo
	v_cmpx_gt_i32_e64 s4, v0
	s_cbranch_execz .LBB18_80
.LBB18_70:
	v_add_nc_u32_e32 v1, s2, v0
	v_mov_b32_e32 v2, 0
	v_add_nc_u32_e32 v0, 0x100, v0
	v_lshlrev_b64 v[1:2], 1, v[1:2]
	v_add_co_u32 v1, vcc_lo, s12, v1
	v_add_co_ci_u32_e64 v2, null, s13, v2, vcc_lo
	global_store_short v[1:2], v11, off
	s_or_b32 exec_lo, exec_lo, s0
	s_mov_b32 s0, exec_lo
	v_cmpx_gt_i32_e64 s4, v0
	s_cbranch_execnz .LBB18_81
.LBB18_71:
	s_or_b32 exec_lo, exec_lo, s0
	s_mov_b32 s0, exec_lo
	v_cmpx_gt_i32_e64 s4, v0
	s_cbranch_execz .LBB18_82
.LBB18_72:
	v_add_nc_u32_e32 v1, s2, v0
	v_mov_b32_e32 v2, 0
	v_add_nc_u32_e32 v0, 0x100, v0
	v_lshlrev_b64 v[1:2], 1, v[1:2]
	v_add_co_u32 v1, vcc_lo, s12, v1
	v_add_co_ci_u32_e64 v2, null, s13, v2, vcc_lo
	global_store_short v[1:2], v10, off
	s_or_b32 exec_lo, exec_lo, s0
	s_mov_b32 s0, exec_lo
	v_cmpx_gt_i32_e64 s4, v0
	s_cbranch_execnz .LBB18_83
.LBB18_73:
	s_or_b32 exec_lo, exec_lo, s0
	s_mov_b32 s0, exec_lo
	v_cmpx_gt_i32_e64 s4, v0
	s_cbranch_execz .LBB18_75
.LBB18_74:
	v_add_nc_u32_e32 v0, s2, v0
	v_mov_b32_e32 v1, 0
	v_lshlrev_b64 v[0:1], 1, v[0:1]
	v_add_co_u32 v0, vcc_lo, s12, v0
	v_add_co_ci_u32_e64 v1, null, s13, v1, vcc_lo
	global_store_short v[0:1], v7, off
.LBB18_75:
	s_endpgm
.LBB18_76:
	s_or_b32 exec_lo, exec_lo, s1
	s_and_saveexec_b32 s0, vcc_lo
	s_xor_b32 s0, exec_lo, s0
	s_cbranch_execz .LBB18_67
.LBB18_77:
	v_mov_b32_e32 v2, 0
	v_lshlrev_b64 v[0:1], 1, v[1:2]
	v_add_co_u32 v12, vcc_lo, s12, v0
	v_add_co_ci_u32_e64 v13, null, s13, v1, vcc_lo
	v_mov_b32_e32 v0, v3
	global_store_short v[12:13], v5, off
	s_or_b32 exec_lo, exec_lo, s0
	s_mov_b32 s0, exec_lo
	v_cmpx_gt_i32_e64 s4, v0
	s_cbranch_execnz .LBB18_68
.LBB18_78:
	s_or_b32 exec_lo, exec_lo, s0
	s_mov_b32 s0, exec_lo
	v_cmpx_gt_i32_e64 s4, v0
	s_cbranch_execz .LBB18_69
.LBB18_79:
	v_add_nc_u32_e32 v1, s2, v0
	v_mov_b32_e32 v2, 0
	v_add_nc_u32_e32 v0, 0x100, v0
	v_lshlrev_b64 v[1:2], 1, v[1:2]
	v_add_co_u32 v1, vcc_lo, s12, v1
	v_add_co_ci_u32_e64 v2, null, s13, v2, vcc_lo
	global_store_short v[1:2], v9, off
	s_or_b32 exec_lo, exec_lo, s0
	s_mov_b32 s0, exec_lo
	v_cmpx_gt_i32_e64 s4, v0
	s_cbranch_execnz .LBB18_70
.LBB18_80:
	s_or_b32 exec_lo, exec_lo, s0
	s_mov_b32 s0, exec_lo
	v_cmpx_gt_i32_e64 s4, v0
	s_cbranch_execz .LBB18_71
.LBB18_81:
	v_add_nc_u32_e32 v1, s2, v0
	v_mov_b32_e32 v2, 0
	v_add_nc_u32_e32 v0, 0x100, v0
	v_lshlrev_b64 v[1:2], 1, v[1:2]
	v_add_co_u32 v1, vcc_lo, s12, v1
	v_add_co_ci_u32_e64 v2, null, s13, v2, vcc_lo
	global_store_short v[1:2], v6, off
	s_or_b32 exec_lo, exec_lo, s0
	s_mov_b32 s0, exec_lo
	v_cmpx_gt_i32_e64 s4, v0
	s_cbranch_execnz .LBB18_72
.LBB18_82:
	s_or_b32 exec_lo, exec_lo, s0
	s_mov_b32 s0, exec_lo
	v_cmpx_gt_i32_e64 s4, v0
	s_cbranch_execz .LBB18_73
.LBB18_83:
	v_add_nc_u32_e32 v1, s2, v0
	v_mov_b32_e32 v2, 0
	v_add_nc_u32_e32 v0, 0x100, v0
	v_lshlrev_b64 v[1:2], 1, v[1:2]
	v_add_co_u32 v1, vcc_lo, s12, v1
	v_add_co_ci_u32_e64 v2, null, s13, v2, vcc_lo
	global_store_short v[1:2], v4, off
	s_or_b32 exec_lo, exec_lo, s0
	s_mov_b32 s0, exec_lo
	v_cmpx_gt_i32_e64 s4, v0
	s_cbranch_execnz .LBB18_74
	s_branch .LBB18_75
	.section	.rodata,"a",@progbits
	.p2align	6, 0x0
	.amdhsa_kernel _ZN2at6native29vectorized_elementwise_kernelILi8EZZZNS0_12_GLOBAL__N_139_amp_non_finite_check_and_unscale_cuda_ERNS_6TensorES4_RKS3_ENKUlvE_clEvENKUlvE1_clEvEUlN3c104HalfEE_St5arrayIPcLm2EEEEviT0_T1_
		.amdhsa_group_segment_fixed_size 0
		.amdhsa_private_segment_fixed_size 0
		.amdhsa_kernarg_size 40
		.amdhsa_user_sgpr_count 6
		.amdhsa_user_sgpr_private_segment_buffer 1
		.amdhsa_user_sgpr_dispatch_ptr 0
		.amdhsa_user_sgpr_queue_ptr 0
		.amdhsa_user_sgpr_kernarg_segment_ptr 1
		.amdhsa_user_sgpr_dispatch_id 0
		.amdhsa_user_sgpr_flat_scratch_init 0
		.amdhsa_user_sgpr_private_segment_size 0
		.amdhsa_wavefront_size32 1
		.amdhsa_uses_dynamic_stack 0
		.amdhsa_system_sgpr_private_segment_wavefront_offset 0
		.amdhsa_system_sgpr_workgroup_id_x 1
		.amdhsa_system_sgpr_workgroup_id_y 0
		.amdhsa_system_sgpr_workgroup_id_z 0
		.amdhsa_system_sgpr_workgroup_info 0
		.amdhsa_system_vgpr_workitem_id 0
		.amdhsa_next_free_vgpr 27
		.amdhsa_next_free_sgpr 16
		.amdhsa_reserve_vcc 1
		.amdhsa_reserve_flat_scratch 0
		.amdhsa_float_round_mode_32 0
		.amdhsa_float_round_mode_16_64 0
		.amdhsa_float_denorm_mode_32 3
		.amdhsa_float_denorm_mode_16_64 3
		.amdhsa_dx10_clamp 1
		.amdhsa_ieee_mode 1
		.amdhsa_fp16_overflow 0
		.amdhsa_workgroup_processor_mode 1
		.amdhsa_memory_ordered 1
		.amdhsa_forward_progress 1
		.amdhsa_shared_vgpr_count 0
		.amdhsa_exception_fp_ieee_invalid_op 0
		.amdhsa_exception_fp_denorm_src 0
		.amdhsa_exception_fp_ieee_div_zero 0
		.amdhsa_exception_fp_ieee_overflow 0
		.amdhsa_exception_fp_ieee_underflow 0
		.amdhsa_exception_fp_ieee_inexact 0
		.amdhsa_exception_int_div_zero 0
	.end_amdhsa_kernel
	.section	.text._ZN2at6native29vectorized_elementwise_kernelILi8EZZZNS0_12_GLOBAL__N_139_amp_non_finite_check_and_unscale_cuda_ERNS_6TensorES4_RKS3_ENKUlvE_clEvENKUlvE1_clEvEUlN3c104HalfEE_St5arrayIPcLm2EEEEviT0_T1_,"axG",@progbits,_ZN2at6native29vectorized_elementwise_kernelILi8EZZZNS0_12_GLOBAL__N_139_amp_non_finite_check_and_unscale_cuda_ERNS_6TensorES4_RKS3_ENKUlvE_clEvENKUlvE1_clEvEUlN3c104HalfEE_St5arrayIPcLm2EEEEviT0_T1_,comdat
.Lfunc_end18:
	.size	_ZN2at6native29vectorized_elementwise_kernelILi8EZZZNS0_12_GLOBAL__N_139_amp_non_finite_check_and_unscale_cuda_ERNS_6TensorES4_RKS3_ENKUlvE_clEvENKUlvE1_clEvEUlN3c104HalfEE_St5arrayIPcLm2EEEEviT0_T1_, .Lfunc_end18-_ZN2at6native29vectorized_elementwise_kernelILi8EZZZNS0_12_GLOBAL__N_139_amp_non_finite_check_and_unscale_cuda_ERNS_6TensorES4_RKS3_ENKUlvE_clEvENKUlvE1_clEvEUlN3c104HalfEE_St5arrayIPcLm2EEEEviT0_T1_
                                        ; -- End function
	.set _ZN2at6native29vectorized_elementwise_kernelILi8EZZZNS0_12_GLOBAL__N_139_amp_non_finite_check_and_unscale_cuda_ERNS_6TensorES4_RKS3_ENKUlvE_clEvENKUlvE1_clEvEUlN3c104HalfEE_St5arrayIPcLm2EEEEviT0_T1_.num_vgpr, 27
	.set _ZN2at6native29vectorized_elementwise_kernelILi8EZZZNS0_12_GLOBAL__N_139_amp_non_finite_check_and_unscale_cuda_ERNS_6TensorES4_RKS3_ENKUlvE_clEvENKUlvE1_clEvEUlN3c104HalfEE_St5arrayIPcLm2EEEEviT0_T1_.num_agpr, 0
	.set _ZN2at6native29vectorized_elementwise_kernelILi8EZZZNS0_12_GLOBAL__N_139_amp_non_finite_check_and_unscale_cuda_ERNS_6TensorES4_RKS3_ENKUlvE_clEvENKUlvE1_clEvEUlN3c104HalfEE_St5arrayIPcLm2EEEEviT0_T1_.numbered_sgpr, 16
	.set _ZN2at6native29vectorized_elementwise_kernelILi8EZZZNS0_12_GLOBAL__N_139_amp_non_finite_check_and_unscale_cuda_ERNS_6TensorES4_RKS3_ENKUlvE_clEvENKUlvE1_clEvEUlN3c104HalfEE_St5arrayIPcLm2EEEEviT0_T1_.num_named_barrier, 0
	.set _ZN2at6native29vectorized_elementwise_kernelILi8EZZZNS0_12_GLOBAL__N_139_amp_non_finite_check_and_unscale_cuda_ERNS_6TensorES4_RKS3_ENKUlvE_clEvENKUlvE1_clEvEUlN3c104HalfEE_St5arrayIPcLm2EEEEviT0_T1_.private_seg_size, 0
	.set _ZN2at6native29vectorized_elementwise_kernelILi8EZZZNS0_12_GLOBAL__N_139_amp_non_finite_check_and_unscale_cuda_ERNS_6TensorES4_RKS3_ENKUlvE_clEvENKUlvE1_clEvEUlN3c104HalfEE_St5arrayIPcLm2EEEEviT0_T1_.uses_vcc, 1
	.set _ZN2at6native29vectorized_elementwise_kernelILi8EZZZNS0_12_GLOBAL__N_139_amp_non_finite_check_and_unscale_cuda_ERNS_6TensorES4_RKS3_ENKUlvE_clEvENKUlvE1_clEvEUlN3c104HalfEE_St5arrayIPcLm2EEEEviT0_T1_.uses_flat_scratch, 0
	.set _ZN2at6native29vectorized_elementwise_kernelILi8EZZZNS0_12_GLOBAL__N_139_amp_non_finite_check_and_unscale_cuda_ERNS_6TensorES4_RKS3_ENKUlvE_clEvENKUlvE1_clEvEUlN3c104HalfEE_St5arrayIPcLm2EEEEviT0_T1_.has_dyn_sized_stack, 0
	.set _ZN2at6native29vectorized_elementwise_kernelILi8EZZZNS0_12_GLOBAL__N_139_amp_non_finite_check_and_unscale_cuda_ERNS_6TensorES4_RKS3_ENKUlvE_clEvENKUlvE1_clEvEUlN3c104HalfEE_St5arrayIPcLm2EEEEviT0_T1_.has_recursion, 0
	.set _ZN2at6native29vectorized_elementwise_kernelILi8EZZZNS0_12_GLOBAL__N_139_amp_non_finite_check_and_unscale_cuda_ERNS_6TensorES4_RKS3_ENKUlvE_clEvENKUlvE1_clEvEUlN3c104HalfEE_St5arrayIPcLm2EEEEviT0_T1_.has_indirect_call, 0
	.section	.AMDGPU.csdata,"",@progbits
; Kernel info:
; codeLenInByte = 2972
; TotalNumSgprs: 18
; NumVgprs: 27
; ScratchSize: 0
; MemoryBound: 0
; FloatMode: 240
; IeeeMode: 1
; LDSByteSize: 0 bytes/workgroup (compile time only)
; SGPRBlocks: 0
; VGPRBlocks: 3
; NumSGPRsForWavesPerEU: 18
; NumVGPRsForWavesPerEU: 27
; Occupancy: 16
; WaveLimiterHint : 0
; COMPUTE_PGM_RSRC2:SCRATCH_EN: 0
; COMPUTE_PGM_RSRC2:USER_SGPR: 6
; COMPUTE_PGM_RSRC2:TRAP_HANDLER: 0
; COMPUTE_PGM_RSRC2:TGID_X_EN: 1
; COMPUTE_PGM_RSRC2:TGID_Y_EN: 0
; COMPUTE_PGM_RSRC2:TGID_Z_EN: 0
; COMPUTE_PGM_RSRC2:TIDIG_COMP_CNT: 0
	.section	.text._ZN2at6native29vectorized_elementwise_kernelILi4EZZZNS0_12_GLOBAL__N_139_amp_non_finite_check_and_unscale_cuda_ERNS_6TensorES4_RKS3_ENKUlvE_clEvENKUlvE1_clEvEUlN3c104HalfEE_St5arrayIPcLm2EEEEviT0_T1_,"axG",@progbits,_ZN2at6native29vectorized_elementwise_kernelILi4EZZZNS0_12_GLOBAL__N_139_amp_non_finite_check_and_unscale_cuda_ERNS_6TensorES4_RKS3_ENKUlvE_clEvENKUlvE1_clEvEUlN3c104HalfEE_St5arrayIPcLm2EEEEviT0_T1_,comdat
	.globl	_ZN2at6native29vectorized_elementwise_kernelILi4EZZZNS0_12_GLOBAL__N_139_amp_non_finite_check_and_unscale_cuda_ERNS_6TensorES4_RKS3_ENKUlvE_clEvENKUlvE1_clEvEUlN3c104HalfEE_St5arrayIPcLm2EEEEviT0_T1_ ; -- Begin function _ZN2at6native29vectorized_elementwise_kernelILi4EZZZNS0_12_GLOBAL__N_139_amp_non_finite_check_and_unscale_cuda_ERNS_6TensorES4_RKS3_ENKUlvE_clEvENKUlvE1_clEvEUlN3c104HalfEE_St5arrayIPcLm2EEEEviT0_T1_
	.p2align	8
	.type	_ZN2at6native29vectorized_elementwise_kernelILi4EZZZNS0_12_GLOBAL__N_139_amp_non_finite_check_and_unscale_cuda_ERNS_6TensorES4_RKS3_ENKUlvE_clEvENKUlvE1_clEvEUlN3c104HalfEE_St5arrayIPcLm2EEEEviT0_T1_,@function
_ZN2at6native29vectorized_elementwise_kernelILi4EZZZNS0_12_GLOBAL__N_139_amp_non_finite_check_and_unscale_cuda_ERNS_6TensorES4_RKS3_ENKUlvE_clEvENKUlvE1_clEvEUlN3c104HalfEE_St5arrayIPcLm2EEEEviT0_T1_: ; @_ZN2at6native29vectorized_elementwise_kernelILi4EZZZNS0_12_GLOBAL__N_139_amp_non_finite_check_and_unscale_cuda_ERNS_6TensorES4_RKS3_ENKUlvE_clEvENKUlvE1_clEvEUlN3c104HalfEE_St5arrayIPcLm2EEEEviT0_T1_
; %bb.0:
	s_clause 0x1
	s_load_dword s0, s[4:5], 0x0
	s_load_dwordx8 s[8:15], s[4:5], 0x8
	s_lshl_b32 s2, s6, 11
	s_waitcnt lgkmcnt(0)
	s_sub_i32 s1, s0, s2
	s_mov_b32 s0, -1
	s_cmpk_gt_i32 s1, 0x7ff
	s_cbranch_scc0 .LBB19_18
; %bb.1:
	s_ashr_i32 s3, s2, 31
	v_lshlrev_b32_e32 v5, 3, v0
	s_lshl_b64 s[4:5], s[2:3], 1
	v_mov_b32_e32 v7, 0
	s_add_u32 s6, s14, s4
	s_addc_u32 s7, s15, s5
	v_add_co_u32 v3, s0, s6, v5
	v_add_co_ci_u32_e64 v4, null, s7, 0, s0
	global_load_dwordx2 v[1:2], v5, s[6:7]
	v_add_co_u32 v3, vcc_lo, 0x800, v3
	v_add_co_ci_u32_e64 v4, null, 0, v4, vcc_lo
	s_mov_b32 s0, exec_lo
	global_load_dwordx2 v[3:4], v[3:4], off
	s_waitcnt vmcnt(1)
	v_cvt_f32_f16_e32 v6, v1
	v_cmpx_nlg_f32_e64 0x7f800000, |v6|
	s_cbranch_execz .LBB19_3
; %bb.2:
	v_mov_b32_e32 v8, 1.0
	global_store_dword v7, v8, s[8:9]
.LBB19_3:
	s_or_b32 exec_lo, exec_lo, s0
	global_load_dword v7, v7, s[10:11]
	v_lshrrev_b32_e32 v8, 16, v1
	s_mov_b32 s0, exec_lo
	v_cvt_f32_f16_e32 v13, v8
	s_waitcnt vmcnt(0)
	v_mov_b32_e32 v10, v7
	v_cmpx_nlg_f32_e64 0x7f800000, |v13|
	s_cbranch_execz .LBB19_5
; %bb.4:
	v_mov_b32_e32 v9, 0
	v_mov_b32_e32 v10, 1.0
	global_store_dword v9, v10, s[8:9]
	global_load_dword v10, v9, s[10:11]
.LBB19_5:
	s_or_b32 exec_lo, exec_lo, s0
	v_cvt_f32_f16_e32 v11, v2
	s_waitcnt vmcnt(0)
	v_mov_b32_e32 v9, v10
	s_mov_b32 s0, exec_lo
	v_cmpx_nlg_f32_e64 0x7f800000, |v11|
	s_cbranch_execz .LBB19_7
; %bb.6:
	v_mov_b32_e32 v9, 0
	v_mov_b32_e32 v12, 1.0
	global_store_dword v9, v12, s[8:9]
	global_load_dword v9, v9, s[10:11]
.LBB19_7:
	s_or_b32 exec_lo, exec_lo, s0
	v_lshrrev_b32_e32 v12, 16, v2
	s_waitcnt vmcnt(0)
	v_mov_b32_e32 v14, v9
	s_mov_b32 s0, exec_lo
	v_cvt_f32_f16_e32 v15, v12
	v_cmpx_nlg_f32_e64 0x7f800000, |v15|
	s_cbranch_execz .LBB19_9
; %bb.8:
	v_mov_b32_e32 v14, 0
	v_mov_b32_e32 v16, 1.0
	global_store_dword v14, v16, s[8:9]
	global_load_dword v14, v14, s[10:11]
.LBB19_9:
	s_or_b32 exec_lo, exec_lo, s0
	v_cvt_f32_f16_e32 v18, v3
	s_waitcnt vmcnt(0)
	v_mov_b32_e32 v17, v14
	s_mov_b32 s0, exec_lo
	v_cmpx_nlg_f32_e64 0x7f800000, |v18|
	s_cbranch_execz .LBB19_11
; %bb.10:
	v_mov_b32_e32 v16, 0
	v_mov_b32_e32 v17, 1.0
	global_store_dword v16, v17, s[8:9]
	global_load_dword v17, v16, s[10:11]
.LBB19_11:
	s_or_b32 exec_lo, exec_lo, s0
	v_lshrrev_b32_e32 v16, 16, v3
	s_waitcnt vmcnt(0)
	v_mov_b32_e32 v24, v17
	s_mov_b32 s0, exec_lo
	v_cvt_f32_f16_e32 v22, v16
	;; [unrolled: 27-line block ×3, first 2 shown]
	v_cmpx_nlg_f32_e64 0x7f800000, |v20|
	s_cbranch_execz .LBB19_17
; %bb.16:
	v_mov_b32_e32 v21, 0
	v_mov_b32_e32 v26, 1.0
	global_store_dword v21, v26, s[8:9]
	global_load_dword v21, v21, s[10:11]
.LBB19_17:
	s_or_b32 exec_lo, exec_lo, s0
	v_cmp_eq_f32_e32 vcc_lo, 1.0, v24
	v_fma_mixlo_f16 v22, v24, v22, 0
	v_fma_mixlo_f16 v13, v10, v13, 0
	;; [unrolled: 1-line block ×5, first 2 shown]
	v_cndmask_b32_sdwa v16, v22, v16, vcc_lo dst_sel:WORD_1 dst_unused:UNUSED_PAD src0_sel:DWORD src1_sel:DWORD
	v_cmp_eq_f32_e32 vcc_lo, 1.0, v10
	s_waitcnt vmcnt(0)
	v_fma_mixlo_f16 v10, v21, v20, 0
	v_cmp_eq_f32_e64 s0, 1.0, v17
	s_add_u32 s4, s12, s4
	s_addc_u32 s5, s13, s5
	v_cndmask_b32_e32 v8, v13, v8, vcc_lo
	v_cmp_eq_f32_e32 vcc_lo, 1.0, v7
	v_fma_mixlo_f16 v7, v9, v11, 0
	v_cndmask_b32_e64 v3, v18, v3, s0
	v_cndmask_b32_e32 v1, v6, v1, vcc_lo
	v_cmp_eq_f32_e32 vcc_lo, 1.0, v23
	v_lshlrev_b32_e32 v6, 16, v8
	v_fma_mixlo_f16 v8, v14, v15, 0
	v_and_b32_e32 v3, 0xffff, v3
	v_and_b32_e32 v1, 0xffff, v1
	v_cndmask_b32_e32 v4, v24, v4, vcc_lo
	v_cmp_eq_f32_e32 vcc_lo, 1.0, v9
	v_or_b32_e32 v3, v16, v3
	v_or_b32_e32 v1, v6, v1
	v_and_b32_e32 v4, 0xffff, v4
	v_cndmask_b32_e32 v2, v7, v2, vcc_lo
	v_cmp_eq_f32_e32 vcc_lo, 1.0, v14
	v_or3_b32 v3, 0, v3, 0
	v_or3_b32 v1, 0, v1, 0
	v_and_b32_e32 v2, 0xffff, v2
	v_cndmask_b32_e32 v7, v8, v12, vcc_lo
	v_cmp_eq_f32_e32 vcc_lo, 1.0, v21
	v_lshlrev_b32_e32 v7, 16, v7
	v_cndmask_b32_e32 v8, v10, v19, vcc_lo
	v_or3_b32 v2, v2, 0, v7
	v_lshlrev_b32_e32 v6, 16, v8
	v_or3_b32 v4, v4, 0, v6
	v_add_co_u32 v6, s0, s4, v5
	v_add_co_ci_u32_e64 v7, null, s5, 0, s0
	s_mov_b32 s0, 0
	v_add_co_u32 v6, vcc_lo, 0x800, v6
	v_add_co_ci_u32_e64 v7, null, 0, v7, vcc_lo
	global_store_dwordx2 v5, v[1:2], s[4:5]
	global_store_dwordx2 v[6:7], v[3:4], off
.LBB19_18:
	s_and_b32 vcc_lo, exec_lo, s0
	s_cbranch_vccz .LBB19_75
; %bb.19:
	v_cmp_gt_i32_e32 vcc_lo, s1, v0
	v_mov_b32_e32 v9, 0
	v_or_b32_e32 v1, s2, v0
	v_or_b32_e32 v3, 0x100, v0
	v_mov_b32_e32 v8, 0
	v_mov_b32_e32 v5, v0
	s_and_saveexec_b32 s3, vcc_lo
	s_cbranch_execz .LBB19_21
; %bb.20:
	v_mov_b32_e32 v2, 0
	v_lshlrev_b64 v[4:5], 1, v[1:2]
	v_add_co_u32 v4, s0, s14, v4
	v_add_co_ci_u32_e64 v5, null, s15, v5, s0
	global_load_ushort v8, v[4:5], off
	v_or_b32_e32 v5, 0x100, v0
.LBB19_21:
	s_or_b32 exec_lo, exec_lo, s3
	s_mov_b32 s3, exec_lo
	v_cmpx_gt_i32_e64 s1, v5
	s_cbranch_execz .LBB19_23
; %bb.22:
	v_add_nc_u32_e32 v6, s2, v5
	v_mov_b32_e32 v7, 0
	v_add_nc_u32_e32 v5, 0x100, v5
	v_lshlrev_b64 v[6:7], 1, v[6:7]
	v_add_co_u32 v6, s0, s14, v6
	v_add_co_ci_u32_e64 v7, null, s15, v7, s0
	global_load_ushort v9, v[6:7], off
.LBB19_23:
	s_or_b32 exec_lo, exec_lo, s3
	v_mov_b32_e32 v6, 0
	v_mov_b32_e32 v11, 0
	s_mov_b32 s3, exec_lo
	v_cmpx_gt_i32_e64 s1, v5
	s_cbranch_execz .LBB19_25
; %bb.24:
	v_add_nc_u32_e32 v10, s2, v5
	v_mov_b32_e32 v11, 0
	v_add_nc_u32_e32 v5, 0x100, v5
	v_lshlrev_b64 v[10:11], 1, v[10:11]
	v_add_co_u32 v10, s0, s14, v10
	v_add_co_ci_u32_e64 v11, null, s15, v11, s0
	global_load_ushort v11, v[10:11], off
.LBB19_25:
	s_or_b32 exec_lo, exec_lo, s3
	s_mov_b32 s3, exec_lo
	v_cmpx_gt_i32_e64 s1, v5
	s_cbranch_execz .LBB19_27
; %bb.26:
	v_add_nc_u32_e32 v6, s2, v5
	v_mov_b32_e32 v7, 0
	v_add_nc_u32_e32 v5, 0x100, v5
	v_lshlrev_b64 v[6:7], 1, v[6:7]
	v_add_co_u32 v6, s0, s14, v6
	v_add_co_ci_u32_e64 v7, null, s15, v7, s0
	global_load_ushort v6, v[6:7], off
.LBB19_27:
	s_or_b32 exec_lo, exec_lo, s3
	v_mov_b32_e32 v4, 0
	v_mov_b32_e32 v10, 0
	s_mov_b32 s3, exec_lo
	v_cmpx_gt_i32_e64 s1, v5
	s_cbranch_execz .LBB19_29
; %bb.28:
	v_add_nc_u32_e32 v12, s2, v5
	v_mov_b32_e32 v13, 0
	v_add_nc_u32_e32 v5, 0x100, v5
	v_lshlrev_b64 v[12:13], 1, v[12:13]
	v_add_co_u32 v12, s0, s14, v12
	v_add_co_ci_u32_e64 v13, null, s15, v13, s0
	global_load_ushort v10, v[12:13], off
.LBB19_29:
	s_or_b32 exec_lo, exec_lo, s3
	s_mov_b32 s3, exec_lo
	v_cmpx_gt_i32_e64 s1, v5
	s_cbranch_execz .LBB19_31
; %bb.30:
	v_add_nc_u32_e32 v12, s2, v5
	v_mov_b32_e32 v13, 0
	v_add_nc_u32_e32 v5, 0x100, v5
	v_lshlrev_b64 v[12:13], 1, v[12:13]
	v_add_co_u32 v12, s0, s14, v12
	v_add_co_ci_u32_e64 v13, null, s15, v13, s0
	global_load_ushort v4, v[12:13], off
.LBB19_31:
	s_or_b32 exec_lo, exec_lo, s3
	v_mov_b32_e32 v2, 0
	v_mov_b32_e32 v7, 0
	s_mov_b32 s3, exec_lo
	v_cmpx_gt_i32_e64 s1, v5
	s_cbranch_execz .LBB19_35
; %bb.32:
	v_add_nc_u32_e32 v12, s2, v5
	v_mov_b32_e32 v13, 0
	v_add_nc_u32_e32 v5, 0x100, v5
	v_lshlrev_b64 v[12:13], 1, v[12:13]
	v_add_co_u32 v12, s0, s14, v12
	v_add_co_ci_u32_e64 v13, null, s15, v13, s0
	global_load_ushort v7, v[12:13], off
	s_or_b32 exec_lo, exec_lo, s3
	s_mov_b32 s3, exec_lo
	v_cmpx_gt_i32_e64 s1, v5
	s_cbranch_execnz .LBB19_36
.LBB19_33:
	s_or_b32 exec_lo, exec_lo, s3
                                        ; implicit-def: $vgpr5
	s_and_saveexec_b32 s3, vcc_lo
	s_cbranch_execnz .LBB19_37
.LBB19_34:
	s_or_b32 exec_lo, exec_lo, s3
	s_mov_b32 s3, exec_lo
                                        ; implicit-def: $vgpr8
	v_cmpx_gt_i32_e64 s1, v3
	s_cbranch_execz .LBB19_43
	s_branch .LBB19_40
.LBB19_35:
	s_or_b32 exec_lo, exec_lo, s3
	s_mov_b32 s3, exec_lo
	v_cmpx_gt_i32_e64 s1, v5
	s_cbranch_execz .LBB19_33
.LBB19_36:
	v_add_nc_u32_e32 v12, s2, v5
	v_mov_b32_e32 v13, 0
	v_lshlrev_b64 v[12:13], 1, v[12:13]
	v_add_co_u32 v12, s0, s14, v12
	v_add_co_ci_u32_e64 v13, null, s15, v13, s0
	global_load_ushort v2, v[12:13], off
	s_or_b32 exec_lo, exec_lo, s3
                                        ; implicit-def: $vgpr5
	s_and_saveexec_b32 s3, vcc_lo
	s_cbranch_execz .LBB19_34
.LBB19_37:
	s_waitcnt vmcnt(0)
	v_cvt_f32_f16_e32 v5, v8
	s_mov_b32 s0, exec_lo
	v_cmpx_nlg_f32_e64 0x7f800000, |v5|
	s_cbranch_execz .LBB19_39
; %bb.38:
	v_mov_b32_e32 v12, 0
	v_mov_b32_e32 v13, 1.0
	global_store_dword v12, v13, s[8:9]
.LBB19_39:
	s_or_b32 exec_lo, exec_lo, s0
	v_mov_b32_e32 v12, 0
	global_load_dword v12, v12, s[10:11]
	s_waitcnt vmcnt(0)
	v_fma_mixlo_f16 v5, v12, v5, 0
	v_cmp_eq_f32_e64 s0, 1.0, v12
	v_cndmask_b32_e64 v5, v5, v8, s0
	s_or_b32 exec_lo, exec_lo, s3
	s_mov_b32 s3, exec_lo
                                        ; implicit-def: $vgpr8
	v_cmpx_gt_i32_e64 s1, v3
	s_cbranch_execz .LBB19_43
.LBB19_40:
	s_waitcnt vmcnt(0)
	v_cvt_f32_f16_e32 v8, v9
	s_mov_b32 s0, exec_lo
	v_cmpx_nlg_f32_e64 0x7f800000, |v8|
	s_cbranch_execz .LBB19_42
; %bb.41:
	v_mov_b32_e32 v12, 0
	v_mov_b32_e32 v13, 1.0
	global_store_dword v12, v13, s[8:9]
.LBB19_42:
	s_or_b32 exec_lo, exec_lo, s0
	v_mov_b32_e32 v12, 0
	global_load_dword v12, v12, s[10:11]
	s_waitcnt vmcnt(0)
	v_fma_mixlo_f16 v8, v12, v8, 0
	v_cmp_eq_f32_e64 s0, 1.0, v12
	v_cndmask_b32_e64 v8, v8, v9, s0
.LBB19_43:
	s_or_b32 exec_lo, exec_lo, s3
	s_waitcnt vmcnt(0)
	v_or_b32_e32 v9, 0x200, v0
	v_cmp_gt_i32_e64 s0, s1, v9
                                        ; implicit-def: $vgpr9
	s_and_saveexec_b32 s3, s0
	s_cbranch_execz .LBB19_47
; %bb.44:
	v_cvt_f32_f16_e32 v9, v11
	s_mov_b32 s0, exec_lo
	v_cmpx_nlg_f32_e64 0x7f800000, |v9|
	s_cbranch_execz .LBB19_46
; %bb.45:
	v_mov_b32_e32 v12, 0
	v_mov_b32_e32 v13, 1.0
	global_store_dword v12, v13, s[8:9]
.LBB19_46:
	s_or_b32 exec_lo, exec_lo, s0
	v_mov_b32_e32 v12, 0
	global_load_dword v12, v12, s[10:11]
	s_waitcnt vmcnt(0)
	v_fma_mixlo_f16 v9, v12, v9, 0
	v_cmp_eq_f32_e64 s0, 1.0, v12
	v_cndmask_b32_e64 v9, v9, v11, s0
.LBB19_47:
	s_or_b32 exec_lo, exec_lo, s3
	v_or_b32_e32 v11, 0x300, v0
	v_cmp_gt_i32_e64 s0, s1, v11
                                        ; implicit-def: $vgpr11
	s_and_saveexec_b32 s3, s0
	s_cbranch_execz .LBB19_51
; %bb.48:
	v_cvt_f32_f16_e32 v11, v6
	s_mov_b32 s0, exec_lo
	v_cmpx_nlg_f32_e64 0x7f800000, |v11|
	s_cbranch_execz .LBB19_50
; %bb.49:
	v_mov_b32_e32 v12, 0
	v_mov_b32_e32 v13, 1.0
	global_store_dword v12, v13, s[8:9]
.LBB19_50:
	s_or_b32 exec_lo, exec_lo, s0
	v_mov_b32_e32 v12, 0
	global_load_dword v12, v12, s[10:11]
	s_waitcnt vmcnt(0)
	v_fma_mixlo_f16 v11, v12, v11, 0
	v_cmp_eq_f32_e64 s0, 1.0, v12
	v_cndmask_b32_e64 v11, v11, v6, s0
.LBB19_51:
	s_or_b32 exec_lo, exec_lo, s3
	v_or_b32_e32 v6, 0x400, v0
	v_cmp_gt_i32_e64 s0, s1, v6
                                        ; implicit-def: $vgpr6
	s_and_saveexec_b32 s3, s0
	s_cbranch_execz .LBB19_55
; %bb.52:
	v_cvt_f32_f16_e32 v6, v10
	s_mov_b32 s0, exec_lo
	v_cmpx_nlg_f32_e64 0x7f800000, |v6|
	s_cbranch_execz .LBB19_54
; %bb.53:
	v_mov_b32_e32 v12, 0
	v_mov_b32_e32 v13, 1.0
	global_store_dword v12, v13, s[8:9]
.LBB19_54:
	s_or_b32 exec_lo, exec_lo, s0
	v_mov_b32_e32 v12, 0
	global_load_dword v12, v12, s[10:11]
	s_waitcnt vmcnt(0)
	v_fma_mixlo_f16 v6, v12, v6, 0
	v_cmp_eq_f32_e64 s0, 1.0, v12
	v_cndmask_b32_e64 v6, v6, v10, s0
.LBB19_55:
	s_or_b32 exec_lo, exec_lo, s3
	v_or_b32_e32 v10, 0x500, v0
	v_cmp_gt_i32_e64 s0, s1, v10
                                        ; implicit-def: $vgpr10
	s_and_saveexec_b32 s3, s0
	s_cbranch_execz .LBB19_59
; %bb.56:
	v_cvt_f32_f16_e32 v10, v4
	s_mov_b32 s0, exec_lo
	v_cmpx_nlg_f32_e64 0x7f800000, |v10|
	s_cbranch_execz .LBB19_58
; %bb.57:
	v_mov_b32_e32 v12, 0
	v_mov_b32_e32 v13, 1.0
	global_store_dword v12, v13, s[8:9]
.LBB19_58:
	s_or_b32 exec_lo, exec_lo, s0
	v_mov_b32_e32 v12, 0
	global_load_dword v12, v12, s[10:11]
	s_waitcnt vmcnt(0)
	v_fma_mixlo_f16 v10, v12, v10, 0
	v_cmp_eq_f32_e64 s0, 1.0, v12
	v_cndmask_b32_e64 v10, v10, v4, s0
.LBB19_59:
	s_or_b32 exec_lo, exec_lo, s3
	v_or_b32_e32 v4, 0x600, v0
	v_cmp_gt_i32_e64 s0, s1, v4
                                        ; implicit-def: $vgpr4
	s_and_saveexec_b32 s3, s0
	s_cbranch_execz .LBB19_63
; %bb.60:
	v_cvt_f32_f16_e32 v4, v7
	s_mov_b32 s0, exec_lo
	v_cmpx_nlg_f32_e64 0x7f800000, |v4|
	s_cbranch_execz .LBB19_62
; %bb.61:
	v_mov_b32_e32 v12, 0
	v_mov_b32_e32 v13, 1.0
	global_store_dword v12, v13, s[8:9]
.LBB19_62:
	s_or_b32 exec_lo, exec_lo, s0
	v_mov_b32_e32 v12, 0
	global_load_dword v12, v12, s[10:11]
	s_waitcnt vmcnt(0)
	v_fma_mixlo_f16 v4, v12, v4, 0
	v_cmp_eq_f32_e64 s0, 1.0, v12
	v_cndmask_b32_e64 v4, v4, v7, s0
.LBB19_63:
	s_or_b32 exec_lo, exec_lo, s3
	v_or_b32_e32 v7, 0x700, v0
	v_cmp_gt_i32_e64 s0, s1, v7
                                        ; implicit-def: $vgpr7
	s_and_saveexec_b32 s3, s0
	s_cbranch_execz .LBB19_76
; %bb.64:
	v_cvt_f32_f16_e32 v7, v2
	s_mov_b32 s0, exec_lo
	v_cmpx_nlg_f32_e64 0x7f800000, |v7|
	s_cbranch_execz .LBB19_66
; %bb.65:
	v_mov_b32_e32 v12, 0
	v_mov_b32_e32 v13, 1.0
	global_store_dword v12, v13, s[8:9]
.LBB19_66:
	s_or_b32 exec_lo, exec_lo, s0
	v_mov_b32_e32 v12, 0
	global_load_dword v12, v12, s[10:11]
	s_waitcnt vmcnt(0)
	v_fma_mixlo_f16 v7, v12, v7, 0
	v_cmp_eq_f32_e64 s0, 1.0, v12
	v_cndmask_b32_e64 v7, v7, v2, s0
	s_or_b32 exec_lo, exec_lo, s3
	s_and_saveexec_b32 s0, vcc_lo
	s_xor_b32 s0, exec_lo, s0
	s_cbranch_execnz .LBB19_77
.LBB19_67:
	s_or_b32 exec_lo, exec_lo, s0
	s_mov_b32 s0, exec_lo
	v_cmpx_gt_i32_e64 s1, v0
	s_cbranch_execz .LBB19_78
.LBB19_68:
	v_add_nc_u32_e32 v1, s2, v0
	v_mov_b32_e32 v2, 0
	v_add_nc_u32_e32 v0, 0x100, v0
	v_lshlrev_b64 v[1:2], 1, v[1:2]
	v_add_co_u32 v1, vcc_lo, s12, v1
	v_add_co_ci_u32_e64 v2, null, s13, v2, vcc_lo
	global_store_short v[1:2], v8, off
	s_or_b32 exec_lo, exec_lo, s0
	s_mov_b32 s0, exec_lo
	v_cmpx_gt_i32_e64 s1, v0
	s_cbranch_execnz .LBB19_79
.LBB19_69:
	s_or_b32 exec_lo, exec_lo, s0
	s_mov_b32 s0, exec_lo
	v_cmpx_gt_i32_e64 s1, v0
	s_cbranch_execz .LBB19_80
.LBB19_70:
	v_add_nc_u32_e32 v1, s2, v0
	v_mov_b32_e32 v2, 0
	v_add_nc_u32_e32 v0, 0x100, v0
	v_lshlrev_b64 v[1:2], 1, v[1:2]
	v_add_co_u32 v1, vcc_lo, s12, v1
	v_add_co_ci_u32_e64 v2, null, s13, v2, vcc_lo
	global_store_short v[1:2], v11, off
	s_or_b32 exec_lo, exec_lo, s0
	s_mov_b32 s0, exec_lo
	v_cmpx_gt_i32_e64 s1, v0
	s_cbranch_execnz .LBB19_81
.LBB19_71:
	s_or_b32 exec_lo, exec_lo, s0
	s_mov_b32 s0, exec_lo
	v_cmpx_gt_i32_e64 s1, v0
	s_cbranch_execz .LBB19_82
.LBB19_72:
	v_add_nc_u32_e32 v1, s2, v0
	v_mov_b32_e32 v2, 0
	v_add_nc_u32_e32 v0, 0x100, v0
	v_lshlrev_b64 v[1:2], 1, v[1:2]
	v_add_co_u32 v1, vcc_lo, s12, v1
	v_add_co_ci_u32_e64 v2, null, s13, v2, vcc_lo
	global_store_short v[1:2], v10, off
	s_or_b32 exec_lo, exec_lo, s0
	s_mov_b32 s0, exec_lo
	v_cmpx_gt_i32_e64 s1, v0
	s_cbranch_execnz .LBB19_83
.LBB19_73:
	s_or_b32 exec_lo, exec_lo, s0
	s_mov_b32 s0, exec_lo
	v_cmpx_gt_i32_e64 s1, v0
	s_cbranch_execz .LBB19_75
.LBB19_74:
	v_add_nc_u32_e32 v0, s2, v0
	v_mov_b32_e32 v1, 0
	v_lshlrev_b64 v[0:1], 1, v[0:1]
	v_add_co_u32 v0, vcc_lo, s12, v0
	v_add_co_ci_u32_e64 v1, null, s13, v1, vcc_lo
	global_store_short v[0:1], v7, off
.LBB19_75:
	s_endpgm
.LBB19_76:
	s_or_b32 exec_lo, exec_lo, s3
	s_and_saveexec_b32 s0, vcc_lo
	s_xor_b32 s0, exec_lo, s0
	s_cbranch_execz .LBB19_67
.LBB19_77:
	v_mov_b32_e32 v2, 0
	v_lshlrev_b64 v[0:1], 1, v[1:2]
	v_add_co_u32 v12, vcc_lo, s12, v0
	v_add_co_ci_u32_e64 v13, null, s13, v1, vcc_lo
	v_mov_b32_e32 v0, v3
	global_store_short v[12:13], v5, off
	s_or_b32 exec_lo, exec_lo, s0
	s_mov_b32 s0, exec_lo
	v_cmpx_gt_i32_e64 s1, v0
	s_cbranch_execnz .LBB19_68
.LBB19_78:
	s_or_b32 exec_lo, exec_lo, s0
	s_mov_b32 s0, exec_lo
	v_cmpx_gt_i32_e64 s1, v0
	s_cbranch_execz .LBB19_69
.LBB19_79:
	v_add_nc_u32_e32 v1, s2, v0
	v_mov_b32_e32 v2, 0
	v_add_nc_u32_e32 v0, 0x100, v0
	v_lshlrev_b64 v[1:2], 1, v[1:2]
	v_add_co_u32 v1, vcc_lo, s12, v1
	v_add_co_ci_u32_e64 v2, null, s13, v2, vcc_lo
	global_store_short v[1:2], v9, off
	s_or_b32 exec_lo, exec_lo, s0
	s_mov_b32 s0, exec_lo
	v_cmpx_gt_i32_e64 s1, v0
	s_cbranch_execnz .LBB19_70
.LBB19_80:
	s_or_b32 exec_lo, exec_lo, s0
	s_mov_b32 s0, exec_lo
	v_cmpx_gt_i32_e64 s1, v0
	s_cbranch_execz .LBB19_71
.LBB19_81:
	v_add_nc_u32_e32 v1, s2, v0
	v_mov_b32_e32 v2, 0
	v_add_nc_u32_e32 v0, 0x100, v0
	v_lshlrev_b64 v[1:2], 1, v[1:2]
	v_add_co_u32 v1, vcc_lo, s12, v1
	v_add_co_ci_u32_e64 v2, null, s13, v2, vcc_lo
	global_store_short v[1:2], v6, off
	s_or_b32 exec_lo, exec_lo, s0
	s_mov_b32 s0, exec_lo
	v_cmpx_gt_i32_e64 s1, v0
	s_cbranch_execnz .LBB19_72
.LBB19_82:
	s_or_b32 exec_lo, exec_lo, s0
	s_mov_b32 s0, exec_lo
	v_cmpx_gt_i32_e64 s1, v0
	s_cbranch_execz .LBB19_73
.LBB19_83:
	v_add_nc_u32_e32 v1, s2, v0
	v_mov_b32_e32 v2, 0
	v_add_nc_u32_e32 v0, 0x100, v0
	v_lshlrev_b64 v[1:2], 1, v[1:2]
	v_add_co_u32 v1, vcc_lo, s12, v1
	v_add_co_ci_u32_e64 v2, null, s13, v2, vcc_lo
	global_store_short v[1:2], v4, off
	s_or_b32 exec_lo, exec_lo, s0
	s_mov_b32 s0, exec_lo
	v_cmpx_gt_i32_e64 s1, v0
	s_cbranch_execnz .LBB19_74
	s_branch .LBB19_75
	.section	.rodata,"a",@progbits
	.p2align	6, 0x0
	.amdhsa_kernel _ZN2at6native29vectorized_elementwise_kernelILi4EZZZNS0_12_GLOBAL__N_139_amp_non_finite_check_and_unscale_cuda_ERNS_6TensorES4_RKS3_ENKUlvE_clEvENKUlvE1_clEvEUlN3c104HalfEE_St5arrayIPcLm2EEEEviT0_T1_
		.amdhsa_group_segment_fixed_size 0
		.amdhsa_private_segment_fixed_size 0
		.amdhsa_kernarg_size 40
		.amdhsa_user_sgpr_count 6
		.amdhsa_user_sgpr_private_segment_buffer 1
		.amdhsa_user_sgpr_dispatch_ptr 0
		.amdhsa_user_sgpr_queue_ptr 0
		.amdhsa_user_sgpr_kernarg_segment_ptr 1
		.amdhsa_user_sgpr_dispatch_id 0
		.amdhsa_user_sgpr_flat_scratch_init 0
		.amdhsa_user_sgpr_private_segment_size 0
		.amdhsa_wavefront_size32 1
		.amdhsa_uses_dynamic_stack 0
		.amdhsa_system_sgpr_private_segment_wavefront_offset 0
		.amdhsa_system_sgpr_workgroup_id_x 1
		.amdhsa_system_sgpr_workgroup_id_y 0
		.amdhsa_system_sgpr_workgroup_id_z 0
		.amdhsa_system_sgpr_workgroup_info 0
		.amdhsa_system_vgpr_workitem_id 0
		.amdhsa_next_free_vgpr 27
		.amdhsa_next_free_sgpr 16
		.amdhsa_reserve_vcc 1
		.amdhsa_reserve_flat_scratch 0
		.amdhsa_float_round_mode_32 0
		.amdhsa_float_round_mode_16_64 0
		.amdhsa_float_denorm_mode_32 3
		.amdhsa_float_denorm_mode_16_64 3
		.amdhsa_dx10_clamp 1
		.amdhsa_ieee_mode 1
		.amdhsa_fp16_overflow 0
		.amdhsa_workgroup_processor_mode 1
		.amdhsa_memory_ordered 1
		.amdhsa_forward_progress 1
		.amdhsa_shared_vgpr_count 0
		.amdhsa_exception_fp_ieee_invalid_op 0
		.amdhsa_exception_fp_denorm_src 0
		.amdhsa_exception_fp_ieee_div_zero 0
		.amdhsa_exception_fp_ieee_overflow 0
		.amdhsa_exception_fp_ieee_underflow 0
		.amdhsa_exception_fp_ieee_inexact 0
		.amdhsa_exception_int_div_zero 0
	.end_amdhsa_kernel
	.section	.text._ZN2at6native29vectorized_elementwise_kernelILi4EZZZNS0_12_GLOBAL__N_139_amp_non_finite_check_and_unscale_cuda_ERNS_6TensorES4_RKS3_ENKUlvE_clEvENKUlvE1_clEvEUlN3c104HalfEE_St5arrayIPcLm2EEEEviT0_T1_,"axG",@progbits,_ZN2at6native29vectorized_elementwise_kernelILi4EZZZNS0_12_GLOBAL__N_139_amp_non_finite_check_and_unscale_cuda_ERNS_6TensorES4_RKS3_ENKUlvE_clEvENKUlvE1_clEvEUlN3c104HalfEE_St5arrayIPcLm2EEEEviT0_T1_,comdat
.Lfunc_end19:
	.size	_ZN2at6native29vectorized_elementwise_kernelILi4EZZZNS0_12_GLOBAL__N_139_amp_non_finite_check_and_unscale_cuda_ERNS_6TensorES4_RKS3_ENKUlvE_clEvENKUlvE1_clEvEUlN3c104HalfEE_St5arrayIPcLm2EEEEviT0_T1_, .Lfunc_end19-_ZN2at6native29vectorized_elementwise_kernelILi4EZZZNS0_12_GLOBAL__N_139_amp_non_finite_check_and_unscale_cuda_ERNS_6TensorES4_RKS3_ENKUlvE_clEvENKUlvE1_clEvEUlN3c104HalfEE_St5arrayIPcLm2EEEEviT0_T1_
                                        ; -- End function
	.set _ZN2at6native29vectorized_elementwise_kernelILi4EZZZNS0_12_GLOBAL__N_139_amp_non_finite_check_and_unscale_cuda_ERNS_6TensorES4_RKS3_ENKUlvE_clEvENKUlvE1_clEvEUlN3c104HalfEE_St5arrayIPcLm2EEEEviT0_T1_.num_vgpr, 27
	.set _ZN2at6native29vectorized_elementwise_kernelILi4EZZZNS0_12_GLOBAL__N_139_amp_non_finite_check_and_unscale_cuda_ERNS_6TensorES4_RKS3_ENKUlvE_clEvENKUlvE1_clEvEUlN3c104HalfEE_St5arrayIPcLm2EEEEviT0_T1_.num_agpr, 0
	.set _ZN2at6native29vectorized_elementwise_kernelILi4EZZZNS0_12_GLOBAL__N_139_amp_non_finite_check_and_unscale_cuda_ERNS_6TensorES4_RKS3_ENKUlvE_clEvENKUlvE1_clEvEUlN3c104HalfEE_St5arrayIPcLm2EEEEviT0_T1_.numbered_sgpr, 16
	.set _ZN2at6native29vectorized_elementwise_kernelILi4EZZZNS0_12_GLOBAL__N_139_amp_non_finite_check_and_unscale_cuda_ERNS_6TensorES4_RKS3_ENKUlvE_clEvENKUlvE1_clEvEUlN3c104HalfEE_St5arrayIPcLm2EEEEviT0_T1_.num_named_barrier, 0
	.set _ZN2at6native29vectorized_elementwise_kernelILi4EZZZNS0_12_GLOBAL__N_139_amp_non_finite_check_and_unscale_cuda_ERNS_6TensorES4_RKS3_ENKUlvE_clEvENKUlvE1_clEvEUlN3c104HalfEE_St5arrayIPcLm2EEEEviT0_T1_.private_seg_size, 0
	.set _ZN2at6native29vectorized_elementwise_kernelILi4EZZZNS0_12_GLOBAL__N_139_amp_non_finite_check_and_unscale_cuda_ERNS_6TensorES4_RKS3_ENKUlvE_clEvENKUlvE1_clEvEUlN3c104HalfEE_St5arrayIPcLm2EEEEviT0_T1_.uses_vcc, 1
	.set _ZN2at6native29vectorized_elementwise_kernelILi4EZZZNS0_12_GLOBAL__N_139_amp_non_finite_check_and_unscale_cuda_ERNS_6TensorES4_RKS3_ENKUlvE_clEvENKUlvE1_clEvEUlN3c104HalfEE_St5arrayIPcLm2EEEEviT0_T1_.uses_flat_scratch, 0
	.set _ZN2at6native29vectorized_elementwise_kernelILi4EZZZNS0_12_GLOBAL__N_139_amp_non_finite_check_and_unscale_cuda_ERNS_6TensorES4_RKS3_ENKUlvE_clEvENKUlvE1_clEvEUlN3c104HalfEE_St5arrayIPcLm2EEEEviT0_T1_.has_dyn_sized_stack, 0
	.set _ZN2at6native29vectorized_elementwise_kernelILi4EZZZNS0_12_GLOBAL__N_139_amp_non_finite_check_and_unscale_cuda_ERNS_6TensorES4_RKS3_ENKUlvE_clEvENKUlvE1_clEvEUlN3c104HalfEE_St5arrayIPcLm2EEEEviT0_T1_.has_recursion, 0
	.set _ZN2at6native29vectorized_elementwise_kernelILi4EZZZNS0_12_GLOBAL__N_139_amp_non_finite_check_and_unscale_cuda_ERNS_6TensorES4_RKS3_ENKUlvE_clEvENKUlvE1_clEvEUlN3c104HalfEE_St5arrayIPcLm2EEEEviT0_T1_.has_indirect_call, 0
	.section	.AMDGPU.csdata,"",@progbits
; Kernel info:
; codeLenInByte = 3108
; TotalNumSgprs: 18
; NumVgprs: 27
; ScratchSize: 0
; MemoryBound: 0
; FloatMode: 240
; IeeeMode: 1
; LDSByteSize: 0 bytes/workgroup (compile time only)
; SGPRBlocks: 0
; VGPRBlocks: 3
; NumSGPRsForWavesPerEU: 18
; NumVGPRsForWavesPerEU: 27
; Occupancy: 16
; WaveLimiterHint : 1
; COMPUTE_PGM_RSRC2:SCRATCH_EN: 0
; COMPUTE_PGM_RSRC2:USER_SGPR: 6
; COMPUTE_PGM_RSRC2:TRAP_HANDLER: 0
; COMPUTE_PGM_RSRC2:TGID_X_EN: 1
; COMPUTE_PGM_RSRC2:TGID_Y_EN: 0
; COMPUTE_PGM_RSRC2:TGID_Z_EN: 0
; COMPUTE_PGM_RSRC2:TIDIG_COMP_CNT: 0
	.section	.text._ZN2at6native29vectorized_elementwise_kernelILi2EZZZNS0_12_GLOBAL__N_139_amp_non_finite_check_and_unscale_cuda_ERNS_6TensorES4_RKS3_ENKUlvE_clEvENKUlvE1_clEvEUlN3c104HalfEE_St5arrayIPcLm2EEEEviT0_T1_,"axG",@progbits,_ZN2at6native29vectorized_elementwise_kernelILi2EZZZNS0_12_GLOBAL__N_139_amp_non_finite_check_and_unscale_cuda_ERNS_6TensorES4_RKS3_ENKUlvE_clEvENKUlvE1_clEvEUlN3c104HalfEE_St5arrayIPcLm2EEEEviT0_T1_,comdat
	.globl	_ZN2at6native29vectorized_elementwise_kernelILi2EZZZNS0_12_GLOBAL__N_139_amp_non_finite_check_and_unscale_cuda_ERNS_6TensorES4_RKS3_ENKUlvE_clEvENKUlvE1_clEvEUlN3c104HalfEE_St5arrayIPcLm2EEEEviT0_T1_ ; -- Begin function _ZN2at6native29vectorized_elementwise_kernelILi2EZZZNS0_12_GLOBAL__N_139_amp_non_finite_check_and_unscale_cuda_ERNS_6TensorES4_RKS3_ENKUlvE_clEvENKUlvE1_clEvEUlN3c104HalfEE_St5arrayIPcLm2EEEEviT0_T1_
	.p2align	8
	.type	_ZN2at6native29vectorized_elementwise_kernelILi2EZZZNS0_12_GLOBAL__N_139_amp_non_finite_check_and_unscale_cuda_ERNS_6TensorES4_RKS3_ENKUlvE_clEvENKUlvE1_clEvEUlN3c104HalfEE_St5arrayIPcLm2EEEEviT0_T1_,@function
_ZN2at6native29vectorized_elementwise_kernelILi2EZZZNS0_12_GLOBAL__N_139_amp_non_finite_check_and_unscale_cuda_ERNS_6TensorES4_RKS3_ENKUlvE_clEvENKUlvE1_clEvEUlN3c104HalfEE_St5arrayIPcLm2EEEEviT0_T1_: ; @_ZN2at6native29vectorized_elementwise_kernelILi2EZZZNS0_12_GLOBAL__N_139_amp_non_finite_check_and_unscale_cuda_ERNS_6TensorES4_RKS3_ENKUlvE_clEvENKUlvE1_clEvEUlN3c104HalfEE_St5arrayIPcLm2EEEEviT0_T1_
; %bb.0:
	s_clause 0x1
	s_load_dword s0, s[4:5], 0x0
	s_load_dwordx8 s[8:15], s[4:5], 0x8
	s_lshl_b32 s2, s6, 11
	s_waitcnt lgkmcnt(0)
	s_sub_i32 s4, s0, s2
	s_mov_b32 s0, -1
	s_cmpk_gt_i32 s4, 0x7ff
	s_cbranch_scc0 .LBB20_18
; %bb.1:
	s_ashr_i32 s3, s2, 31
	v_lshlrev_b32_e32 v1, 2, v0
	s_lshl_b64 s[0:1], s[2:3], 1
	s_add_u32 s6, s14, s0
	s_addc_u32 s7, s15, s1
	v_add_co_u32 v3, s3, s6, v1
	v_add_co_ci_u32_e64 v4, null, s7, 0, s3
	global_load_dword v2, v1, s[6:7]
	v_add_co_u32 v7, vcc_lo, 0x800, v3
	v_add_co_ci_u32_e64 v8, null, 0, v4, vcc_lo
	s_mov_b32 s3, exec_lo
	s_clause 0x2
	global_load_dword v4, v1, s[6:7] offset:1024
	global_load_dword v6, v[7:8], off
	global_load_dword v3, v[7:8], off offset:1024
	v_mov_b32_e32 v7, 0
	s_waitcnt vmcnt(3)
	v_cvt_f32_f16_e32 v5, v2
	v_cmpx_nlg_f32_e64 0x7f800000, |v5|
	s_cbranch_execz .LBB20_3
; %bb.2:
	v_mov_b32_e32 v8, 1.0
	global_store_dword v7, v8, s[8:9]
.LBB20_3:
	s_or_b32 exec_lo, exec_lo, s3
	global_load_dword v7, v7, s[10:11]
	v_lshrrev_b32_e32 v8, 16, v2
	s_mov_b32 s3, exec_lo
	v_cvt_f32_f16_e32 v10, v8
	s_waitcnt vmcnt(0)
	v_mov_b32_e32 v9, v7
	v_cmpx_nlg_f32_e64 0x7f800000, |v10|
	s_cbranch_execz .LBB20_5
; %bb.4:
	v_mov_b32_e32 v9, 0
	v_mov_b32_e32 v11, 1.0
	global_store_dword v9, v11, s[8:9]
	global_load_dword v9, v9, s[10:11]
.LBB20_5:
	s_or_b32 exec_lo, exec_lo, s3
	v_cvt_f32_f16_e32 v13, v4
	s_waitcnt vmcnt(0)
	v_mov_b32_e32 v11, v9
	s_mov_b32 s3, exec_lo
	v_cmpx_nlg_f32_e64 0x7f800000, |v13|
	s_cbranch_execz .LBB20_7
; %bb.6:
	v_mov_b32_e32 v11, 0
	v_mov_b32_e32 v12, 1.0
	global_store_dword v11, v12, s[8:9]
	global_load_dword v11, v11, s[10:11]
.LBB20_7:
	s_or_b32 exec_lo, exec_lo, s3
	v_lshrrev_b32_e32 v12, 16, v4
	s_waitcnt vmcnt(0)
	v_mov_b32_e32 v14, v11
	s_mov_b32 s3, exec_lo
	v_cvt_f32_f16_e32 v15, v12
	v_cmpx_nlg_f32_e64 0x7f800000, |v15|
	s_cbranch_execz .LBB20_9
; %bb.8:
	v_mov_b32_e32 v14, 0
	v_mov_b32_e32 v16, 1.0
	global_store_dword v14, v16, s[8:9]
	global_load_dword v14, v14, s[10:11]
.LBB20_9:
	s_or_b32 exec_lo, exec_lo, s3
	v_cvt_f32_f16_e32 v17, v6
	s_waitcnt vmcnt(0)
	v_mov_b32_e32 v16, v14
	s_mov_b32 s3, exec_lo
	v_cmpx_nlg_f32_e64 0x7f800000, |v17|
	s_cbranch_execz .LBB20_11
; %bb.10:
	v_mov_b32_e32 v16, 0
	v_mov_b32_e32 v18, 1.0
	global_store_dword v16, v18, s[8:9]
	global_load_dword v16, v16, s[10:11]
.LBB20_11:
	s_or_b32 exec_lo, exec_lo, s3
	v_lshrrev_b32_e32 v19, 16, v6
	s_waitcnt vmcnt(0)
	v_mov_b32_e32 v22, v16
	s_mov_b32 s3, exec_lo
	v_cvt_f32_f16_e32 v24, v19
	;; [unrolled: 27-line block ×3, first 2 shown]
	v_cmpx_nlg_f32_e64 0x7f800000, |v21|
	s_cbranch_execz .LBB20_17
; %bb.16:
	v_mov_b32_e32 v23, 0
	v_mov_b32_e32 v26, 1.0
	global_store_dword v23, v26, s[8:9]
	global_load_dword v23, v23, s[10:11]
.LBB20_17:
	s_or_b32 exec_lo, exec_lo, s3
	v_fma_mixlo_f16 v24, v22, v24, 0
	v_cmp_eq_f32_e32 vcc_lo, 1.0, v22
	v_fma_mixlo_f16 v17, v16, v17, 0
	v_fma_mixlo_f16 v15, v14, v15, 0
	;; [unrolled: 1-line block ×4, first 2 shown]
	v_cndmask_b32_e32 v19, v24, v19, vcc_lo
	v_cmp_eq_f32_e32 vcc_lo, 1.0, v16
	v_fma_mixlo_f16 v5, v7, v5, 0
	v_fma_mixlo_f16 v25, v18, v25, 0
	s_add_u32 s0, s12, s0
	s_addc_u32 s1, s13, s1
	v_cndmask_b32_e32 v6, v17, v6, vcc_lo
	v_cmp_eq_f32_e32 vcc_lo, 1.0, v14
	v_lshlrev_b32_e32 v16, 16, v19
	v_cndmask_b32_e32 v12, v15, v12, vcc_lo
	v_cmp_eq_f32_e32 vcc_lo, 1.0, v9
	v_or_b32_sdwa v6, v16, v6 dst_sel:DWORD dst_unused:UNUSED_PAD src0_sel:DWORD src1_sel:WORD_0
	v_lshlrev_b32_e32 v9, 16, v12
	v_cndmask_b32_e32 v8, v10, v8, vcc_lo
	v_cmp_eq_f32_e32 vcc_lo, 1.0, v11
	v_cndmask_b32_e32 v4, v13, v4, vcc_lo
	v_cmp_eq_f32_e32 vcc_lo, 1.0, v7
	v_or_b32_sdwa v4, v9, v4 dst_sel:DWORD dst_unused:UNUSED_PAD src0_sel:DWORD src1_sel:WORD_0
	v_cndmask_b32_e32 v2, v5, v2, vcc_lo
	v_cmp_eq_f32_e32 vcc_lo, 1.0, v18
	v_lshlrev_b32_e32 v5, 16, v8
	v_cndmask_b32_e32 v7, v25, v3, vcc_lo
	s_waitcnt vmcnt(0)
	v_fma_mixlo_f16 v3, v23, v21, 0
	v_cmp_eq_f32_e32 vcc_lo, 1.0, v23
	v_or_b32_sdwa v5, v5, v2 dst_sel:DWORD dst_unused:UNUSED_PAD src0_sel:DWORD src1_sel:WORD_0
	global_store_dword v1, v5, s[0:1]
	global_store_dword v1, v4, s[0:1] offset:1024
	v_cndmask_b32_e32 v2, v3, v20, vcc_lo
	v_add_co_u32 v3, s3, s0, v1
	v_add_co_ci_u32_e64 v8, null, s1, 0, s3
	v_lshlrev_b32_e32 v9, 16, v2
	v_add_co_u32 v2, vcc_lo, 0x800, v3
	v_add_co_ci_u32_e64 v3, null, 0, v8, vcc_lo
	v_or_b32_sdwa v7, v9, v7 dst_sel:DWORD dst_unused:UNUSED_PAD src0_sel:DWORD src1_sel:WORD_0
	s_mov_b32 s0, 0
	global_store_dword v[2:3], v6, off
	global_store_dword v[2:3], v7, off offset:1024
.LBB20_18:
	s_and_b32 vcc_lo, exec_lo, s0
	s_cbranch_vccz .LBB20_75
; %bb.19:
	v_cmp_gt_i32_e32 vcc_lo, s4, v0
	v_mov_b32_e32 v9, 0
	v_or_b32_e32 v1, s2, v0
	v_or_b32_e32 v3, 0x100, v0
	v_mov_b32_e32 v8, 0
	v_mov_b32_e32 v5, v0
	s_and_saveexec_b32 s1, vcc_lo
	s_cbranch_execz .LBB20_21
; %bb.20:
	v_mov_b32_e32 v2, 0
	v_lshlrev_b64 v[4:5], 1, v[1:2]
	v_add_co_u32 v4, s0, s14, v4
	v_add_co_ci_u32_e64 v5, null, s15, v5, s0
	global_load_ushort v8, v[4:5], off
	v_or_b32_e32 v5, 0x100, v0
.LBB20_21:
	s_or_b32 exec_lo, exec_lo, s1
	s_mov_b32 s1, exec_lo
	v_cmpx_gt_i32_e64 s4, v5
	s_cbranch_execz .LBB20_23
; %bb.22:
	v_add_nc_u32_e32 v6, s2, v5
	v_mov_b32_e32 v7, 0
	v_add_nc_u32_e32 v5, 0x100, v5
	v_lshlrev_b64 v[6:7], 1, v[6:7]
	v_add_co_u32 v6, s0, s14, v6
	v_add_co_ci_u32_e64 v7, null, s15, v7, s0
	global_load_ushort v9, v[6:7], off
.LBB20_23:
	s_or_b32 exec_lo, exec_lo, s1
	v_mov_b32_e32 v6, 0
	v_mov_b32_e32 v11, 0
	s_mov_b32 s1, exec_lo
	v_cmpx_gt_i32_e64 s4, v5
	s_cbranch_execz .LBB20_25
; %bb.24:
	v_add_nc_u32_e32 v10, s2, v5
	v_mov_b32_e32 v11, 0
	v_add_nc_u32_e32 v5, 0x100, v5
	v_lshlrev_b64 v[10:11], 1, v[10:11]
	v_add_co_u32 v10, s0, s14, v10
	v_add_co_ci_u32_e64 v11, null, s15, v11, s0
	global_load_ushort v11, v[10:11], off
.LBB20_25:
	s_or_b32 exec_lo, exec_lo, s1
	s_mov_b32 s1, exec_lo
	v_cmpx_gt_i32_e64 s4, v5
	s_cbranch_execz .LBB20_27
; %bb.26:
	v_add_nc_u32_e32 v6, s2, v5
	v_mov_b32_e32 v7, 0
	v_add_nc_u32_e32 v5, 0x100, v5
	v_lshlrev_b64 v[6:7], 1, v[6:7]
	v_add_co_u32 v6, s0, s14, v6
	v_add_co_ci_u32_e64 v7, null, s15, v7, s0
	global_load_ushort v6, v[6:7], off
.LBB20_27:
	s_or_b32 exec_lo, exec_lo, s1
	v_mov_b32_e32 v4, 0
	v_mov_b32_e32 v10, 0
	s_mov_b32 s1, exec_lo
	v_cmpx_gt_i32_e64 s4, v5
	s_cbranch_execz .LBB20_29
; %bb.28:
	v_add_nc_u32_e32 v12, s2, v5
	v_mov_b32_e32 v13, 0
	v_add_nc_u32_e32 v5, 0x100, v5
	v_lshlrev_b64 v[12:13], 1, v[12:13]
	v_add_co_u32 v12, s0, s14, v12
	v_add_co_ci_u32_e64 v13, null, s15, v13, s0
	global_load_ushort v10, v[12:13], off
.LBB20_29:
	s_or_b32 exec_lo, exec_lo, s1
	s_mov_b32 s1, exec_lo
	v_cmpx_gt_i32_e64 s4, v5
	s_cbranch_execz .LBB20_31
; %bb.30:
	v_add_nc_u32_e32 v12, s2, v5
	v_mov_b32_e32 v13, 0
	v_add_nc_u32_e32 v5, 0x100, v5
	v_lshlrev_b64 v[12:13], 1, v[12:13]
	v_add_co_u32 v12, s0, s14, v12
	v_add_co_ci_u32_e64 v13, null, s15, v13, s0
	global_load_ushort v4, v[12:13], off
.LBB20_31:
	s_or_b32 exec_lo, exec_lo, s1
	v_mov_b32_e32 v2, 0
	v_mov_b32_e32 v7, 0
	s_mov_b32 s1, exec_lo
	v_cmpx_gt_i32_e64 s4, v5
	s_cbranch_execz .LBB20_35
; %bb.32:
	v_add_nc_u32_e32 v12, s2, v5
	v_mov_b32_e32 v13, 0
	v_add_nc_u32_e32 v5, 0x100, v5
	v_lshlrev_b64 v[12:13], 1, v[12:13]
	v_add_co_u32 v12, s0, s14, v12
	v_add_co_ci_u32_e64 v13, null, s15, v13, s0
	global_load_ushort v7, v[12:13], off
	s_or_b32 exec_lo, exec_lo, s1
	s_mov_b32 s1, exec_lo
	v_cmpx_gt_i32_e64 s4, v5
	s_cbranch_execnz .LBB20_36
.LBB20_33:
	s_or_b32 exec_lo, exec_lo, s1
                                        ; implicit-def: $vgpr5
	s_and_saveexec_b32 s1, vcc_lo
	s_cbranch_execnz .LBB20_37
.LBB20_34:
	s_or_b32 exec_lo, exec_lo, s1
	s_mov_b32 s1, exec_lo
                                        ; implicit-def: $vgpr8
	v_cmpx_gt_i32_e64 s4, v3
	s_cbranch_execz .LBB20_43
	s_branch .LBB20_40
.LBB20_35:
	s_or_b32 exec_lo, exec_lo, s1
	s_mov_b32 s1, exec_lo
	v_cmpx_gt_i32_e64 s4, v5
	s_cbranch_execz .LBB20_33
.LBB20_36:
	v_add_nc_u32_e32 v12, s2, v5
	v_mov_b32_e32 v13, 0
	v_lshlrev_b64 v[12:13], 1, v[12:13]
	v_add_co_u32 v12, s0, s14, v12
	v_add_co_ci_u32_e64 v13, null, s15, v13, s0
	global_load_ushort v2, v[12:13], off
	s_or_b32 exec_lo, exec_lo, s1
                                        ; implicit-def: $vgpr5
	s_and_saveexec_b32 s1, vcc_lo
	s_cbranch_execz .LBB20_34
.LBB20_37:
	s_waitcnt vmcnt(0)
	v_cvt_f32_f16_e32 v5, v8
	s_mov_b32 s0, exec_lo
	v_cmpx_nlg_f32_e64 0x7f800000, |v5|
	s_cbranch_execz .LBB20_39
; %bb.38:
	v_mov_b32_e32 v12, 0
	v_mov_b32_e32 v13, 1.0
	global_store_dword v12, v13, s[8:9]
.LBB20_39:
	s_or_b32 exec_lo, exec_lo, s0
	v_mov_b32_e32 v12, 0
	global_load_dword v12, v12, s[10:11]
	s_waitcnt vmcnt(0)
	v_fma_mixlo_f16 v5, v12, v5, 0
	v_cmp_eq_f32_e64 s0, 1.0, v12
	v_cndmask_b32_e64 v5, v5, v8, s0
	s_or_b32 exec_lo, exec_lo, s1
	s_mov_b32 s1, exec_lo
                                        ; implicit-def: $vgpr8
	v_cmpx_gt_i32_e64 s4, v3
	s_cbranch_execz .LBB20_43
.LBB20_40:
	s_waitcnt vmcnt(0)
	v_cvt_f32_f16_e32 v8, v9
	s_mov_b32 s0, exec_lo
	v_cmpx_nlg_f32_e64 0x7f800000, |v8|
	s_cbranch_execz .LBB20_42
; %bb.41:
	v_mov_b32_e32 v12, 0
	v_mov_b32_e32 v13, 1.0
	global_store_dword v12, v13, s[8:9]
.LBB20_42:
	s_or_b32 exec_lo, exec_lo, s0
	v_mov_b32_e32 v12, 0
	global_load_dword v12, v12, s[10:11]
	s_waitcnt vmcnt(0)
	v_fma_mixlo_f16 v8, v12, v8, 0
	v_cmp_eq_f32_e64 s0, 1.0, v12
	v_cndmask_b32_e64 v8, v8, v9, s0
.LBB20_43:
	s_or_b32 exec_lo, exec_lo, s1
	s_waitcnt vmcnt(0)
	v_or_b32_e32 v9, 0x200, v0
	v_cmp_gt_i32_e64 s0, s4, v9
                                        ; implicit-def: $vgpr9
	s_and_saveexec_b32 s1, s0
	s_cbranch_execz .LBB20_47
; %bb.44:
	v_cvt_f32_f16_e32 v9, v11
	s_mov_b32 s0, exec_lo
	v_cmpx_nlg_f32_e64 0x7f800000, |v9|
	s_cbranch_execz .LBB20_46
; %bb.45:
	v_mov_b32_e32 v12, 0
	v_mov_b32_e32 v13, 1.0
	global_store_dword v12, v13, s[8:9]
.LBB20_46:
	s_or_b32 exec_lo, exec_lo, s0
	v_mov_b32_e32 v12, 0
	global_load_dword v12, v12, s[10:11]
	s_waitcnt vmcnt(0)
	v_fma_mixlo_f16 v9, v12, v9, 0
	v_cmp_eq_f32_e64 s0, 1.0, v12
	v_cndmask_b32_e64 v9, v9, v11, s0
.LBB20_47:
	s_or_b32 exec_lo, exec_lo, s1
	v_or_b32_e32 v11, 0x300, v0
	v_cmp_gt_i32_e64 s0, s4, v11
                                        ; implicit-def: $vgpr11
	s_and_saveexec_b32 s1, s0
	s_cbranch_execz .LBB20_51
; %bb.48:
	v_cvt_f32_f16_e32 v11, v6
	s_mov_b32 s0, exec_lo
	v_cmpx_nlg_f32_e64 0x7f800000, |v11|
	s_cbranch_execz .LBB20_50
; %bb.49:
	v_mov_b32_e32 v12, 0
	v_mov_b32_e32 v13, 1.0
	global_store_dword v12, v13, s[8:9]
.LBB20_50:
	s_or_b32 exec_lo, exec_lo, s0
	v_mov_b32_e32 v12, 0
	global_load_dword v12, v12, s[10:11]
	s_waitcnt vmcnt(0)
	v_fma_mixlo_f16 v11, v12, v11, 0
	v_cmp_eq_f32_e64 s0, 1.0, v12
	v_cndmask_b32_e64 v11, v11, v6, s0
.LBB20_51:
	s_or_b32 exec_lo, exec_lo, s1
	v_or_b32_e32 v6, 0x400, v0
	v_cmp_gt_i32_e64 s0, s4, v6
                                        ; implicit-def: $vgpr6
	s_and_saveexec_b32 s1, s0
	s_cbranch_execz .LBB20_55
; %bb.52:
	v_cvt_f32_f16_e32 v6, v10
	s_mov_b32 s0, exec_lo
	v_cmpx_nlg_f32_e64 0x7f800000, |v6|
	s_cbranch_execz .LBB20_54
; %bb.53:
	v_mov_b32_e32 v12, 0
	v_mov_b32_e32 v13, 1.0
	global_store_dword v12, v13, s[8:9]
.LBB20_54:
	s_or_b32 exec_lo, exec_lo, s0
	v_mov_b32_e32 v12, 0
	global_load_dword v12, v12, s[10:11]
	s_waitcnt vmcnt(0)
	v_fma_mixlo_f16 v6, v12, v6, 0
	v_cmp_eq_f32_e64 s0, 1.0, v12
	v_cndmask_b32_e64 v6, v6, v10, s0
.LBB20_55:
	s_or_b32 exec_lo, exec_lo, s1
	v_or_b32_e32 v10, 0x500, v0
	v_cmp_gt_i32_e64 s0, s4, v10
                                        ; implicit-def: $vgpr10
	s_and_saveexec_b32 s1, s0
	s_cbranch_execz .LBB20_59
; %bb.56:
	v_cvt_f32_f16_e32 v10, v4
	s_mov_b32 s0, exec_lo
	v_cmpx_nlg_f32_e64 0x7f800000, |v10|
	s_cbranch_execz .LBB20_58
; %bb.57:
	v_mov_b32_e32 v12, 0
	v_mov_b32_e32 v13, 1.0
	global_store_dword v12, v13, s[8:9]
.LBB20_58:
	s_or_b32 exec_lo, exec_lo, s0
	v_mov_b32_e32 v12, 0
	global_load_dword v12, v12, s[10:11]
	s_waitcnt vmcnt(0)
	v_fma_mixlo_f16 v10, v12, v10, 0
	v_cmp_eq_f32_e64 s0, 1.0, v12
	v_cndmask_b32_e64 v10, v10, v4, s0
.LBB20_59:
	s_or_b32 exec_lo, exec_lo, s1
	v_or_b32_e32 v4, 0x600, v0
	v_cmp_gt_i32_e64 s0, s4, v4
                                        ; implicit-def: $vgpr4
	s_and_saveexec_b32 s1, s0
	s_cbranch_execz .LBB20_63
; %bb.60:
	v_cvt_f32_f16_e32 v4, v7
	s_mov_b32 s0, exec_lo
	v_cmpx_nlg_f32_e64 0x7f800000, |v4|
	s_cbranch_execz .LBB20_62
; %bb.61:
	v_mov_b32_e32 v12, 0
	v_mov_b32_e32 v13, 1.0
	global_store_dword v12, v13, s[8:9]
.LBB20_62:
	s_or_b32 exec_lo, exec_lo, s0
	v_mov_b32_e32 v12, 0
	global_load_dword v12, v12, s[10:11]
	s_waitcnt vmcnt(0)
	v_fma_mixlo_f16 v4, v12, v4, 0
	v_cmp_eq_f32_e64 s0, 1.0, v12
	v_cndmask_b32_e64 v4, v4, v7, s0
.LBB20_63:
	s_or_b32 exec_lo, exec_lo, s1
	v_or_b32_e32 v7, 0x700, v0
	v_cmp_gt_i32_e64 s0, s4, v7
                                        ; implicit-def: $vgpr7
	s_and_saveexec_b32 s1, s0
	s_cbranch_execz .LBB20_76
; %bb.64:
	v_cvt_f32_f16_e32 v7, v2
	s_mov_b32 s0, exec_lo
	v_cmpx_nlg_f32_e64 0x7f800000, |v7|
	s_cbranch_execz .LBB20_66
; %bb.65:
	v_mov_b32_e32 v12, 0
	v_mov_b32_e32 v13, 1.0
	global_store_dword v12, v13, s[8:9]
.LBB20_66:
	s_or_b32 exec_lo, exec_lo, s0
	v_mov_b32_e32 v12, 0
	global_load_dword v12, v12, s[10:11]
	s_waitcnt vmcnt(0)
	v_fma_mixlo_f16 v7, v12, v7, 0
	v_cmp_eq_f32_e64 s0, 1.0, v12
	v_cndmask_b32_e64 v7, v7, v2, s0
	s_or_b32 exec_lo, exec_lo, s1
	s_and_saveexec_b32 s0, vcc_lo
	s_xor_b32 s0, exec_lo, s0
	s_cbranch_execnz .LBB20_77
.LBB20_67:
	s_or_b32 exec_lo, exec_lo, s0
	s_mov_b32 s0, exec_lo
	v_cmpx_gt_i32_e64 s4, v0
	s_cbranch_execz .LBB20_78
.LBB20_68:
	v_add_nc_u32_e32 v1, s2, v0
	v_mov_b32_e32 v2, 0
	v_add_nc_u32_e32 v0, 0x100, v0
	v_lshlrev_b64 v[1:2], 1, v[1:2]
	v_add_co_u32 v1, vcc_lo, s12, v1
	v_add_co_ci_u32_e64 v2, null, s13, v2, vcc_lo
	global_store_short v[1:2], v8, off
	s_or_b32 exec_lo, exec_lo, s0
	s_mov_b32 s0, exec_lo
	v_cmpx_gt_i32_e64 s4, v0
	s_cbranch_execnz .LBB20_79
.LBB20_69:
	s_or_b32 exec_lo, exec_lo, s0
	s_mov_b32 s0, exec_lo
	v_cmpx_gt_i32_e64 s4, v0
	s_cbranch_execz .LBB20_80
.LBB20_70:
	v_add_nc_u32_e32 v1, s2, v0
	v_mov_b32_e32 v2, 0
	v_add_nc_u32_e32 v0, 0x100, v0
	v_lshlrev_b64 v[1:2], 1, v[1:2]
	v_add_co_u32 v1, vcc_lo, s12, v1
	v_add_co_ci_u32_e64 v2, null, s13, v2, vcc_lo
	global_store_short v[1:2], v11, off
	s_or_b32 exec_lo, exec_lo, s0
	s_mov_b32 s0, exec_lo
	v_cmpx_gt_i32_e64 s4, v0
	s_cbranch_execnz .LBB20_81
.LBB20_71:
	s_or_b32 exec_lo, exec_lo, s0
	s_mov_b32 s0, exec_lo
	v_cmpx_gt_i32_e64 s4, v0
	s_cbranch_execz .LBB20_82
.LBB20_72:
	v_add_nc_u32_e32 v1, s2, v0
	v_mov_b32_e32 v2, 0
	v_add_nc_u32_e32 v0, 0x100, v0
	v_lshlrev_b64 v[1:2], 1, v[1:2]
	v_add_co_u32 v1, vcc_lo, s12, v1
	v_add_co_ci_u32_e64 v2, null, s13, v2, vcc_lo
	global_store_short v[1:2], v10, off
	s_or_b32 exec_lo, exec_lo, s0
	s_mov_b32 s0, exec_lo
	v_cmpx_gt_i32_e64 s4, v0
	s_cbranch_execnz .LBB20_83
.LBB20_73:
	s_or_b32 exec_lo, exec_lo, s0
	s_mov_b32 s0, exec_lo
	v_cmpx_gt_i32_e64 s4, v0
	s_cbranch_execz .LBB20_75
.LBB20_74:
	v_add_nc_u32_e32 v0, s2, v0
	v_mov_b32_e32 v1, 0
	v_lshlrev_b64 v[0:1], 1, v[0:1]
	v_add_co_u32 v0, vcc_lo, s12, v0
	v_add_co_ci_u32_e64 v1, null, s13, v1, vcc_lo
	global_store_short v[0:1], v7, off
.LBB20_75:
	s_endpgm
.LBB20_76:
	s_or_b32 exec_lo, exec_lo, s1
	s_and_saveexec_b32 s0, vcc_lo
	s_xor_b32 s0, exec_lo, s0
	s_cbranch_execz .LBB20_67
.LBB20_77:
	v_mov_b32_e32 v2, 0
	v_lshlrev_b64 v[0:1], 1, v[1:2]
	v_add_co_u32 v12, vcc_lo, s12, v0
	v_add_co_ci_u32_e64 v13, null, s13, v1, vcc_lo
	v_mov_b32_e32 v0, v3
	global_store_short v[12:13], v5, off
	s_or_b32 exec_lo, exec_lo, s0
	s_mov_b32 s0, exec_lo
	v_cmpx_gt_i32_e64 s4, v0
	s_cbranch_execnz .LBB20_68
.LBB20_78:
	s_or_b32 exec_lo, exec_lo, s0
	s_mov_b32 s0, exec_lo
	v_cmpx_gt_i32_e64 s4, v0
	s_cbranch_execz .LBB20_69
.LBB20_79:
	v_add_nc_u32_e32 v1, s2, v0
	v_mov_b32_e32 v2, 0
	v_add_nc_u32_e32 v0, 0x100, v0
	v_lshlrev_b64 v[1:2], 1, v[1:2]
	v_add_co_u32 v1, vcc_lo, s12, v1
	v_add_co_ci_u32_e64 v2, null, s13, v2, vcc_lo
	global_store_short v[1:2], v9, off
	s_or_b32 exec_lo, exec_lo, s0
	s_mov_b32 s0, exec_lo
	v_cmpx_gt_i32_e64 s4, v0
	s_cbranch_execnz .LBB20_70
.LBB20_80:
	s_or_b32 exec_lo, exec_lo, s0
	s_mov_b32 s0, exec_lo
	v_cmpx_gt_i32_e64 s4, v0
	s_cbranch_execz .LBB20_71
.LBB20_81:
	v_add_nc_u32_e32 v1, s2, v0
	v_mov_b32_e32 v2, 0
	v_add_nc_u32_e32 v0, 0x100, v0
	v_lshlrev_b64 v[1:2], 1, v[1:2]
	v_add_co_u32 v1, vcc_lo, s12, v1
	v_add_co_ci_u32_e64 v2, null, s13, v2, vcc_lo
	global_store_short v[1:2], v6, off
	s_or_b32 exec_lo, exec_lo, s0
	s_mov_b32 s0, exec_lo
	v_cmpx_gt_i32_e64 s4, v0
	s_cbranch_execnz .LBB20_72
.LBB20_82:
	s_or_b32 exec_lo, exec_lo, s0
	s_mov_b32 s0, exec_lo
	v_cmpx_gt_i32_e64 s4, v0
	s_cbranch_execz .LBB20_73
.LBB20_83:
	v_add_nc_u32_e32 v1, s2, v0
	v_mov_b32_e32 v2, 0
	v_add_nc_u32_e32 v0, 0x100, v0
	v_lshlrev_b64 v[1:2], 1, v[1:2]
	v_add_co_u32 v1, vcc_lo, s12, v1
	v_add_co_ci_u32_e64 v2, null, s13, v2, vcc_lo
	global_store_short v[1:2], v4, off
	s_or_b32 exec_lo, exec_lo, s0
	s_mov_b32 s0, exec_lo
	v_cmpx_gt_i32_e64 s4, v0
	s_cbranch_execnz .LBB20_74
	s_branch .LBB20_75
	.section	.rodata,"a",@progbits
	.p2align	6, 0x0
	.amdhsa_kernel _ZN2at6native29vectorized_elementwise_kernelILi2EZZZNS0_12_GLOBAL__N_139_amp_non_finite_check_and_unscale_cuda_ERNS_6TensorES4_RKS3_ENKUlvE_clEvENKUlvE1_clEvEUlN3c104HalfEE_St5arrayIPcLm2EEEEviT0_T1_
		.amdhsa_group_segment_fixed_size 0
		.amdhsa_private_segment_fixed_size 0
		.amdhsa_kernarg_size 40
		.amdhsa_user_sgpr_count 6
		.amdhsa_user_sgpr_private_segment_buffer 1
		.amdhsa_user_sgpr_dispatch_ptr 0
		.amdhsa_user_sgpr_queue_ptr 0
		.amdhsa_user_sgpr_kernarg_segment_ptr 1
		.amdhsa_user_sgpr_dispatch_id 0
		.amdhsa_user_sgpr_flat_scratch_init 0
		.amdhsa_user_sgpr_private_segment_size 0
		.amdhsa_wavefront_size32 1
		.amdhsa_uses_dynamic_stack 0
		.amdhsa_system_sgpr_private_segment_wavefront_offset 0
		.amdhsa_system_sgpr_workgroup_id_x 1
		.amdhsa_system_sgpr_workgroup_id_y 0
		.amdhsa_system_sgpr_workgroup_id_z 0
		.amdhsa_system_sgpr_workgroup_info 0
		.amdhsa_system_vgpr_workitem_id 0
		.amdhsa_next_free_vgpr 27
		.amdhsa_next_free_sgpr 16
		.amdhsa_reserve_vcc 1
		.amdhsa_reserve_flat_scratch 0
		.amdhsa_float_round_mode_32 0
		.amdhsa_float_round_mode_16_64 0
		.amdhsa_float_denorm_mode_32 3
		.amdhsa_float_denorm_mode_16_64 3
		.amdhsa_dx10_clamp 1
		.amdhsa_ieee_mode 1
		.amdhsa_fp16_overflow 0
		.amdhsa_workgroup_processor_mode 1
		.amdhsa_memory_ordered 1
		.amdhsa_forward_progress 1
		.amdhsa_shared_vgpr_count 0
		.amdhsa_exception_fp_ieee_invalid_op 0
		.amdhsa_exception_fp_denorm_src 0
		.amdhsa_exception_fp_ieee_div_zero 0
		.amdhsa_exception_fp_ieee_overflow 0
		.amdhsa_exception_fp_ieee_underflow 0
		.amdhsa_exception_fp_ieee_inexact 0
		.amdhsa_exception_int_div_zero 0
	.end_amdhsa_kernel
	.section	.text._ZN2at6native29vectorized_elementwise_kernelILi2EZZZNS0_12_GLOBAL__N_139_amp_non_finite_check_and_unscale_cuda_ERNS_6TensorES4_RKS3_ENKUlvE_clEvENKUlvE1_clEvEUlN3c104HalfEE_St5arrayIPcLm2EEEEviT0_T1_,"axG",@progbits,_ZN2at6native29vectorized_elementwise_kernelILi2EZZZNS0_12_GLOBAL__N_139_amp_non_finite_check_and_unscale_cuda_ERNS_6TensorES4_RKS3_ENKUlvE_clEvENKUlvE1_clEvEUlN3c104HalfEE_St5arrayIPcLm2EEEEviT0_T1_,comdat
.Lfunc_end20:
	.size	_ZN2at6native29vectorized_elementwise_kernelILi2EZZZNS0_12_GLOBAL__N_139_amp_non_finite_check_and_unscale_cuda_ERNS_6TensorES4_RKS3_ENKUlvE_clEvENKUlvE1_clEvEUlN3c104HalfEE_St5arrayIPcLm2EEEEviT0_T1_, .Lfunc_end20-_ZN2at6native29vectorized_elementwise_kernelILi2EZZZNS0_12_GLOBAL__N_139_amp_non_finite_check_and_unscale_cuda_ERNS_6TensorES4_RKS3_ENKUlvE_clEvENKUlvE1_clEvEUlN3c104HalfEE_St5arrayIPcLm2EEEEviT0_T1_
                                        ; -- End function
	.set _ZN2at6native29vectorized_elementwise_kernelILi2EZZZNS0_12_GLOBAL__N_139_amp_non_finite_check_and_unscale_cuda_ERNS_6TensorES4_RKS3_ENKUlvE_clEvENKUlvE1_clEvEUlN3c104HalfEE_St5arrayIPcLm2EEEEviT0_T1_.num_vgpr, 27
	.set _ZN2at6native29vectorized_elementwise_kernelILi2EZZZNS0_12_GLOBAL__N_139_amp_non_finite_check_and_unscale_cuda_ERNS_6TensorES4_RKS3_ENKUlvE_clEvENKUlvE1_clEvEUlN3c104HalfEE_St5arrayIPcLm2EEEEviT0_T1_.num_agpr, 0
	.set _ZN2at6native29vectorized_elementwise_kernelILi2EZZZNS0_12_GLOBAL__N_139_amp_non_finite_check_and_unscale_cuda_ERNS_6TensorES4_RKS3_ENKUlvE_clEvENKUlvE1_clEvEUlN3c104HalfEE_St5arrayIPcLm2EEEEviT0_T1_.numbered_sgpr, 16
	.set _ZN2at6native29vectorized_elementwise_kernelILi2EZZZNS0_12_GLOBAL__N_139_amp_non_finite_check_and_unscale_cuda_ERNS_6TensorES4_RKS3_ENKUlvE_clEvENKUlvE1_clEvEUlN3c104HalfEE_St5arrayIPcLm2EEEEviT0_T1_.num_named_barrier, 0
	.set _ZN2at6native29vectorized_elementwise_kernelILi2EZZZNS0_12_GLOBAL__N_139_amp_non_finite_check_and_unscale_cuda_ERNS_6TensorES4_RKS3_ENKUlvE_clEvENKUlvE1_clEvEUlN3c104HalfEE_St5arrayIPcLm2EEEEviT0_T1_.private_seg_size, 0
	.set _ZN2at6native29vectorized_elementwise_kernelILi2EZZZNS0_12_GLOBAL__N_139_amp_non_finite_check_and_unscale_cuda_ERNS_6TensorES4_RKS3_ENKUlvE_clEvENKUlvE1_clEvEUlN3c104HalfEE_St5arrayIPcLm2EEEEviT0_T1_.uses_vcc, 1
	.set _ZN2at6native29vectorized_elementwise_kernelILi2EZZZNS0_12_GLOBAL__N_139_amp_non_finite_check_and_unscale_cuda_ERNS_6TensorES4_RKS3_ENKUlvE_clEvENKUlvE1_clEvEUlN3c104HalfEE_St5arrayIPcLm2EEEEviT0_T1_.uses_flat_scratch, 0
	.set _ZN2at6native29vectorized_elementwise_kernelILi2EZZZNS0_12_GLOBAL__N_139_amp_non_finite_check_and_unscale_cuda_ERNS_6TensorES4_RKS3_ENKUlvE_clEvENKUlvE1_clEvEUlN3c104HalfEE_St5arrayIPcLm2EEEEviT0_T1_.has_dyn_sized_stack, 0
	.set _ZN2at6native29vectorized_elementwise_kernelILi2EZZZNS0_12_GLOBAL__N_139_amp_non_finite_check_and_unscale_cuda_ERNS_6TensorES4_RKS3_ENKUlvE_clEvENKUlvE1_clEvEUlN3c104HalfEE_St5arrayIPcLm2EEEEviT0_T1_.has_recursion, 0
	.set _ZN2at6native29vectorized_elementwise_kernelILi2EZZZNS0_12_GLOBAL__N_139_amp_non_finite_check_and_unscale_cuda_ERNS_6TensorES4_RKS3_ENKUlvE_clEvENKUlvE1_clEvEUlN3c104HalfEE_St5arrayIPcLm2EEEEviT0_T1_.has_indirect_call, 0
	.section	.AMDGPU.csdata,"",@progbits
; Kernel info:
; codeLenInByte = 3096
; TotalNumSgprs: 18
; NumVgprs: 27
; ScratchSize: 0
; MemoryBound: 0
; FloatMode: 240
; IeeeMode: 1
; LDSByteSize: 0 bytes/workgroup (compile time only)
; SGPRBlocks: 0
; VGPRBlocks: 3
; NumSGPRsForWavesPerEU: 18
; NumVGPRsForWavesPerEU: 27
; Occupancy: 16
; WaveLimiterHint : 1
; COMPUTE_PGM_RSRC2:SCRATCH_EN: 0
; COMPUTE_PGM_RSRC2:USER_SGPR: 6
; COMPUTE_PGM_RSRC2:TRAP_HANDLER: 0
; COMPUTE_PGM_RSRC2:TGID_X_EN: 1
; COMPUTE_PGM_RSRC2:TGID_Y_EN: 0
; COMPUTE_PGM_RSRC2:TGID_Z_EN: 0
; COMPUTE_PGM_RSRC2:TIDIG_COMP_CNT: 0
	.section	.text._ZN2at6native27unrolled_elementwise_kernelIZZZNS0_12_GLOBAL__N_139_amp_non_finite_check_and_unscale_cuda_ERNS_6TensorES4_RKS3_ENKUlvE_clEvENKUlvE1_clEvEUlN3c104HalfEE_St5arrayIPcLm2EELi4E23TrivialOffsetCalculatorILi1EjESG_NS0_6memory15LoadWithoutCastENSH_16StoreWithoutCastEEEviT_T0_T2_T3_T4_T5_,"axG",@progbits,_ZN2at6native27unrolled_elementwise_kernelIZZZNS0_12_GLOBAL__N_139_amp_non_finite_check_and_unscale_cuda_ERNS_6TensorES4_RKS3_ENKUlvE_clEvENKUlvE1_clEvEUlN3c104HalfEE_St5arrayIPcLm2EELi4E23TrivialOffsetCalculatorILi1EjESG_NS0_6memory15LoadWithoutCastENSH_16StoreWithoutCastEEEviT_T0_T2_T3_T4_T5_,comdat
	.globl	_ZN2at6native27unrolled_elementwise_kernelIZZZNS0_12_GLOBAL__N_139_amp_non_finite_check_and_unscale_cuda_ERNS_6TensorES4_RKS3_ENKUlvE_clEvENKUlvE1_clEvEUlN3c104HalfEE_St5arrayIPcLm2EELi4E23TrivialOffsetCalculatorILi1EjESG_NS0_6memory15LoadWithoutCastENSH_16StoreWithoutCastEEEviT_T0_T2_T3_T4_T5_ ; -- Begin function _ZN2at6native27unrolled_elementwise_kernelIZZZNS0_12_GLOBAL__N_139_amp_non_finite_check_and_unscale_cuda_ERNS_6TensorES4_RKS3_ENKUlvE_clEvENKUlvE1_clEvEUlN3c104HalfEE_St5arrayIPcLm2EELi4E23TrivialOffsetCalculatorILi1EjESG_NS0_6memory15LoadWithoutCastENSH_16StoreWithoutCastEEEviT_T0_T2_T3_T4_T5_
	.p2align	8
	.type	_ZN2at6native27unrolled_elementwise_kernelIZZZNS0_12_GLOBAL__N_139_amp_non_finite_check_and_unscale_cuda_ERNS_6TensorES4_RKS3_ENKUlvE_clEvENKUlvE1_clEvEUlN3c104HalfEE_St5arrayIPcLm2EELi4E23TrivialOffsetCalculatorILi1EjESG_NS0_6memory15LoadWithoutCastENSH_16StoreWithoutCastEEEviT_T0_T2_T3_T4_T5_,@function
_ZN2at6native27unrolled_elementwise_kernelIZZZNS0_12_GLOBAL__N_139_amp_non_finite_check_and_unscale_cuda_ERNS_6TensorES4_RKS3_ENKUlvE_clEvENKUlvE1_clEvEUlN3c104HalfEE_St5arrayIPcLm2EELi4E23TrivialOffsetCalculatorILi1EjESG_NS0_6memory15LoadWithoutCastENSH_16StoreWithoutCastEEEviT_T0_T2_T3_T4_T5_: ; @_ZN2at6native27unrolled_elementwise_kernelIZZZNS0_12_GLOBAL__N_139_amp_non_finite_check_and_unscale_cuda_ERNS_6TensorES4_RKS3_ENKUlvE_clEvENKUlvE1_clEvEUlN3c104HalfEE_St5arrayIPcLm2EELi4E23TrivialOffsetCalculatorILi1EjESG_NS0_6memory15LoadWithoutCastENSH_16StoreWithoutCastEEEviT_T0_T2_T3_T4_T5_
; %bb.0:
	s_clause 0x1
	s_load_dword s0, s[4:5], 0x0
	s_load_dwordx8 s[8:15], s[4:5], 0x8
	s_lshl_b32 s1, s6, 10
	v_mov_b32_e32 v4, 0
	v_mov_b32_e32 v7, 0
	v_or_b32_e32 v1, s1, v0
	v_or_b32_e32 v3, 0x100, v0
	v_mov_b32_e32 v5, v0
	s_waitcnt lgkmcnt(0)
	s_sub_i32 s2, s0, s1
	v_cmp_gt_i32_e32 vcc_lo, s2, v0
	s_and_saveexec_b32 s3, vcc_lo
	s_cbranch_execz .LBB21_2
; %bb.1:
	v_mov_b32_e32 v2, 0
	v_lshlrev_b64 v[5:6], 1, v[1:2]
	v_add_co_u32 v5, s0, s14, v5
	v_add_co_ci_u32_e64 v6, null, s15, v6, s0
	global_load_ushort v7, v[5:6], off
	v_or_b32_e32 v5, 0x100, v0
.LBB21_2:
	s_or_b32 exec_lo, exec_lo, s3
	s_mov_b32 s3, exec_lo
	v_cmpx_gt_i32_e64 s2, v5
	s_cbranch_execz .LBB21_4
; %bb.3:
	v_add_nc_u32_e32 v8, s1, v5
	v_mov_b32_e32 v9, 0
	v_add_nc_u32_e32 v5, 0x100, v5
	v_lshlrev_b64 v[8:9], 1, v[8:9]
	v_add_co_u32 v8, s0, s14, v8
	v_add_co_ci_u32_e64 v9, null, s15, v9, s0
	global_load_ushort v4, v[8:9], off
.LBB21_4:
	s_or_b32 exec_lo, exec_lo, s3
	v_mov_b32_e32 v2, 0
	v_mov_b32_e32 v6, 0
	s_mov_b32 s3, exec_lo
	v_cmpx_gt_i32_e64 s2, v5
	s_cbranch_execz .LBB21_8
; %bb.5:
	v_add_nc_u32_e32 v8, s1, v5
	v_mov_b32_e32 v9, 0
	v_add_nc_u32_e32 v5, 0x100, v5
	v_lshlrev_b64 v[8:9], 1, v[8:9]
	v_add_co_u32 v8, s0, s14, v8
	v_add_co_ci_u32_e64 v9, null, s15, v9, s0
	global_load_ushort v6, v[8:9], off
	s_or_b32 exec_lo, exec_lo, s3
	s_mov_b32 s3, exec_lo
	v_cmpx_gt_i32_e64 s2, v5
	s_cbranch_execnz .LBB21_9
.LBB21_6:
	s_or_b32 exec_lo, exec_lo, s3
                                        ; implicit-def: $vgpr5
	s_and_saveexec_b32 s3, vcc_lo
	s_cbranch_execnz .LBB21_10
.LBB21_7:
	s_or_b32 exec_lo, exec_lo, s3
	s_mov_b32 s3, exec_lo
                                        ; implicit-def: $vgpr7
	v_cmpx_gt_i32_e64 s2, v3
	s_cbranch_execz .LBB21_16
	s_branch .LBB21_13
.LBB21_8:
	s_or_b32 exec_lo, exec_lo, s3
	s_mov_b32 s3, exec_lo
	v_cmpx_gt_i32_e64 s2, v5
	s_cbranch_execz .LBB21_6
.LBB21_9:
	v_add_nc_u32_e32 v8, s1, v5
	v_mov_b32_e32 v9, 0
	v_lshlrev_b64 v[8:9], 1, v[8:9]
	v_add_co_u32 v8, s0, s14, v8
	v_add_co_ci_u32_e64 v9, null, s15, v9, s0
	global_load_ushort v2, v[8:9], off
	s_or_b32 exec_lo, exec_lo, s3
                                        ; implicit-def: $vgpr5
	s_and_saveexec_b32 s3, vcc_lo
	s_cbranch_execz .LBB21_7
.LBB21_10:
	s_waitcnt vmcnt(0)
	v_cvt_f32_f16_e32 v5, v7
	s_mov_b32 s0, exec_lo
	v_cmpx_nlg_f32_e64 0x7f800000, |v5|
	s_cbranch_execz .LBB21_12
; %bb.11:
	v_mov_b32_e32 v8, 0
	v_mov_b32_e32 v9, 1.0
	global_store_dword v8, v9, s[8:9]
.LBB21_12:
	s_or_b32 exec_lo, exec_lo, s0
	v_mov_b32_e32 v8, 0
	global_load_dword v8, v8, s[10:11]
	s_waitcnt vmcnt(0)
	v_fma_mixlo_f16 v5, v8, v5, 0
	v_cmp_eq_f32_e64 s0, 1.0, v8
	v_cndmask_b32_e64 v5, v5, v7, s0
	s_or_b32 exec_lo, exec_lo, s3
	s_mov_b32 s3, exec_lo
                                        ; implicit-def: $vgpr7
	v_cmpx_gt_i32_e64 s2, v3
	s_cbranch_execz .LBB21_16
.LBB21_13:
	s_waitcnt vmcnt(0)
	v_cvt_f32_f16_e32 v7, v4
	s_mov_b32 s0, exec_lo
	v_cmpx_nlg_f32_e64 0x7f800000, |v7|
	s_cbranch_execz .LBB21_15
; %bb.14:
	v_mov_b32_e32 v8, 0
	v_mov_b32_e32 v9, 1.0
	global_store_dword v8, v9, s[8:9]
.LBB21_15:
	s_or_b32 exec_lo, exec_lo, s0
	v_mov_b32_e32 v8, 0
	global_load_dword v8, v8, s[10:11]
	s_waitcnt vmcnt(0)
	v_fma_mixlo_f16 v7, v8, v7, 0
	v_cmp_eq_f32_e64 s0, 1.0, v8
	v_cndmask_b32_e64 v7, v7, v4, s0
.LBB21_16:
	s_or_b32 exec_lo, exec_lo, s3
	s_waitcnt vmcnt(0)
	v_or_b32_e32 v4, 0x200, v0
	v_cmp_gt_i32_e64 s0, s2, v4
                                        ; implicit-def: $vgpr4
	s_and_saveexec_b32 s3, s0
	s_cbranch_execz .LBB21_20
; %bb.17:
	v_cvt_f32_f16_e32 v4, v6
	s_mov_b32 s0, exec_lo
	v_cmpx_nlg_f32_e64 0x7f800000, |v4|
	s_cbranch_execz .LBB21_19
; %bb.18:
	v_mov_b32_e32 v8, 0
	v_mov_b32_e32 v9, 1.0
	global_store_dword v8, v9, s[8:9]
.LBB21_19:
	s_or_b32 exec_lo, exec_lo, s0
	v_mov_b32_e32 v8, 0
	global_load_dword v8, v8, s[10:11]
	s_waitcnt vmcnt(0)
	v_fma_mixlo_f16 v4, v8, v4, 0
	v_cmp_eq_f32_e64 s0, 1.0, v8
	v_cndmask_b32_e64 v4, v4, v6, s0
.LBB21_20:
	s_or_b32 exec_lo, exec_lo, s3
	v_or_b32_e32 v6, 0x300, v0
	v_cmp_gt_i32_e64 s0, s2, v6
                                        ; implicit-def: $vgpr6
	s_and_saveexec_b32 s3, s0
	s_cbranch_execz .LBB21_28
; %bb.21:
	v_cvt_f32_f16_e32 v6, v2
	s_mov_b32 s0, exec_lo
	v_cmpx_nlg_f32_e64 0x7f800000, |v6|
	s_cbranch_execz .LBB21_23
; %bb.22:
	v_mov_b32_e32 v8, 0
	v_mov_b32_e32 v9, 1.0
	global_store_dword v8, v9, s[8:9]
.LBB21_23:
	s_or_b32 exec_lo, exec_lo, s0
	v_mov_b32_e32 v8, 0
	global_load_dword v8, v8, s[10:11]
	s_waitcnt vmcnt(0)
	v_fma_mixlo_f16 v6, v8, v6, 0
	v_cmp_eq_f32_e64 s0, 1.0, v8
	v_cndmask_b32_e64 v6, v6, v2, s0
	s_or_b32 exec_lo, exec_lo, s3
	s_and_saveexec_b32 s0, vcc_lo
	s_xor_b32 s0, exec_lo, s0
	s_cbranch_execnz .LBB21_29
.LBB21_24:
	s_or_b32 exec_lo, exec_lo, s0
	s_mov_b32 s0, exec_lo
	v_cmpx_gt_i32_e64 s2, v0
	s_cbranch_execz .LBB21_30
.LBB21_25:
	v_add_nc_u32_e32 v1, s1, v0
	v_mov_b32_e32 v2, 0
	v_add_nc_u32_e32 v0, 0x100, v0
	v_lshlrev_b64 v[1:2], 1, v[1:2]
	v_add_co_u32 v1, vcc_lo, s12, v1
	v_add_co_ci_u32_e64 v2, null, s13, v2, vcc_lo
	global_store_short v[1:2], v7, off
	s_or_b32 exec_lo, exec_lo, s0
	s_mov_b32 s0, exec_lo
	v_cmpx_gt_i32_e64 s2, v0
	s_cbranch_execnz .LBB21_31
.LBB21_26:
	s_or_b32 exec_lo, exec_lo, s0
	s_mov_b32 s0, exec_lo
	v_cmpx_gt_i32_e64 s2, v0
	s_cbranch_execz .LBB21_32
.LBB21_27:
	v_add_nc_u32_e32 v0, s1, v0
	v_mov_b32_e32 v1, 0
	v_lshlrev_b64 v[0:1], 1, v[0:1]
	v_add_co_u32 v0, vcc_lo, s12, v0
	v_add_co_ci_u32_e64 v1, null, s13, v1, vcc_lo
	global_store_short v[0:1], v6, off
	s_endpgm
.LBB21_28:
	s_or_b32 exec_lo, exec_lo, s3
	s_and_saveexec_b32 s0, vcc_lo
	s_xor_b32 s0, exec_lo, s0
	s_cbranch_execz .LBB21_24
.LBB21_29:
	v_mov_b32_e32 v2, 0
	v_lshlrev_b64 v[0:1], 1, v[1:2]
	v_add_co_u32 v8, vcc_lo, s12, v0
	v_add_co_ci_u32_e64 v9, null, s13, v1, vcc_lo
	v_mov_b32_e32 v0, v3
	global_store_short v[8:9], v5, off
	s_or_b32 exec_lo, exec_lo, s0
	s_mov_b32 s0, exec_lo
	v_cmpx_gt_i32_e64 s2, v0
	s_cbranch_execnz .LBB21_25
.LBB21_30:
	s_or_b32 exec_lo, exec_lo, s0
	s_mov_b32 s0, exec_lo
	v_cmpx_gt_i32_e64 s2, v0
	s_cbranch_execz .LBB21_26
.LBB21_31:
	v_add_nc_u32_e32 v1, s1, v0
	v_mov_b32_e32 v2, 0
	v_add_nc_u32_e32 v0, 0x100, v0
	v_lshlrev_b64 v[1:2], 1, v[1:2]
	v_add_co_u32 v1, vcc_lo, s12, v1
	v_add_co_ci_u32_e64 v2, null, s13, v2, vcc_lo
	global_store_short v[1:2], v4, off
	s_or_b32 exec_lo, exec_lo, s0
	s_mov_b32 s0, exec_lo
	v_cmpx_gt_i32_e64 s2, v0
	s_cbranch_execnz .LBB21_27
.LBB21_32:
	s_endpgm
	.section	.rodata,"a",@progbits
	.p2align	6, 0x0
	.amdhsa_kernel _ZN2at6native27unrolled_elementwise_kernelIZZZNS0_12_GLOBAL__N_139_amp_non_finite_check_and_unscale_cuda_ERNS_6TensorES4_RKS3_ENKUlvE_clEvENKUlvE1_clEvEUlN3c104HalfEE_St5arrayIPcLm2EELi4E23TrivialOffsetCalculatorILi1EjESG_NS0_6memory15LoadWithoutCastENSH_16StoreWithoutCastEEEviT_T0_T2_T3_T4_T5_
		.amdhsa_group_segment_fixed_size 0
		.amdhsa_private_segment_fixed_size 0
		.amdhsa_kernarg_size 44
		.amdhsa_user_sgpr_count 6
		.amdhsa_user_sgpr_private_segment_buffer 1
		.amdhsa_user_sgpr_dispatch_ptr 0
		.amdhsa_user_sgpr_queue_ptr 0
		.amdhsa_user_sgpr_kernarg_segment_ptr 1
		.amdhsa_user_sgpr_dispatch_id 0
		.amdhsa_user_sgpr_flat_scratch_init 0
		.amdhsa_user_sgpr_private_segment_size 0
		.amdhsa_wavefront_size32 1
		.amdhsa_uses_dynamic_stack 0
		.amdhsa_system_sgpr_private_segment_wavefront_offset 0
		.amdhsa_system_sgpr_workgroup_id_x 1
		.amdhsa_system_sgpr_workgroup_id_y 0
		.amdhsa_system_sgpr_workgroup_id_z 0
		.amdhsa_system_sgpr_workgroup_info 0
		.amdhsa_system_vgpr_workitem_id 0
		.amdhsa_next_free_vgpr 10
		.amdhsa_next_free_sgpr 16
		.amdhsa_reserve_vcc 1
		.amdhsa_reserve_flat_scratch 0
		.amdhsa_float_round_mode_32 0
		.amdhsa_float_round_mode_16_64 0
		.amdhsa_float_denorm_mode_32 3
		.amdhsa_float_denorm_mode_16_64 3
		.amdhsa_dx10_clamp 1
		.amdhsa_ieee_mode 1
		.amdhsa_fp16_overflow 0
		.amdhsa_workgroup_processor_mode 1
		.amdhsa_memory_ordered 1
		.amdhsa_forward_progress 1
		.amdhsa_shared_vgpr_count 0
		.amdhsa_exception_fp_ieee_invalid_op 0
		.amdhsa_exception_fp_denorm_src 0
		.amdhsa_exception_fp_ieee_div_zero 0
		.amdhsa_exception_fp_ieee_overflow 0
		.amdhsa_exception_fp_ieee_underflow 0
		.amdhsa_exception_fp_ieee_inexact 0
		.amdhsa_exception_int_div_zero 0
	.end_amdhsa_kernel
	.section	.text._ZN2at6native27unrolled_elementwise_kernelIZZZNS0_12_GLOBAL__N_139_amp_non_finite_check_and_unscale_cuda_ERNS_6TensorES4_RKS3_ENKUlvE_clEvENKUlvE1_clEvEUlN3c104HalfEE_St5arrayIPcLm2EELi4E23TrivialOffsetCalculatorILi1EjESG_NS0_6memory15LoadWithoutCastENSH_16StoreWithoutCastEEEviT_T0_T2_T3_T4_T5_,"axG",@progbits,_ZN2at6native27unrolled_elementwise_kernelIZZZNS0_12_GLOBAL__N_139_amp_non_finite_check_and_unscale_cuda_ERNS_6TensorES4_RKS3_ENKUlvE_clEvENKUlvE1_clEvEUlN3c104HalfEE_St5arrayIPcLm2EELi4E23TrivialOffsetCalculatorILi1EjESG_NS0_6memory15LoadWithoutCastENSH_16StoreWithoutCastEEEviT_T0_T2_T3_T4_T5_,comdat
.Lfunc_end21:
	.size	_ZN2at6native27unrolled_elementwise_kernelIZZZNS0_12_GLOBAL__N_139_amp_non_finite_check_and_unscale_cuda_ERNS_6TensorES4_RKS3_ENKUlvE_clEvENKUlvE1_clEvEUlN3c104HalfEE_St5arrayIPcLm2EELi4E23TrivialOffsetCalculatorILi1EjESG_NS0_6memory15LoadWithoutCastENSH_16StoreWithoutCastEEEviT_T0_T2_T3_T4_T5_, .Lfunc_end21-_ZN2at6native27unrolled_elementwise_kernelIZZZNS0_12_GLOBAL__N_139_amp_non_finite_check_and_unscale_cuda_ERNS_6TensorES4_RKS3_ENKUlvE_clEvENKUlvE1_clEvEUlN3c104HalfEE_St5arrayIPcLm2EELi4E23TrivialOffsetCalculatorILi1EjESG_NS0_6memory15LoadWithoutCastENSH_16StoreWithoutCastEEEviT_T0_T2_T3_T4_T5_
                                        ; -- End function
	.set _ZN2at6native27unrolled_elementwise_kernelIZZZNS0_12_GLOBAL__N_139_amp_non_finite_check_and_unscale_cuda_ERNS_6TensorES4_RKS3_ENKUlvE_clEvENKUlvE1_clEvEUlN3c104HalfEE_St5arrayIPcLm2EELi4E23TrivialOffsetCalculatorILi1EjESG_NS0_6memory15LoadWithoutCastENSH_16StoreWithoutCastEEEviT_T0_T2_T3_T4_T5_.num_vgpr, 10
	.set _ZN2at6native27unrolled_elementwise_kernelIZZZNS0_12_GLOBAL__N_139_amp_non_finite_check_and_unscale_cuda_ERNS_6TensorES4_RKS3_ENKUlvE_clEvENKUlvE1_clEvEUlN3c104HalfEE_St5arrayIPcLm2EELi4E23TrivialOffsetCalculatorILi1EjESG_NS0_6memory15LoadWithoutCastENSH_16StoreWithoutCastEEEviT_T0_T2_T3_T4_T5_.num_agpr, 0
	.set _ZN2at6native27unrolled_elementwise_kernelIZZZNS0_12_GLOBAL__N_139_amp_non_finite_check_and_unscale_cuda_ERNS_6TensorES4_RKS3_ENKUlvE_clEvENKUlvE1_clEvEUlN3c104HalfEE_St5arrayIPcLm2EELi4E23TrivialOffsetCalculatorILi1EjESG_NS0_6memory15LoadWithoutCastENSH_16StoreWithoutCastEEEviT_T0_T2_T3_T4_T5_.numbered_sgpr, 16
	.set _ZN2at6native27unrolled_elementwise_kernelIZZZNS0_12_GLOBAL__N_139_amp_non_finite_check_and_unscale_cuda_ERNS_6TensorES4_RKS3_ENKUlvE_clEvENKUlvE1_clEvEUlN3c104HalfEE_St5arrayIPcLm2EELi4E23TrivialOffsetCalculatorILi1EjESG_NS0_6memory15LoadWithoutCastENSH_16StoreWithoutCastEEEviT_T0_T2_T3_T4_T5_.num_named_barrier, 0
	.set _ZN2at6native27unrolled_elementwise_kernelIZZZNS0_12_GLOBAL__N_139_amp_non_finite_check_and_unscale_cuda_ERNS_6TensorES4_RKS3_ENKUlvE_clEvENKUlvE1_clEvEUlN3c104HalfEE_St5arrayIPcLm2EELi4E23TrivialOffsetCalculatorILi1EjESG_NS0_6memory15LoadWithoutCastENSH_16StoreWithoutCastEEEviT_T0_T2_T3_T4_T5_.private_seg_size, 0
	.set _ZN2at6native27unrolled_elementwise_kernelIZZZNS0_12_GLOBAL__N_139_amp_non_finite_check_and_unscale_cuda_ERNS_6TensorES4_RKS3_ENKUlvE_clEvENKUlvE1_clEvEUlN3c104HalfEE_St5arrayIPcLm2EELi4E23TrivialOffsetCalculatorILi1EjESG_NS0_6memory15LoadWithoutCastENSH_16StoreWithoutCastEEEviT_T0_T2_T3_T4_T5_.uses_vcc, 1
	.set _ZN2at6native27unrolled_elementwise_kernelIZZZNS0_12_GLOBAL__N_139_amp_non_finite_check_and_unscale_cuda_ERNS_6TensorES4_RKS3_ENKUlvE_clEvENKUlvE1_clEvEUlN3c104HalfEE_St5arrayIPcLm2EELi4E23TrivialOffsetCalculatorILi1EjESG_NS0_6memory15LoadWithoutCastENSH_16StoreWithoutCastEEEviT_T0_T2_T3_T4_T5_.uses_flat_scratch, 0
	.set _ZN2at6native27unrolled_elementwise_kernelIZZZNS0_12_GLOBAL__N_139_amp_non_finite_check_and_unscale_cuda_ERNS_6TensorES4_RKS3_ENKUlvE_clEvENKUlvE1_clEvEUlN3c104HalfEE_St5arrayIPcLm2EELi4E23TrivialOffsetCalculatorILi1EjESG_NS0_6memory15LoadWithoutCastENSH_16StoreWithoutCastEEEviT_T0_T2_T3_T4_T5_.has_dyn_sized_stack, 0
	.set _ZN2at6native27unrolled_elementwise_kernelIZZZNS0_12_GLOBAL__N_139_amp_non_finite_check_and_unscale_cuda_ERNS_6TensorES4_RKS3_ENKUlvE_clEvENKUlvE1_clEvEUlN3c104HalfEE_St5arrayIPcLm2EELi4E23TrivialOffsetCalculatorILi1EjESG_NS0_6memory15LoadWithoutCastENSH_16StoreWithoutCastEEEviT_T0_T2_T3_T4_T5_.has_recursion, 0
	.set _ZN2at6native27unrolled_elementwise_kernelIZZZNS0_12_GLOBAL__N_139_amp_non_finite_check_and_unscale_cuda_ERNS_6TensorES4_RKS3_ENKUlvE_clEvENKUlvE1_clEvEUlN3c104HalfEE_St5arrayIPcLm2EELi4E23TrivialOffsetCalculatorILi1EjESG_NS0_6memory15LoadWithoutCastENSH_16StoreWithoutCastEEEviT_T0_T2_T3_T4_T5_.has_indirect_call, 0
	.section	.AMDGPU.csdata,"",@progbits
; Kernel info:
; codeLenInByte = 1144
; TotalNumSgprs: 18
; NumVgprs: 10
; ScratchSize: 0
; MemoryBound: 0
; FloatMode: 240
; IeeeMode: 1
; LDSByteSize: 0 bytes/workgroup (compile time only)
; SGPRBlocks: 0
; VGPRBlocks: 1
; NumSGPRsForWavesPerEU: 18
; NumVGPRsForWavesPerEU: 10
; Occupancy: 16
; WaveLimiterHint : 0
; COMPUTE_PGM_RSRC2:SCRATCH_EN: 0
; COMPUTE_PGM_RSRC2:USER_SGPR: 6
; COMPUTE_PGM_RSRC2:TRAP_HANDLER: 0
; COMPUTE_PGM_RSRC2:TGID_X_EN: 1
; COMPUTE_PGM_RSRC2:TGID_Y_EN: 0
; COMPUTE_PGM_RSRC2:TGID_Z_EN: 0
; COMPUTE_PGM_RSRC2:TIDIG_COMP_CNT: 0
	.section	.text._ZN2at6native32elementwise_kernel_manual_unrollILi128ELi8EZNS0_22gpu_kernel_impl_nocastIZZZNS0_12_GLOBAL__N_139_amp_non_finite_check_and_unscale_cuda_ERNS_6TensorES5_RKS4_ENKUlvE_clEvENKUlvE1_clEvEUlN3c104HalfEE_EEvRNS_18TensorIteratorBaseERKT_EUlibE_EEviT1_,"axG",@progbits,_ZN2at6native32elementwise_kernel_manual_unrollILi128ELi8EZNS0_22gpu_kernel_impl_nocastIZZZNS0_12_GLOBAL__N_139_amp_non_finite_check_and_unscale_cuda_ERNS_6TensorES5_RKS4_ENKUlvE_clEvENKUlvE1_clEvEUlN3c104HalfEE_EEvRNS_18TensorIteratorBaseERKT_EUlibE_EEviT1_,comdat
	.globl	_ZN2at6native32elementwise_kernel_manual_unrollILi128ELi8EZNS0_22gpu_kernel_impl_nocastIZZZNS0_12_GLOBAL__N_139_amp_non_finite_check_and_unscale_cuda_ERNS_6TensorES5_RKS4_ENKUlvE_clEvENKUlvE1_clEvEUlN3c104HalfEE_EEvRNS_18TensorIteratorBaseERKT_EUlibE_EEviT1_ ; -- Begin function _ZN2at6native32elementwise_kernel_manual_unrollILi128ELi8EZNS0_22gpu_kernel_impl_nocastIZZZNS0_12_GLOBAL__N_139_amp_non_finite_check_and_unscale_cuda_ERNS_6TensorES5_RKS4_ENKUlvE_clEvENKUlvE1_clEvEUlN3c104HalfEE_EEvRNS_18TensorIteratorBaseERKT_EUlibE_EEviT1_
	.p2align	8
	.type	_ZN2at6native32elementwise_kernel_manual_unrollILi128ELi8EZNS0_22gpu_kernel_impl_nocastIZZZNS0_12_GLOBAL__N_139_amp_non_finite_check_and_unscale_cuda_ERNS_6TensorES5_RKS4_ENKUlvE_clEvENKUlvE1_clEvEUlN3c104HalfEE_EEvRNS_18TensorIteratorBaseERKT_EUlibE_EEviT1_,@function
_ZN2at6native32elementwise_kernel_manual_unrollILi128ELi8EZNS0_22gpu_kernel_impl_nocastIZZZNS0_12_GLOBAL__N_139_amp_non_finite_check_and_unscale_cuda_ERNS_6TensorES5_RKS4_ENKUlvE_clEvENKUlvE1_clEvEUlN3c104HalfEE_EEvRNS_18TensorIteratorBaseERKT_EUlibE_EEviT1_: ; @_ZN2at6native32elementwise_kernel_manual_unrollILi128ELi8EZNS0_22gpu_kernel_impl_nocastIZZZNS0_12_GLOBAL__N_139_amp_non_finite_check_and_unscale_cuda_ERNS_6TensorES5_RKS4_ENKUlvE_clEvENKUlvE1_clEvEUlN3c104HalfEE_EEvRNS_18TensorIteratorBaseERKT_EUlibE_EEviT1_
; %bb.0:
	s_clause 0x1
	s_load_dword s26, s[4:5], 0x8
	s_load_dword s31, s[4:5], 0x0
	v_lshl_or_b32 v19, s6, 10, v0
	s_add_u32 s16, s4, 8
	s_addc_u32 s17, s5, 0
	s_mov_b32 s0, exec_lo
	v_or_b32_e32 v25, 0x380, v19
	s_waitcnt lgkmcnt(0)
	s_add_i32 s27, s26, -1
	s_cmp_gt_u32 s27, 1
	s_cselect_b32 s28, -1, 0
	v_cmpx_le_i32_e64 s31, v25
	s_xor_b32 s29, exec_lo, s0
	s_cbranch_execz .LBB22_7
; %bb.1:
	s_clause 0x3
	s_load_dwordx4 s[12:15], s[16:17], 0x4
	s_load_dwordx2 s[18:19], s[16:17], 0x14
	s_load_dwordx4 s[8:11], s[16:17], 0xc4
	s_load_dwordx8 s[0:7], s[16:17], 0x148
	s_cmp_lg_u32 s26, 0
	s_mov_b32 s35, exec_lo
	s_cselect_b32 s34, -1, 0
	s_add_u32 s20, s16, 0xc4
	s_addc_u32 s21, s17, 0
	s_min_u32 s33, s27, 15
	s_cmp_gt_u32 s26, 1
	s_cselect_b32 s30, -1, 0
	v_cmpx_gt_i32_e64 s31, v19
	s_cbranch_execz .LBB22_14
; %bb.2:
	s_andn2_b32 vcc_lo, exec_lo, s28
	s_cbranch_vccnz .LBB22_21
; %bb.3:
	s_andn2_b32 vcc_lo, exec_lo, s34
	s_cbranch_vccnz .LBB22_145
; %bb.4:
	s_add_i32 s37, s33, 1
	s_cmp_eq_u32 s27, 2
	s_cbranch_scc1 .LBB22_147
; %bb.5:
	v_mov_b32_e32 v2, 0
	v_mov_b32_e32 v0, 0
	;; [unrolled: 1-line block ×3, first 2 shown]
	s_and_b32 s36, s37, 28
	s_mov_b32 s38, 0
	s_mov_b64 s[22:23], s[16:17]
	s_mov_b64 s[24:25], s[20:21]
.LBB22_6:                               ; =>This Inner Loop Header: Depth=1
	s_clause 0x1
	s_load_dwordx8 s[40:47], s[22:23], 0x4
	s_load_dwordx4 s[56:59], s[22:23], 0x24
	s_load_dwordx8 s[48:55], s[24:25], 0x0
	s_add_u32 s22, s22, 48
	s_addc_u32 s23, s23, 0
	s_add_i32 s38, s38, 4
	s_add_u32 s24, s24, 32
	s_addc_u32 s25, s25, 0
	s_cmp_lg_u32 s36, s38
	s_waitcnt lgkmcnt(0)
	v_mul_hi_u32 v3, s41, v1
	v_add_nc_u32_e32 v3, v1, v3
	v_lshrrev_b32_e32 v3, s42, v3
	v_mul_hi_u32 v4, s44, v3
	v_mul_lo_u32 v6, v3, s40
	v_add_nc_u32_e32 v4, v3, v4
	v_sub_nc_u32_e32 v1, v1, v6
	v_lshrrev_b32_e32 v4, s45, v4
	v_mul_lo_u32 v6, v1, s48
	v_mul_lo_u32 v8, v1, s49
	v_mul_hi_u32 v5, s47, v4
	v_add_nc_u32_e32 v5, v4, v5
	v_lshrrev_b32_e32 v5, s56, v5
	v_mul_hi_u32 v7, s58, v5
	v_mul_lo_u32 v9, v5, s46
	v_add_nc_u32_e32 v1, v5, v7
	v_mul_lo_u32 v7, v4, s43
	v_sub_nc_u32_e32 v4, v4, v9
	v_lshrrev_b32_e32 v1, s59, v1
	v_mul_lo_u32 v9, v4, s52
	v_mul_lo_u32 v4, v4, s53
	v_sub_nc_u32_e32 v3, v3, v7
	v_mul_lo_u32 v10, v1, s57
	v_mul_lo_u32 v7, v3, s50
	v_mul_lo_u32 v3, v3, s51
	v_sub_nc_u32_e32 v5, v5, v10
	v_add3_u32 v0, v6, v0, v7
	v_mul_lo_u32 v10, v5, s54
	v_mul_lo_u32 v5, v5, s55
	v_add3_u32 v2, v8, v2, v3
	v_add3_u32 v0, v9, v0, v10
	;; [unrolled: 1-line block ×3, first 2 shown]
	s_cbranch_scc1 .LBB22_6
	s_branch .LBB22_148
.LBB22_7:
	s_andn2_saveexec_b32 s0, s29
	s_cbranch_execz .LBB22_249
.LBB22_8:
	v_cndmask_b32_e64 v22, 0, 1, s28
	s_andn2_b32 vcc_lo, exec_lo, s28
	s_cbranch_vccnz .LBB22_20
; %bb.9:
	s_cmp_lg_u32 s26, 0
	s_mov_b32 s4, 0
	s_cbranch_scc0 .LBB22_23
; %bb.10:
	s_min_u32 s6, s27, 15
	s_add_i32 s6, s6, 1
	s_cmp_eq_u32 s27, 2
	s_cbranch_scc1 .LBB22_24
; %bb.11:
	v_mov_b32_e32 v2, 0
	v_mov_b32_e32 v0, 0
	;; [unrolled: 1-line block ×3, first 2 shown]
	s_and_b32 s5, s6, 28
	s_add_u32 s0, s16, 0xc4
	s_addc_u32 s1, s17, 0
	s_mov_b32 s7, 0
	s_mov_b64 s[2:3], s[16:17]
.LBB22_12:                              ; =>This Inner Loop Header: Depth=1
	s_clause 0x1
	s_load_dwordx8 s[8:15], s[2:3], 0x4
	s_load_dwordx4 s[20:23], s[2:3], 0x24
	s_load_dwordx8 s[36:43], s[0:1], 0x0
	s_add_u32 s2, s2, 48
	s_addc_u32 s3, s3, 0
	s_add_i32 s7, s7, 4
	s_add_u32 s0, s0, 32
	s_addc_u32 s1, s1, 0
	s_cmp_lg_u32 s5, s7
	s_waitcnt lgkmcnt(0)
	v_mul_hi_u32 v3, s9, v1
	v_add_nc_u32_e32 v3, v1, v3
	v_lshrrev_b32_e32 v3, s10, v3
	v_mul_hi_u32 v4, s12, v3
	v_mul_lo_u32 v6, v3, s8
	v_add_nc_u32_e32 v4, v3, v4
	v_sub_nc_u32_e32 v1, v1, v6
	v_lshrrev_b32_e32 v4, s13, v4
	v_mul_lo_u32 v6, v1, s36
	v_mul_lo_u32 v8, v1, s37
	v_mul_hi_u32 v5, s15, v4
	v_add_nc_u32_e32 v5, v4, v5
	v_lshrrev_b32_e32 v5, s20, v5
	v_mul_hi_u32 v7, s22, v5
	v_mul_lo_u32 v9, v5, s14
	v_add_nc_u32_e32 v1, v5, v7
	v_mul_lo_u32 v7, v4, s11
	v_sub_nc_u32_e32 v4, v4, v9
	v_lshrrev_b32_e32 v1, s23, v1
	v_mul_lo_u32 v9, v4, s40
	v_mul_lo_u32 v4, v4, s41
	v_sub_nc_u32_e32 v3, v3, v7
	v_mul_lo_u32 v10, v1, s21
	v_mul_lo_u32 v7, v3, s38
	;; [unrolled: 1-line block ×3, first 2 shown]
	v_sub_nc_u32_e32 v5, v5, v10
	v_add3_u32 v0, v6, v0, v7
	v_mul_lo_u32 v10, v5, s42
	v_mul_lo_u32 v5, v5, s43
	v_add3_u32 v2, v8, v2, v3
	v_add3_u32 v0, v9, v0, v10
	;; [unrolled: 1-line block ×3, first 2 shown]
	s_cbranch_scc1 .LBB22_12
; %bb.13:
	s_and_b32 s6, s6, 3
	s_cmp_eq_u32 s6, 0
	s_cbranch_scc0 .LBB22_25
	s_branch .LBB22_27
.LBB22_14:
	s_or_b32 exec_lo, exec_lo, s35
	s_mov_b32 s35, exec_lo
	v_cmpx_gt_i32_e64 s31, v19
	s_cbranch_execz .LBB22_157
.LBB22_15:
	s_andn2_b32 vcc_lo, exec_lo, s28
	s_cbranch_vccnz .LBB22_22
; %bb.16:
	s_andn2_b32 vcc_lo, exec_lo, s34
	s_cbranch_vccnz .LBB22_146
; %bb.17:
	s_add_i32 s37, s33, 1
	s_cmp_eq_u32 s27, 2
	s_cbranch_scc1 .LBB22_165
; %bb.18:
	v_mov_b32_e32 v2, 0
	v_mov_b32_e32 v0, 0
	;; [unrolled: 1-line block ×3, first 2 shown]
	s_and_b32 s36, s37, 28
	s_mov_b32 s38, 0
	s_mov_b64 s[22:23], s[16:17]
	s_mov_b64 s[24:25], s[20:21]
.LBB22_19:                              ; =>This Inner Loop Header: Depth=1
	s_clause 0x1
	s_load_dwordx8 s[40:47], s[22:23], 0x4
	s_load_dwordx4 s[56:59], s[22:23], 0x24
	s_load_dwordx8 s[48:55], s[24:25], 0x0
	s_add_u32 s22, s22, 48
	s_addc_u32 s23, s23, 0
	s_add_i32 s38, s38, 4
	s_add_u32 s24, s24, 32
	s_addc_u32 s25, s25, 0
	s_cmp_eq_u32 s36, s38
	s_waitcnt lgkmcnt(0)
	v_mul_hi_u32 v3, s41, v1
	v_add_nc_u32_e32 v3, v1, v3
	v_lshrrev_b32_e32 v3, s42, v3
	v_mul_hi_u32 v4, s44, v3
	v_mul_lo_u32 v6, v3, s40
	v_add_nc_u32_e32 v4, v3, v4
	v_sub_nc_u32_e32 v1, v1, v6
	v_lshrrev_b32_e32 v4, s45, v4
	v_mul_lo_u32 v6, v1, s48
	v_mul_lo_u32 v8, v1, s49
	v_mul_hi_u32 v5, s47, v4
	v_add_nc_u32_e32 v5, v4, v5
	v_lshrrev_b32_e32 v5, s56, v5
	v_mul_hi_u32 v7, s58, v5
	v_mul_lo_u32 v9, v5, s46
	v_add_nc_u32_e32 v1, v5, v7
	v_mul_lo_u32 v7, v4, s43
	v_sub_nc_u32_e32 v4, v4, v9
	v_lshrrev_b32_e32 v1, s59, v1
	v_mul_lo_u32 v9, v4, s52
	v_mul_lo_u32 v4, v4, s53
	v_sub_nc_u32_e32 v3, v3, v7
	v_mul_lo_u32 v10, v1, s57
	v_mul_lo_u32 v7, v3, s50
	;; [unrolled: 1-line block ×3, first 2 shown]
	v_sub_nc_u32_e32 v5, v5, v10
	v_add3_u32 v0, v6, v0, v7
	v_mul_lo_u32 v10, v5, s54
	v_mul_lo_u32 v5, v5, s55
	v_add3_u32 v2, v8, v2, v3
	v_add3_u32 v0, v9, v0, v10
	v_add3_u32 v2, v4, v2, v5
	s_cbranch_scc0 .LBB22_19
	s_branch .LBB22_166
.LBB22_20:
	s_mov_b32 s4, -1
                                        ; implicit-def: $vgpr0
                                        ; implicit-def: $vgpr2
	s_branch .LBB22_27
.LBB22_21:
                                        ; implicit-def: $vgpr0
                                        ; implicit-def: $vgpr2
	s_branch .LBB22_152
.LBB22_22:
                                        ; implicit-def: $vgpr0
                                        ; implicit-def: $vgpr2
	s_branch .LBB22_170
.LBB22_23:
	v_mov_b32_e32 v0, 0
	v_mov_b32_e32 v2, 0
	s_branch .LBB22_27
.LBB22_24:
	v_mov_b32_e32 v0, 0
	v_mov_b32_e32 v2, 0
	;; [unrolled: 1-line block ×3, first 2 shown]
	s_mov_b32 s5, 0
	s_and_b32 s6, s6, 3
	s_cmp_eq_u32 s6, 0
	s_cbranch_scc1 .LBB22_27
.LBB22_25:
	s_lshl_b32 s0, s5, 3
	s_mul_i32 s2, s5, 12
	s_add_u32 s0, s16, s0
	s_addc_u32 s1, s17, 0
	s_add_u32 s0, s0, 0xc4
	s_addc_u32 s1, s1, 0
	s_add_u32 s2, s16, s2
	s_addc_u32 s3, s17, 0
	.p2align	6
.LBB22_26:                              ; =>This Inner Loop Header: Depth=1
	s_clause 0x1
	s_load_dwordx2 s[8:9], s[2:3], 0x4
	s_load_dword s5, s[2:3], 0xc
	s_load_dwordx2 s[10:11], s[0:1], 0x0
	s_add_u32 s2, s2, 12
	s_addc_u32 s3, s3, 0
	s_add_u32 s0, s0, 8
	s_addc_u32 s1, s1, 0
	s_add_i32 s6, s6, -1
	s_cmp_lg_u32 s6, 0
	s_waitcnt lgkmcnt(0)
	v_mul_hi_u32 v3, s9, v1
	v_add_nc_u32_e32 v3, v1, v3
	v_lshrrev_b32_e32 v4, s5, v3
	v_mul_lo_u32 v3, v4, s8
	v_sub_nc_u32_e32 v3, v1, v3
	v_mad_u64_u32 v[0:1], null, v3, s10, v[0:1]
	v_mad_u64_u32 v[2:3], null, v3, s11, v[2:3]
	v_mov_b32_e32 v1, v4
	s_cbranch_scc1 .LBB22_26
.LBB22_27:
	s_andn2_b32 vcc_lo, exec_lo, s4
	s_cbranch_vccnz .LBB22_30
; %bb.28:
	s_clause 0x1
	s_load_dwordx4 s[0:3], s[16:17], 0x4
	s_load_dwordx2 s[4:5], s[16:17], 0xc4
	s_cmp_lt_u32 s26, 2
	s_waitcnt lgkmcnt(0)
	v_mul_hi_u32 v0, s1, v19
	v_add_nc_u32_e32 v0, v19, v0
	v_lshrrev_b32_e32 v1, s2, v0
	v_mul_lo_u32 v0, v1, s0
	v_sub_nc_u32_e32 v2, v19, v0
	v_mul_lo_u32 v0, v2, s4
	v_mul_lo_u32 v2, v2, s5
	s_cbranch_scc1 .LBB22_30
; %bb.29:
	s_clause 0x1
	s_load_dwordx4 s[0:3], s[16:17], 0x10
	s_load_dwordx2 s[4:5], s[16:17], 0xcc
	s_waitcnt lgkmcnt(0)
	v_mul_hi_u32 v3, s1, v1
	v_add_nc_u32_e32 v3, v1, v3
	v_lshrrev_b32_e32 v3, s2, v3
	v_mul_lo_u32 v3, v3, s0
	v_sub_nc_u32_e32 v3, v1, v3
	v_mad_u64_u32 v[0:1], null, v3, s4, v[0:1]
	v_mad_u64_u32 v[2:3], null, v3, s5, v[2:3]
.LBB22_30:
	v_cmp_ne_u32_e32 vcc_lo, 1, v22
	v_add_nc_u32_e32 v1, 0x80, v19
	s_cbranch_vccnz .LBB22_36
; %bb.31:
	s_cmp_lg_u32 s26, 0
	s_mov_b32 s4, 0
	s_cbranch_scc0 .LBB22_37
; %bb.32:
	s_min_u32 s6, s27, 15
	s_add_i32 s6, s6, 1
	s_cmp_eq_u32 s27, 2
	s_cbranch_scc1 .LBB22_38
; %bb.33:
	v_mov_b32_e32 v5, 0
	v_mov_b32_e32 v3, 0
	;; [unrolled: 1-line block ×3, first 2 shown]
	s_and_b32 s5, s6, 28
	s_add_u32 s0, s16, 0xc4
	s_addc_u32 s1, s17, 0
	s_mov_b32 s7, 0
	s_mov_b64 s[2:3], s[16:17]
.LBB22_34:                              ; =>This Inner Loop Header: Depth=1
	s_clause 0x1
	s_load_dwordx8 s[8:15], s[2:3], 0x4
	s_load_dwordx4 s[20:23], s[2:3], 0x24
	s_load_dwordx8 s[36:43], s[0:1], 0x0
	s_add_u32 s2, s2, 48
	s_addc_u32 s3, s3, 0
	s_add_i32 s7, s7, 4
	s_add_u32 s0, s0, 32
	s_addc_u32 s1, s1, 0
	s_cmp_lg_u32 s5, s7
	s_waitcnt lgkmcnt(0)
	v_mul_hi_u32 v6, s9, v4
	v_add_nc_u32_e32 v6, v4, v6
	v_lshrrev_b32_e32 v6, s10, v6
	v_mul_hi_u32 v7, s12, v6
	v_mul_lo_u32 v9, v6, s8
	v_add_nc_u32_e32 v7, v6, v7
	v_sub_nc_u32_e32 v4, v4, v9
	v_lshrrev_b32_e32 v7, s13, v7
	v_mul_lo_u32 v9, v4, s36
	v_mul_lo_u32 v11, v4, s37
	v_mul_hi_u32 v8, s15, v7
	v_add_nc_u32_e32 v8, v7, v8
	v_lshrrev_b32_e32 v8, s20, v8
	v_mul_hi_u32 v10, s22, v8
	v_mul_lo_u32 v12, v8, s14
	v_add_nc_u32_e32 v4, v8, v10
	v_mul_lo_u32 v10, v7, s11
	v_sub_nc_u32_e32 v7, v7, v12
	v_lshrrev_b32_e32 v4, s23, v4
	v_mul_lo_u32 v12, v7, s40
	v_mul_lo_u32 v7, v7, s41
	v_sub_nc_u32_e32 v6, v6, v10
	v_mul_lo_u32 v13, v4, s21
	v_mul_lo_u32 v10, v6, s38
	;; [unrolled: 1-line block ×3, first 2 shown]
	v_sub_nc_u32_e32 v8, v8, v13
	v_add3_u32 v3, v9, v3, v10
	v_mul_lo_u32 v13, v8, s42
	v_mul_lo_u32 v8, v8, s43
	v_add3_u32 v5, v11, v5, v6
	v_add3_u32 v3, v12, v3, v13
	;; [unrolled: 1-line block ×3, first 2 shown]
	s_cbranch_scc1 .LBB22_34
; %bb.35:
	s_and_b32 s6, s6, 3
	s_cmp_eq_u32 s6, 0
	s_cbranch_scc0 .LBB22_39
	s_branch .LBB22_41
.LBB22_36:
	s_mov_b32 s4, -1
                                        ; implicit-def: $vgpr3
                                        ; implicit-def: $vgpr5
	s_branch .LBB22_41
.LBB22_37:
	v_mov_b32_e32 v3, 0
	v_mov_b32_e32 v5, 0
	s_branch .LBB22_41
.LBB22_38:
	v_mov_b32_e32 v3, 0
	v_mov_b32_e32 v5, 0
	;; [unrolled: 1-line block ×3, first 2 shown]
	s_mov_b32 s5, 0
	s_and_b32 s6, s6, 3
	s_cmp_eq_u32 s6, 0
	s_cbranch_scc1 .LBB22_41
.LBB22_39:
	s_lshl_b32 s0, s5, 3
	s_mul_i32 s2, s5, 12
	s_add_u32 s0, s16, s0
	s_addc_u32 s1, s17, 0
	s_add_u32 s0, s0, 0xc4
	s_addc_u32 s1, s1, 0
	;; [unrolled: 2-line block ×3, first 2 shown]
	.p2align	6
.LBB22_40:                              ; =>This Inner Loop Header: Depth=1
	s_clause 0x1
	s_load_dwordx2 s[8:9], s[2:3], 0x4
	s_load_dword s5, s[2:3], 0xc
	s_load_dwordx2 s[10:11], s[0:1], 0x0
	s_add_u32 s2, s2, 12
	s_addc_u32 s3, s3, 0
	s_add_u32 s0, s0, 8
	s_addc_u32 s1, s1, 0
	s_add_i32 s6, s6, -1
	s_cmp_lg_u32 s6, 0
	s_waitcnt lgkmcnt(0)
	v_mul_hi_u32 v6, s9, v4
	v_add_nc_u32_e32 v6, v4, v6
	v_lshrrev_b32_e32 v7, s5, v6
	v_mul_lo_u32 v6, v7, s8
	v_sub_nc_u32_e32 v6, v4, v6
	v_mad_u64_u32 v[3:4], null, v6, s10, v[3:4]
	v_mad_u64_u32 v[5:6], null, v6, s11, v[5:6]
	v_mov_b32_e32 v4, v7
	s_cbranch_scc1 .LBB22_40
.LBB22_41:
	s_andn2_b32 vcc_lo, exec_lo, s4
	s_cbranch_vccnz .LBB22_44
; %bb.42:
	s_clause 0x1
	s_load_dwordx4 s[0:3], s[16:17], 0x4
	s_load_dwordx2 s[4:5], s[16:17], 0xc4
	s_cmp_lt_u32 s26, 2
	s_waitcnt lgkmcnt(0)
	v_mul_hi_u32 v3, s1, v1
	v_add_nc_u32_e32 v3, v1, v3
	v_lshrrev_b32_e32 v4, s2, v3
	v_mul_lo_u32 v3, v4, s0
	v_sub_nc_u32_e32 v1, v1, v3
	v_mul_lo_u32 v3, v1, s4
	v_mul_lo_u32 v5, v1, s5
	s_cbranch_scc1 .LBB22_44
; %bb.43:
	s_clause 0x1
	s_load_dwordx4 s[0:3], s[16:17], 0x10
	s_load_dwordx2 s[4:5], s[16:17], 0xcc
	s_waitcnt lgkmcnt(0)
	v_mul_hi_u32 v1, s1, v4
	v_add_nc_u32_e32 v1, v4, v1
	v_lshrrev_b32_e32 v1, s2, v1
	v_mul_lo_u32 v1, v1, s0
	v_sub_nc_u32_e32 v1, v4, v1
	v_mad_u64_u32 v[3:4], null, v1, s4, v[3:4]
	v_mad_u64_u32 v[5:6], null, v1, s5, v[5:6]
.LBB22_44:
	v_cmp_ne_u32_e32 vcc_lo, 1, v22
	v_add_nc_u32_e32 v1, 0x100, v19
	s_cbranch_vccnz .LBB22_50
; %bb.45:
	s_cmp_lg_u32 s26, 0
	s_mov_b32 s4, 0
	s_cbranch_scc0 .LBB22_51
; %bb.46:
	s_min_u32 s6, s27, 15
	s_add_i32 s6, s6, 1
	s_cmp_eq_u32 s27, 2
	s_cbranch_scc1 .LBB22_52
; %bb.47:
	v_mov_b32_e32 v8, 0
	v_mov_b32_e32 v6, 0
	;; [unrolled: 1-line block ×3, first 2 shown]
	s_and_b32 s5, s6, 28
	s_add_u32 s0, s16, 0xc4
	s_addc_u32 s1, s17, 0
	s_mov_b32 s7, 0
	s_mov_b64 s[2:3], s[16:17]
.LBB22_48:                              ; =>This Inner Loop Header: Depth=1
	s_clause 0x1
	s_load_dwordx8 s[8:15], s[2:3], 0x4
	s_load_dwordx4 s[20:23], s[2:3], 0x24
	s_load_dwordx8 s[36:43], s[0:1], 0x0
	s_add_u32 s2, s2, 48
	s_addc_u32 s3, s3, 0
	s_add_i32 s7, s7, 4
	s_add_u32 s0, s0, 32
	s_addc_u32 s1, s1, 0
	s_cmp_lg_u32 s5, s7
	s_waitcnt lgkmcnt(0)
	v_mul_hi_u32 v7, s9, v4
	v_add_nc_u32_e32 v7, v4, v7
	v_lshrrev_b32_e32 v7, s10, v7
	v_mul_hi_u32 v9, s12, v7
	v_mul_lo_u32 v11, v7, s8
	v_add_nc_u32_e32 v9, v7, v9
	v_sub_nc_u32_e32 v4, v4, v11
	v_lshrrev_b32_e32 v9, s13, v9
	v_mul_lo_u32 v11, v4, s36
	v_mul_lo_u32 v13, v4, s37
	v_mul_hi_u32 v10, s15, v9
	v_add_nc_u32_e32 v10, v9, v10
	v_lshrrev_b32_e32 v10, s20, v10
	v_mul_hi_u32 v12, s22, v10
	v_mul_lo_u32 v14, v10, s14
	v_add_nc_u32_e32 v4, v10, v12
	v_mul_lo_u32 v12, v9, s11
	v_sub_nc_u32_e32 v9, v9, v14
	v_lshrrev_b32_e32 v4, s23, v4
	v_mul_lo_u32 v14, v9, s40
	v_mul_lo_u32 v9, v9, s41
	v_sub_nc_u32_e32 v7, v7, v12
	v_mul_lo_u32 v15, v4, s21
	v_mul_lo_u32 v12, v7, s38
	;; [unrolled: 1-line block ×3, first 2 shown]
	v_sub_nc_u32_e32 v10, v10, v15
	v_add3_u32 v6, v11, v6, v12
	v_mul_lo_u32 v15, v10, s42
	v_mul_lo_u32 v10, v10, s43
	v_add3_u32 v7, v13, v8, v7
	v_add3_u32 v6, v14, v6, v15
	;; [unrolled: 1-line block ×3, first 2 shown]
	s_cbranch_scc1 .LBB22_48
; %bb.49:
	s_and_b32 s6, s6, 3
	s_cmp_eq_u32 s6, 0
	s_cbranch_scc0 .LBB22_53
	s_branch .LBB22_55
.LBB22_50:
	s_mov_b32 s4, -1
                                        ; implicit-def: $vgpr6
                                        ; implicit-def: $vgpr8
	s_branch .LBB22_55
.LBB22_51:
	v_mov_b32_e32 v6, 0
	v_mov_b32_e32 v8, 0
	s_branch .LBB22_55
.LBB22_52:
	v_mov_b32_e32 v6, 0
	v_mov_b32_e32 v8, 0
	;; [unrolled: 1-line block ×3, first 2 shown]
	s_mov_b32 s5, 0
	s_and_b32 s6, s6, 3
	s_cmp_eq_u32 s6, 0
	s_cbranch_scc1 .LBB22_55
.LBB22_53:
	s_lshl_b32 s0, s5, 3
	s_mul_i32 s2, s5, 12
	s_add_u32 s0, s16, s0
	s_addc_u32 s1, s17, 0
	s_add_u32 s0, s0, 0xc4
	s_addc_u32 s1, s1, 0
	;; [unrolled: 2-line block ×3, first 2 shown]
	.p2align	6
.LBB22_54:                              ; =>This Inner Loop Header: Depth=1
	s_clause 0x1
	s_load_dwordx2 s[8:9], s[2:3], 0x4
	s_load_dword s5, s[2:3], 0xc
	s_load_dwordx2 s[10:11], s[0:1], 0x0
	s_add_u32 s2, s2, 12
	s_addc_u32 s3, s3, 0
	s_add_u32 s0, s0, 8
	s_addc_u32 s1, s1, 0
	s_add_i32 s6, s6, -1
	s_cmp_lg_u32 s6, 0
	s_waitcnt lgkmcnt(0)
	v_mul_hi_u32 v7, s9, v4
	v_add_nc_u32_e32 v7, v4, v7
	v_lshrrev_b32_e32 v10, s5, v7
	v_mul_lo_u32 v7, v10, s8
	v_sub_nc_u32_e32 v4, v4, v7
	v_mad_u64_u32 v[6:7], null, v4, s10, v[6:7]
	v_mad_u64_u32 v[8:9], null, v4, s11, v[8:9]
	v_mov_b32_e32 v4, v10
	s_cbranch_scc1 .LBB22_54
.LBB22_55:
	s_andn2_b32 vcc_lo, exec_lo, s4
	s_cbranch_vccnz .LBB22_58
; %bb.56:
	s_clause 0x1
	s_load_dwordx4 s[0:3], s[16:17], 0x4
	s_load_dwordx2 s[4:5], s[16:17], 0xc4
	s_cmp_lt_u32 s26, 2
	s_waitcnt lgkmcnt(0)
	v_mul_hi_u32 v4, s1, v1
	v_add_nc_u32_e32 v4, v1, v4
	v_lshrrev_b32_e32 v4, s2, v4
	v_mul_lo_u32 v6, v4, s0
	v_sub_nc_u32_e32 v1, v1, v6
	v_mul_lo_u32 v6, v1, s4
	v_mul_lo_u32 v8, v1, s5
	s_cbranch_scc1 .LBB22_58
; %bb.57:
	s_clause 0x1
	s_load_dwordx4 s[0:3], s[16:17], 0x10
	s_load_dwordx2 s[4:5], s[16:17], 0xcc
	s_waitcnt lgkmcnt(0)
	v_mul_hi_u32 v1, s1, v4
	v_add_nc_u32_e32 v1, v4, v1
	v_lshrrev_b32_e32 v1, s2, v1
	v_mul_lo_u32 v1, v1, s0
	v_sub_nc_u32_e32 v1, v4, v1
	v_mad_u64_u32 v[6:7], null, v1, s4, v[6:7]
	v_mad_u64_u32 v[8:9], null, v1, s5, v[8:9]
.LBB22_58:
	v_cmp_ne_u32_e32 vcc_lo, 1, v22
	v_add_nc_u32_e32 v1, 0x180, v19
	s_cbranch_vccnz .LBB22_64
; %bb.59:
	s_cmp_lg_u32 s26, 0
	s_mov_b32 s4, 0
	s_cbranch_scc0 .LBB22_65
; %bb.60:
	s_min_u32 s6, s27, 15
	s_add_i32 s6, s6, 1
	s_cmp_eq_u32 s27, 2
	s_cbranch_scc1 .LBB22_66
; %bb.61:
	v_mov_b32_e32 v11, 0
	v_mov_b32_e32 v9, 0
	;; [unrolled: 1-line block ×3, first 2 shown]
	s_and_b32 s5, s6, 28
	s_add_u32 s0, s16, 0xc4
	s_addc_u32 s1, s17, 0
	s_mov_b32 s7, 0
	s_mov_b64 s[2:3], s[16:17]
.LBB22_62:                              ; =>This Inner Loop Header: Depth=1
	s_clause 0x1
	s_load_dwordx8 s[8:15], s[2:3], 0x4
	s_load_dwordx4 s[20:23], s[2:3], 0x24
	s_load_dwordx8 s[36:43], s[0:1], 0x0
	s_add_u32 s2, s2, 48
	s_addc_u32 s3, s3, 0
	s_add_i32 s7, s7, 4
	s_add_u32 s0, s0, 32
	s_addc_u32 s1, s1, 0
	s_cmp_lg_u32 s5, s7
	s_waitcnt lgkmcnt(0)
	v_mul_hi_u32 v7, s9, v4
	v_add_nc_u32_e32 v7, v4, v7
	v_lshrrev_b32_e32 v7, s10, v7
	v_mul_hi_u32 v10, s12, v7
	v_mul_lo_u32 v13, v7, s8
	v_add_nc_u32_e32 v10, v7, v10
	v_sub_nc_u32_e32 v4, v4, v13
	v_lshrrev_b32_e32 v10, s13, v10
	v_mul_lo_u32 v13, v4, s36
	v_mul_lo_u32 v15, v4, s37
	v_mul_hi_u32 v12, s15, v10
	v_add_nc_u32_e32 v12, v10, v12
	v_lshrrev_b32_e32 v12, s20, v12
	v_mul_hi_u32 v14, s22, v12
	v_mul_lo_u32 v16, v12, s14
	v_add_nc_u32_e32 v4, v12, v14
	v_mul_lo_u32 v14, v10, s11
	v_sub_nc_u32_e32 v10, v10, v16
	v_lshrrev_b32_e32 v4, s23, v4
	v_mul_lo_u32 v16, v10, s40
	v_mul_lo_u32 v10, v10, s41
	v_sub_nc_u32_e32 v7, v7, v14
	v_mul_lo_u32 v17, v4, s21
	v_mul_lo_u32 v14, v7, s38
	;; [unrolled: 1-line block ×3, first 2 shown]
	v_sub_nc_u32_e32 v12, v12, v17
	v_add3_u32 v9, v13, v9, v14
	v_mul_lo_u32 v17, v12, s42
	v_mul_lo_u32 v12, v12, s43
	v_add3_u32 v7, v15, v11, v7
	v_add3_u32 v9, v16, v9, v17
	;; [unrolled: 1-line block ×3, first 2 shown]
	s_cbranch_scc1 .LBB22_62
; %bb.63:
	s_and_b32 s6, s6, 3
	s_cmp_eq_u32 s6, 0
	s_cbranch_scc0 .LBB22_67
	s_branch .LBB22_69
.LBB22_64:
	s_mov_b32 s4, -1
                                        ; implicit-def: $vgpr9
                                        ; implicit-def: $vgpr11
	s_branch .LBB22_69
.LBB22_65:
	v_mov_b32_e32 v9, 0
	v_mov_b32_e32 v11, 0
	s_branch .LBB22_69
.LBB22_66:
	v_mov_b32_e32 v9, 0
	v_mov_b32_e32 v11, 0
	;; [unrolled: 1-line block ×3, first 2 shown]
	s_mov_b32 s5, 0
	s_and_b32 s6, s6, 3
	s_cmp_eq_u32 s6, 0
	s_cbranch_scc1 .LBB22_69
.LBB22_67:
	s_lshl_b32 s0, s5, 3
	s_mul_i32 s2, s5, 12
	s_add_u32 s0, s16, s0
	s_addc_u32 s1, s17, 0
	s_add_u32 s0, s0, 0xc4
	s_addc_u32 s1, s1, 0
	;; [unrolled: 2-line block ×3, first 2 shown]
	.p2align	6
.LBB22_68:                              ; =>This Inner Loop Header: Depth=1
	s_clause 0x1
	s_load_dwordx2 s[8:9], s[2:3], 0x4
	s_load_dword s5, s[2:3], 0xc
	s_load_dwordx2 s[10:11], s[0:1], 0x0
	s_add_u32 s2, s2, 12
	s_addc_u32 s3, s3, 0
	s_add_u32 s0, s0, 8
	s_addc_u32 s1, s1, 0
	s_add_i32 s6, s6, -1
	s_cmp_lg_u32 s6, 0
	s_waitcnt lgkmcnt(0)
	v_mul_hi_u32 v7, s9, v4
	v_add_nc_u32_e32 v7, v4, v7
	v_lshrrev_b32_e32 v7, s5, v7
	v_mul_lo_u32 v10, v7, s8
	v_sub_nc_u32_e32 v4, v4, v10
	v_mad_u64_u32 v[9:10], null, v4, s10, v[9:10]
	v_mad_u64_u32 v[11:12], null, v4, s11, v[11:12]
	v_mov_b32_e32 v4, v7
	s_cbranch_scc1 .LBB22_68
.LBB22_69:
	s_andn2_b32 vcc_lo, exec_lo, s4
	s_cbranch_vccnz .LBB22_72
; %bb.70:
	s_clause 0x1
	s_load_dwordx4 s[0:3], s[16:17], 0x4
	s_load_dwordx2 s[4:5], s[16:17], 0xc4
	s_cmp_lt_u32 s26, 2
	s_waitcnt lgkmcnt(0)
	v_mul_hi_u32 v4, s1, v1
	v_add_nc_u32_e32 v4, v1, v4
	v_lshrrev_b32_e32 v4, s2, v4
	v_mul_lo_u32 v7, v4, s0
	v_sub_nc_u32_e32 v1, v1, v7
	v_mul_lo_u32 v9, v1, s4
	v_mul_lo_u32 v11, v1, s5
	s_cbranch_scc1 .LBB22_72
; %bb.71:
	s_clause 0x1
	s_load_dwordx4 s[0:3], s[16:17], 0x10
	s_load_dwordx2 s[4:5], s[16:17], 0xcc
	s_waitcnt lgkmcnt(0)
	v_mul_hi_u32 v1, s1, v4
	v_add_nc_u32_e32 v1, v4, v1
	v_lshrrev_b32_e32 v1, s2, v1
	v_mul_lo_u32 v1, v1, s0
	v_sub_nc_u32_e32 v1, v4, v1
	v_mad_u64_u32 v[9:10], null, v1, s4, v[9:10]
	v_mad_u64_u32 v[11:12], null, v1, s5, v[11:12]
.LBB22_72:
	v_cmp_ne_u32_e32 vcc_lo, 1, v22
	v_add_nc_u32_e32 v1, 0x200, v19
	s_cbranch_vccnz .LBB22_78
; %bb.73:
	s_cmp_lg_u32 s26, 0
	s_mov_b32 s4, 0
	s_cbranch_scc0 .LBB22_79
; %bb.74:
	s_min_u32 s6, s27, 15
	s_add_i32 s6, s6, 1
	s_cmp_eq_u32 s27, 2
	s_cbranch_scc1 .LBB22_80
; %bb.75:
	v_mov_b32_e32 v14, 0
	v_mov_b32_e32 v12, 0
	;; [unrolled: 1-line block ×3, first 2 shown]
	s_and_b32 s5, s6, 28
	s_add_u32 s0, s16, 0xc4
	s_addc_u32 s1, s17, 0
	s_mov_b32 s7, 0
	s_mov_b64 s[2:3], s[16:17]
.LBB22_76:                              ; =>This Inner Loop Header: Depth=1
	s_clause 0x1
	s_load_dwordx8 s[8:15], s[2:3], 0x4
	s_load_dwordx4 s[20:23], s[2:3], 0x24
	s_load_dwordx8 s[36:43], s[0:1], 0x0
	s_add_u32 s2, s2, 48
	s_addc_u32 s3, s3, 0
	s_add_i32 s7, s7, 4
	s_add_u32 s0, s0, 32
	s_addc_u32 s1, s1, 0
	s_cmp_lg_u32 s5, s7
	s_waitcnt lgkmcnt(0)
	v_mul_hi_u32 v7, s9, v4
	v_add_nc_u32_e32 v7, v4, v7
	v_lshrrev_b32_e32 v7, s10, v7
	v_mul_hi_u32 v10, s12, v7
	v_mul_lo_u32 v15, v7, s8
	v_add_nc_u32_e32 v10, v7, v10
	v_sub_nc_u32_e32 v4, v4, v15
	v_lshrrev_b32_e32 v10, s13, v10
	v_mul_lo_u32 v15, v4, s36
	v_mul_lo_u32 v17, v4, s37
	v_mul_hi_u32 v13, s15, v10
	v_add_nc_u32_e32 v13, v10, v13
	v_lshrrev_b32_e32 v13, s20, v13
	v_mul_hi_u32 v16, s22, v13
	v_mul_lo_u32 v18, v13, s14
	v_add_nc_u32_e32 v4, v13, v16
	v_mul_lo_u32 v16, v10, s11
	v_sub_nc_u32_e32 v10, v10, v18
	v_lshrrev_b32_e32 v4, s23, v4
	v_mul_lo_u32 v18, v10, s40
	v_mul_lo_u32 v10, v10, s41
	v_sub_nc_u32_e32 v7, v7, v16
	v_mul_lo_u32 v20, v4, s21
	v_mul_lo_u32 v16, v7, s38
	;; [unrolled: 1-line block ×3, first 2 shown]
	v_sub_nc_u32_e32 v13, v13, v20
	v_add3_u32 v12, v15, v12, v16
	v_mul_lo_u32 v20, v13, s42
	v_mul_lo_u32 v13, v13, s43
	v_add3_u32 v7, v17, v14, v7
	v_add3_u32 v12, v18, v12, v20
	;; [unrolled: 1-line block ×3, first 2 shown]
	s_cbranch_scc1 .LBB22_76
; %bb.77:
	s_and_b32 s6, s6, 3
	s_cmp_eq_u32 s6, 0
	s_cbranch_scc0 .LBB22_81
	s_branch .LBB22_83
.LBB22_78:
	s_mov_b32 s4, -1
                                        ; implicit-def: $vgpr12
                                        ; implicit-def: $vgpr14
	s_branch .LBB22_83
.LBB22_79:
	v_mov_b32_e32 v12, 0
	v_mov_b32_e32 v14, 0
	s_branch .LBB22_83
.LBB22_80:
	v_mov_b32_e32 v12, 0
	v_mov_b32_e32 v14, 0
	;; [unrolled: 1-line block ×3, first 2 shown]
	s_mov_b32 s5, 0
	s_and_b32 s6, s6, 3
	s_cmp_eq_u32 s6, 0
	s_cbranch_scc1 .LBB22_83
.LBB22_81:
	s_lshl_b32 s0, s5, 3
	s_mul_i32 s2, s5, 12
	s_add_u32 s0, s16, s0
	s_addc_u32 s1, s17, 0
	s_add_u32 s0, s0, 0xc4
	s_addc_u32 s1, s1, 0
	;; [unrolled: 2-line block ×3, first 2 shown]
	.p2align	6
.LBB22_82:                              ; =>This Inner Loop Header: Depth=1
	s_clause 0x1
	s_load_dwordx2 s[8:9], s[2:3], 0x4
	s_load_dword s5, s[2:3], 0xc
	s_load_dwordx2 s[10:11], s[0:1], 0x0
	s_add_u32 s2, s2, 12
	s_addc_u32 s3, s3, 0
	s_add_u32 s0, s0, 8
	s_addc_u32 s1, s1, 0
	s_add_i32 s6, s6, -1
	s_cmp_lg_u32 s6, 0
	s_waitcnt lgkmcnt(0)
	v_mul_hi_u32 v7, s9, v4
	v_add_nc_u32_e32 v7, v4, v7
	v_lshrrev_b32_e32 v7, s5, v7
	v_mul_lo_u32 v10, v7, s8
	v_sub_nc_u32_e32 v4, v4, v10
	v_mad_u64_u32 v[12:13], null, v4, s10, v[12:13]
	v_mad_u64_u32 v[14:15], null, v4, s11, v[14:15]
	v_mov_b32_e32 v4, v7
	s_cbranch_scc1 .LBB22_82
.LBB22_83:
	s_andn2_b32 vcc_lo, exec_lo, s4
	s_cbranch_vccnz .LBB22_86
; %bb.84:
	s_clause 0x1
	s_load_dwordx4 s[0:3], s[16:17], 0x4
	s_load_dwordx2 s[4:5], s[16:17], 0xc4
	s_cmp_lt_u32 s26, 2
	s_waitcnt lgkmcnt(0)
	v_mul_hi_u32 v4, s1, v1
	v_add_nc_u32_e32 v4, v1, v4
	v_lshrrev_b32_e32 v4, s2, v4
	v_mul_lo_u32 v7, v4, s0
	v_sub_nc_u32_e32 v1, v1, v7
	v_mul_lo_u32 v12, v1, s4
	v_mul_lo_u32 v14, v1, s5
	s_cbranch_scc1 .LBB22_86
; %bb.85:
	s_clause 0x1
	s_load_dwordx4 s[0:3], s[16:17], 0x10
	s_load_dwordx2 s[4:5], s[16:17], 0xcc
	s_waitcnt lgkmcnt(0)
	v_mul_hi_u32 v1, s1, v4
	v_add_nc_u32_e32 v1, v4, v1
	v_lshrrev_b32_e32 v1, s2, v1
	v_mul_lo_u32 v1, v1, s0
	v_sub_nc_u32_e32 v1, v4, v1
	v_mad_u64_u32 v[12:13], null, v1, s4, v[12:13]
	v_mad_u64_u32 v[14:15], null, v1, s5, v[14:15]
.LBB22_86:
	v_cmp_ne_u32_e32 vcc_lo, 1, v22
	v_add_nc_u32_e32 v1, 0x280, v19
	s_cbranch_vccnz .LBB22_92
; %bb.87:
	s_cmp_lg_u32 s26, 0
	s_mov_b32 s4, 0
	s_cbranch_scc0 .LBB22_93
; %bb.88:
	s_min_u32 s6, s27, 15
	s_add_i32 s6, s6, 1
	s_cmp_eq_u32 s27, 2
	s_cbranch_scc1 .LBB22_94
; %bb.89:
	v_mov_b32_e32 v17, 0
	v_mov_b32_e32 v15, 0
	;; [unrolled: 1-line block ×3, first 2 shown]
	s_and_b32 s5, s6, 28
	s_add_u32 s0, s16, 0xc4
	s_addc_u32 s1, s17, 0
	s_mov_b32 s7, 0
	s_mov_b64 s[2:3], s[16:17]
.LBB22_90:                              ; =>This Inner Loop Header: Depth=1
	s_clause 0x1
	s_load_dwordx8 s[8:15], s[2:3], 0x4
	s_load_dwordx4 s[20:23], s[2:3], 0x24
	s_load_dwordx8 s[36:43], s[0:1], 0x0
	s_add_u32 s2, s2, 48
	s_addc_u32 s3, s3, 0
	s_add_i32 s7, s7, 4
	s_add_u32 s0, s0, 32
	s_addc_u32 s1, s1, 0
	s_cmp_lg_u32 s5, s7
	s_waitcnt lgkmcnt(0)
	v_mul_hi_u32 v7, s9, v4
	v_add_nc_u32_e32 v7, v4, v7
	v_lshrrev_b32_e32 v7, s10, v7
	v_mul_hi_u32 v10, s12, v7
	v_mul_lo_u32 v16, v7, s8
	v_add_nc_u32_e32 v10, v7, v10
	v_sub_nc_u32_e32 v4, v4, v16
	v_lshrrev_b32_e32 v10, s13, v10
	v_mul_lo_u32 v16, v4, s36
	v_mul_lo_u32 v20, v4, s37
	v_mul_hi_u32 v13, s15, v10
	v_add_nc_u32_e32 v13, v10, v13
	v_lshrrev_b32_e32 v13, s20, v13
	v_mul_hi_u32 v18, s22, v13
	v_mul_lo_u32 v21, v13, s14
	v_add_nc_u32_e32 v4, v13, v18
	v_mul_lo_u32 v18, v10, s11
	v_sub_nc_u32_e32 v10, v10, v21
	v_lshrrev_b32_e32 v4, s23, v4
	v_mul_lo_u32 v21, v10, s40
	v_mul_lo_u32 v10, v10, s41
	v_sub_nc_u32_e32 v7, v7, v18
	v_mul_lo_u32 v23, v4, s21
	v_mul_lo_u32 v18, v7, s38
	;; [unrolled: 1-line block ×3, first 2 shown]
	v_sub_nc_u32_e32 v13, v13, v23
	v_add3_u32 v15, v16, v15, v18
	v_mul_lo_u32 v23, v13, s42
	v_mul_lo_u32 v13, v13, s43
	v_add3_u32 v7, v20, v17, v7
	v_add3_u32 v15, v21, v15, v23
	;; [unrolled: 1-line block ×3, first 2 shown]
	s_cbranch_scc1 .LBB22_90
; %bb.91:
	s_and_b32 s6, s6, 3
	s_cmp_eq_u32 s6, 0
	s_cbranch_scc0 .LBB22_95
	s_branch .LBB22_97
.LBB22_92:
	s_mov_b32 s4, -1
                                        ; implicit-def: $vgpr15
                                        ; implicit-def: $vgpr17
	s_branch .LBB22_97
.LBB22_93:
	v_mov_b32_e32 v15, 0
	v_mov_b32_e32 v17, 0
	s_branch .LBB22_97
.LBB22_94:
	v_mov_b32_e32 v15, 0
	v_mov_b32_e32 v17, 0
	;; [unrolled: 1-line block ×3, first 2 shown]
	s_mov_b32 s5, 0
	s_and_b32 s6, s6, 3
	s_cmp_eq_u32 s6, 0
	s_cbranch_scc1 .LBB22_97
.LBB22_95:
	s_lshl_b32 s0, s5, 3
	s_mul_i32 s2, s5, 12
	s_add_u32 s0, s16, s0
	s_addc_u32 s1, s17, 0
	s_add_u32 s0, s0, 0xc4
	s_addc_u32 s1, s1, 0
	;; [unrolled: 2-line block ×3, first 2 shown]
	.p2align	6
.LBB22_96:                              ; =>This Inner Loop Header: Depth=1
	s_clause 0x1
	s_load_dwordx2 s[8:9], s[2:3], 0x4
	s_load_dword s5, s[2:3], 0xc
	s_load_dwordx2 s[10:11], s[0:1], 0x0
	s_add_u32 s2, s2, 12
	s_addc_u32 s3, s3, 0
	s_add_u32 s0, s0, 8
	s_addc_u32 s1, s1, 0
	s_add_i32 s6, s6, -1
	s_cmp_lg_u32 s6, 0
	s_waitcnt lgkmcnt(0)
	v_mul_hi_u32 v7, s9, v4
	v_add_nc_u32_e32 v7, v4, v7
	v_lshrrev_b32_e32 v7, s5, v7
	v_mul_lo_u32 v10, v7, s8
	v_sub_nc_u32_e32 v4, v4, v10
	v_mad_u64_u32 v[15:16], null, v4, s10, v[15:16]
	v_mad_u64_u32 v[17:18], null, v4, s11, v[17:18]
	v_mov_b32_e32 v4, v7
	s_cbranch_scc1 .LBB22_96
.LBB22_97:
	s_andn2_b32 vcc_lo, exec_lo, s4
	s_cbranch_vccnz .LBB22_100
; %bb.98:
	s_clause 0x1
	s_load_dwordx4 s[0:3], s[16:17], 0x4
	s_load_dwordx2 s[4:5], s[16:17], 0xc4
	s_cmp_lt_u32 s26, 2
	s_waitcnt lgkmcnt(0)
	v_mul_hi_u32 v4, s1, v1
	v_add_nc_u32_e32 v4, v1, v4
	v_lshrrev_b32_e32 v4, s2, v4
	v_mul_lo_u32 v7, v4, s0
	v_sub_nc_u32_e32 v1, v1, v7
	v_mul_lo_u32 v15, v1, s4
	v_mul_lo_u32 v17, v1, s5
	s_cbranch_scc1 .LBB22_100
; %bb.99:
	s_clause 0x1
	s_load_dwordx4 s[0:3], s[16:17], 0x10
	s_load_dwordx2 s[4:5], s[16:17], 0xcc
	s_waitcnt lgkmcnt(0)
	v_mul_hi_u32 v1, s1, v4
	v_add_nc_u32_e32 v1, v4, v1
	v_lshrrev_b32_e32 v1, s2, v1
	v_mul_lo_u32 v1, v1, s0
	v_sub_nc_u32_e32 v1, v4, v1
	v_mad_u64_u32 v[15:16], null, v1, s4, v[15:16]
	v_mad_u64_u32 v[17:18], null, v1, s5, v[17:18]
.LBB22_100:
	v_cmp_ne_u32_e32 vcc_lo, 1, v22
	v_add_nc_u32_e32 v1, 0x300, v19
	s_cbranch_vccnz .LBB22_106
; %bb.101:
	s_cmp_lg_u32 s26, 0
	s_mov_b32 s4, 0
	s_cbranch_scc0 .LBB22_107
; %bb.102:
	s_min_u32 s6, s27, 15
	s_add_i32 s6, s6, 1
	s_cmp_eq_u32 s27, 2
	s_cbranch_scc1 .LBB22_108
; %bb.103:
	v_mov_b32_e32 v20, 0
	v_mov_b32_e32 v18, 0
	;; [unrolled: 1-line block ×3, first 2 shown]
	s_and_b32 s5, s6, 28
	s_add_u32 s0, s16, 0xc4
	s_addc_u32 s1, s17, 0
	s_mov_b32 s7, 0
	s_mov_b64 s[2:3], s[16:17]
.LBB22_104:                             ; =>This Inner Loop Header: Depth=1
	s_clause 0x1
	s_load_dwordx8 s[8:15], s[2:3], 0x4
	s_load_dwordx4 s[20:23], s[2:3], 0x24
	s_load_dwordx8 s[36:43], s[0:1], 0x0
	s_add_u32 s2, s2, 48
	s_addc_u32 s3, s3, 0
	s_add_i32 s7, s7, 4
	s_add_u32 s0, s0, 32
	s_addc_u32 s1, s1, 0
	s_cmp_lg_u32 s5, s7
	s_waitcnt lgkmcnt(0)
	v_mul_hi_u32 v7, s9, v4
	v_add_nc_u32_e32 v7, v4, v7
	v_lshrrev_b32_e32 v7, s10, v7
	v_mul_hi_u32 v10, s12, v7
	v_mul_lo_u32 v16, v7, s8
	v_add_nc_u32_e32 v10, v7, v10
	v_sub_nc_u32_e32 v4, v4, v16
	v_lshrrev_b32_e32 v10, s13, v10
	v_mul_lo_u32 v16, v4, s36
	v_mul_lo_u32 v21, v4, s37
	v_mul_hi_u32 v13, s15, v10
	v_add_nc_u32_e32 v13, v10, v13
	v_lshrrev_b32_e32 v13, s20, v13
	v_mul_hi_u32 v19, s22, v13
	v_mul_lo_u32 v23, v13, s14
	v_add_nc_u32_e32 v4, v13, v19
	v_mul_lo_u32 v19, v10, s11
	v_sub_nc_u32_e32 v10, v10, v23
	v_lshrrev_b32_e32 v4, s23, v4
	v_mul_lo_u32 v23, v10, s40
	v_mul_lo_u32 v10, v10, s41
	v_sub_nc_u32_e32 v7, v7, v19
	v_mul_lo_u32 v24, v4, s21
	v_mul_lo_u32 v19, v7, s38
	;; [unrolled: 1-line block ×3, first 2 shown]
	v_sub_nc_u32_e32 v13, v13, v24
	v_add3_u32 v16, v16, v18, v19
	v_mul_lo_u32 v24, v13, s42
	v_mul_lo_u32 v13, v13, s43
	v_add3_u32 v7, v21, v20, v7
	v_add3_u32 v18, v23, v16, v24
	v_add3_u32 v20, v10, v7, v13
	s_cbranch_scc1 .LBB22_104
; %bb.105:
	s_and_b32 s6, s6, 3
	s_cmp_eq_u32 s6, 0
	s_cbranch_scc0 .LBB22_109
	s_branch .LBB22_111
.LBB22_106:
	s_mov_b32 s4, -1
                                        ; implicit-def: $vgpr18
                                        ; implicit-def: $vgpr20
	s_branch .LBB22_111
.LBB22_107:
	v_mov_b32_e32 v18, 0
	v_mov_b32_e32 v20, 0
	s_branch .LBB22_111
.LBB22_108:
	v_mov_b32_e32 v18, 0
	v_mov_b32_e32 v20, 0
	v_mov_b32_e32 v4, v1
	s_mov_b32 s5, 0
	s_and_b32 s6, s6, 3
	s_cmp_eq_u32 s6, 0
	s_cbranch_scc1 .LBB22_111
.LBB22_109:
	s_lshl_b32 s0, s5, 3
	s_mul_i32 s2, s5, 12
	s_add_u32 s0, s16, s0
	s_addc_u32 s1, s17, 0
	s_add_u32 s0, s0, 0xc4
	s_addc_u32 s1, s1, 0
	;; [unrolled: 2-line block ×3, first 2 shown]
	.p2align	6
.LBB22_110:                             ; =>This Inner Loop Header: Depth=1
	s_clause 0x1
	s_load_dwordx2 s[8:9], s[2:3], 0x4
	s_load_dword s5, s[2:3], 0xc
	s_load_dwordx2 s[10:11], s[0:1], 0x0
	s_add_u32 s2, s2, 12
	s_addc_u32 s3, s3, 0
	s_add_u32 s0, s0, 8
	s_addc_u32 s1, s1, 0
	s_add_i32 s6, s6, -1
	s_cmp_lg_u32 s6, 0
	s_waitcnt lgkmcnt(0)
	v_mul_hi_u32 v7, s9, v4
	v_add_nc_u32_e32 v7, v4, v7
	v_lshrrev_b32_e32 v7, s5, v7
	v_mul_lo_u32 v10, v7, s8
	v_sub_nc_u32_e32 v4, v4, v10
	v_mad_u64_u32 v[18:19], null, v4, s10, v[18:19]
	v_mad_u64_u32 v[20:21], null, v4, s11, v[20:21]
	v_mov_b32_e32 v4, v7
	s_cbranch_scc1 .LBB22_110
.LBB22_111:
	s_andn2_b32 vcc_lo, exec_lo, s4
	s_cbranch_vccnz .LBB22_114
; %bb.112:
	s_clause 0x1
	s_load_dwordx4 s[0:3], s[16:17], 0x4
	s_load_dwordx2 s[4:5], s[16:17], 0xc4
	s_cmp_lt_u32 s26, 2
	s_waitcnt lgkmcnt(0)
	v_mul_hi_u32 v4, s1, v1
	v_add_nc_u32_e32 v4, v1, v4
	v_lshrrev_b32_e32 v4, s2, v4
	v_mul_lo_u32 v7, v4, s0
	v_sub_nc_u32_e32 v1, v1, v7
	v_mul_lo_u32 v18, v1, s4
	v_mul_lo_u32 v20, v1, s5
	s_cbranch_scc1 .LBB22_114
; %bb.113:
	s_clause 0x1
	s_load_dwordx4 s[0:3], s[16:17], 0x10
	s_load_dwordx2 s[4:5], s[16:17], 0xcc
	s_waitcnt lgkmcnt(0)
	v_mul_hi_u32 v1, s1, v4
	v_add_nc_u32_e32 v1, v4, v1
	v_lshrrev_b32_e32 v1, s2, v1
	v_mul_lo_u32 v1, v1, s0
	v_sub_nc_u32_e32 v1, v4, v1
	v_mad_u64_u32 v[18:19], null, v1, s4, v[18:19]
	v_mad_u64_u32 v[20:21], null, v1, s5, v[20:21]
.LBB22_114:
	v_cmp_ne_u32_e32 vcc_lo, 1, v22
	s_cbranch_vccnz .LBB22_120
; %bb.115:
	s_cmp_lg_u32 s26, 0
	s_mov_b32 s4, 0
	s_cbranch_scc0 .LBB22_121
; %bb.116:
	s_min_u32 s6, s27, 15
	s_add_i32 s6, s6, 1
	s_cmp_eq_u32 s27, 2
	s_cbranch_scc1 .LBB22_122
; %bb.117:
	v_mov_b32_e32 v23, 0
	v_mov_b32_e32 v21, 0
	;; [unrolled: 1-line block ×3, first 2 shown]
	s_and_b32 s5, s6, 28
	s_add_u32 s0, s16, 0xc4
	s_addc_u32 s1, s17, 0
	s_mov_b32 s7, 0
	s_mov_b64 s[2:3], s[16:17]
.LBB22_118:                             ; =>This Inner Loop Header: Depth=1
	s_clause 0x1
	s_load_dwordx8 s[8:15], s[2:3], 0x4
	s_load_dwordx4 s[20:23], s[2:3], 0x24
	s_load_dwordx8 s[36:43], s[0:1], 0x0
	s_add_u32 s2, s2, 48
	s_addc_u32 s3, s3, 0
	s_add_i32 s7, s7, 4
	s_add_u32 s0, s0, 32
	s_addc_u32 s1, s1, 0
	s_cmp_lg_u32 s5, s7
	s_waitcnt lgkmcnt(0)
	v_mul_hi_u32 v4, s9, v1
	v_add_nc_u32_e32 v4, v1, v4
	v_lshrrev_b32_e32 v4, s10, v4
	v_mul_hi_u32 v7, s12, v4
	v_mul_lo_u32 v13, v4, s8
	v_add_nc_u32_e32 v7, v4, v7
	v_sub_nc_u32_e32 v1, v1, v13
	v_lshrrev_b32_e32 v7, s13, v7
	v_mul_lo_u32 v13, v1, s36
	v_mul_lo_u32 v19, v1, s37
	v_mul_hi_u32 v10, s15, v7
	v_add_nc_u32_e32 v10, v7, v10
	v_lshrrev_b32_e32 v10, s20, v10
	v_mul_hi_u32 v16, s22, v10
	v_mul_lo_u32 v22, v10, s14
	v_add_nc_u32_e32 v1, v10, v16
	v_mul_lo_u32 v16, v7, s11
	v_sub_nc_u32_e32 v7, v7, v22
	v_lshrrev_b32_e32 v1, s23, v1
	v_mul_lo_u32 v22, v7, s40
	v_mul_lo_u32 v7, v7, s41
	v_sub_nc_u32_e32 v4, v4, v16
	v_mul_lo_u32 v24, v1, s21
	v_mul_lo_u32 v16, v4, s38
	;; [unrolled: 1-line block ×3, first 2 shown]
	v_sub_nc_u32_e32 v10, v10, v24
	v_add3_u32 v13, v13, v21, v16
	v_mul_lo_u32 v24, v10, s42
	v_mul_lo_u32 v10, v10, s43
	v_add3_u32 v4, v19, v23, v4
	v_add3_u32 v21, v22, v13, v24
	;; [unrolled: 1-line block ×3, first 2 shown]
	s_cbranch_scc1 .LBB22_118
; %bb.119:
	s_and_b32 s6, s6, 3
	s_cmp_eq_u32 s6, 0
	s_cbranch_scc0 .LBB22_123
	s_branch .LBB22_125
.LBB22_120:
	s_mov_b32 s4, -1
                                        ; implicit-def: $vgpr21
                                        ; implicit-def: $vgpr23
	s_branch .LBB22_125
.LBB22_121:
	v_mov_b32_e32 v21, 0
	v_mov_b32_e32 v23, 0
	s_branch .LBB22_125
.LBB22_122:
	v_mov_b32_e32 v21, 0
	v_mov_b32_e32 v23, 0
	;; [unrolled: 1-line block ×3, first 2 shown]
	s_mov_b32 s5, 0
	s_and_b32 s6, s6, 3
	s_cmp_eq_u32 s6, 0
	s_cbranch_scc1 .LBB22_125
.LBB22_123:
	s_lshl_b32 s0, s5, 3
	s_mul_i32 s2, s5, 12
	s_add_u32 s0, s16, s0
	s_addc_u32 s1, s17, 0
	s_add_u32 s0, s0, 0xc4
	s_addc_u32 s1, s1, 0
	;; [unrolled: 2-line block ×3, first 2 shown]
	.p2align	6
.LBB22_124:                             ; =>This Inner Loop Header: Depth=1
	s_clause 0x1
	s_load_dwordx2 s[8:9], s[2:3], 0x4
	s_load_dword s5, s[2:3], 0xc
	s_load_dwordx2 s[10:11], s[0:1], 0x0
	s_add_u32 s2, s2, 12
	s_addc_u32 s3, s3, 0
	s_add_u32 s0, s0, 8
	s_addc_u32 s1, s1, 0
	s_add_i32 s6, s6, -1
	s_cmp_lg_u32 s6, 0
	s_waitcnt lgkmcnt(0)
	v_mul_hi_u32 v4, s9, v1
	v_add_nc_u32_e32 v4, v1, v4
	v_lshrrev_b32_e32 v4, s5, v4
	v_mul_lo_u32 v7, v4, s8
	v_sub_nc_u32_e32 v1, v1, v7
	v_mad_u64_u32 v[21:22], null, v1, s10, v[21:22]
	v_mad_u64_u32 v[23:24], null, v1, s11, v[23:24]
	v_mov_b32_e32 v1, v4
	s_cbranch_scc1 .LBB22_124
.LBB22_125:
	s_andn2_b32 vcc_lo, exec_lo, s4
	s_cbranch_vccnz .LBB22_128
; %bb.126:
	s_clause 0x1
	s_load_dwordx4 s[0:3], s[16:17], 0x4
	s_load_dwordx2 s[4:5], s[16:17], 0xc4
	s_cmp_lt_u32 s26, 2
	s_waitcnt lgkmcnt(0)
	v_mul_hi_u32 v1, s1, v25
	v_add_nc_u32_e32 v1, v25, v1
	v_lshrrev_b32_e32 v1, s2, v1
	v_mul_lo_u32 v4, v1, s0
	v_sub_nc_u32_e32 v4, v25, v4
	v_mul_lo_u32 v21, v4, s4
	v_mul_lo_u32 v23, v4, s5
	s_cbranch_scc1 .LBB22_128
; %bb.127:
	s_clause 0x1
	s_load_dwordx4 s[0:3], s[16:17], 0x10
	s_load_dwordx2 s[4:5], s[16:17], 0xcc
	s_waitcnt lgkmcnt(0)
	v_mul_hi_u32 v4, s1, v1
	v_add_nc_u32_e32 v4, v1, v4
	v_lshrrev_b32_e32 v4, s2, v4
	v_mul_lo_u32 v4, v4, s0
	v_sub_nc_u32_e32 v1, v1, v4
	v_mad_u64_u32 v[21:22], null, v1, s4, v[21:22]
	v_mad_u64_u32 v[23:24], null, v1, s5, v[23:24]
.LBB22_128:
	s_clause 0x1
	s_load_dwordx4 s[0:3], s[16:17], 0x148
	s_load_dwordx2 s[4:5], s[16:17], 0x160
	s_mov_b32 s6, exec_lo
	s_waitcnt lgkmcnt(0)
	global_load_ushort v1, v2, s[2:3]
	s_waitcnt vmcnt(0)
	v_cvt_f32_f16_e32 v2, v1
	v_cmpx_nlg_f32_e64 0x7f800000, |v2|
	s_cbranch_execz .LBB22_130
; %bb.129:
	s_load_dwordx2 s[8:9], s[16:17], 0x158
	v_mov_b32_e32 v4, 0
	v_mov_b32_e32 v7, 1.0
	s_waitcnt lgkmcnt(0)
	global_store_dword v4, v7, s[8:9]
.LBB22_130:
	s_or_b32 exec_lo, exec_lo, s6
	v_mov_b32_e32 v13, 0
	global_load_ushort v5, v5, s[2:3]
	s_mov_b32 s6, exec_lo
	global_load_dword v4, v13, s[4:5]
	s_waitcnt vmcnt(1)
	v_cvt_f32_f16_e32 v10, v5
	s_waitcnt vmcnt(0)
	v_mov_b32_e32 v7, v4
	v_cmpx_nlg_f32_e64 0x7f800000, |v10|
	s_cbranch_execz .LBB22_132
; %bb.131:
	s_load_dwordx2 s[8:9], s[16:17], 0x158
	v_mov_b32_e32 v7, 1.0
	s_waitcnt lgkmcnt(0)
	global_store_dword v13, v7, s[8:9]
	global_load_dword v7, v13, s[4:5]
.LBB22_132:
	s_or_b32 exec_lo, exec_lo, s6
	global_load_ushort v8, v8, s[2:3]
	s_waitcnt vmcnt(1)
	v_mov_b32_e32 v13, v7
	s_mov_b32 s6, exec_lo
	s_waitcnt vmcnt(0)
	v_cvt_f32_f16_e32 v16, v8
	v_cmpx_nlg_f32_e64 0x7f800000, |v16|
	s_cbranch_execz .LBB22_134
; %bb.133:
	s_load_dwordx2 s[8:9], s[16:17], 0x158
	v_mov_b32_e32 v13, 0
	v_mov_b32_e32 v19, 1.0
	s_waitcnt lgkmcnt(0)
	global_store_dword v13, v19, s[8:9]
	global_load_dword v13, v13, s[4:5]
.LBB22_134:
	s_or_b32 exec_lo, exec_lo, s6
	global_load_ushort v11, v11, s[2:3]
	s_waitcnt vmcnt(1)
	v_mov_b32_e32 v19, v13
	s_mov_b32 s6, exec_lo
	s_waitcnt vmcnt(0)
	v_cvt_f32_f16_e32 v22, v11
	v_cmpx_nlg_f32_e64 0x7f800000, |v22|
	s_cbranch_execz .LBB22_136
; %bb.135:
	s_load_dwordx2 s[8:9], s[16:17], 0x158
	v_mov_b32_e32 v19, 0
	v_mov_b32_e32 v24, 1.0
	s_waitcnt lgkmcnt(0)
	global_store_dword v19, v24, s[8:9]
	global_load_dword v19, v19, s[4:5]
.LBB22_136:
	;; [unrolled: 17-line block ×6, first 2 shown]
	s_or_b32 exec_lo, exec_lo, s2
	v_fma_mixlo_f16 v30, v31, v30, 0
	v_cmp_eq_f32_e32 vcc_lo, 1.0, v31
	v_fma_mixlo_f16 v26, v27, v26, 0
	v_fma_mixlo_f16 v24, v25, v24, 0
	;; [unrolled: 1-line block ×4, first 2 shown]
	v_cndmask_b32_e32 v29, v30, v29, vcc_lo
	v_cmp_eq_f32_e32 vcc_lo, 1.0, v27
	v_fma_mixlo_f16 v2, v4, v2, 0
	v_fma_mixlo_f16 v16, v13, v16, 0
	v_cndmask_b32_e32 v17, v26, v17, vcc_lo
	v_cmp_eq_f32_e32 vcc_lo, 1.0, v25
	v_cndmask_b32_e32 v14, v24, v14, vcc_lo
	v_cmp_eq_f32_e32 vcc_lo, 1.0, v19
	;; [unrolled: 2-line block ×3, first 2 shown]
	s_waitcnt vmcnt(0)
	v_fma_mixlo_f16 v7, v28, v23, 0
	v_cndmask_b32_e32 v5, v10, v5, vcc_lo
	v_cmp_eq_f32_e32 vcc_lo, 1.0, v4
	v_cndmask_b32_e32 v1, v2, v1, vcc_lo
	v_cmp_eq_f32_e32 vcc_lo, 1.0, v13
	;; [unrolled: 2-line block ×3, first 2 shown]
	v_cndmask_b32_e32 v4, v7, v20, vcc_lo
	global_store_short v0, v1, s[0:1]
	global_store_short v3, v5, s[0:1]
	;; [unrolled: 1-line block ×8, first 2 shown]
	s_endpgm
.LBB22_145:
	v_mov_b32_e32 v0, 0
	v_mov_b32_e32 v2, 0
	s_branch .LBB22_151
.LBB22_146:
	v_mov_b32_e32 v0, 0
	v_mov_b32_e32 v2, 0
	s_branch .LBB22_169
.LBB22_147:
	v_mov_b32_e32 v0, 0
	v_mov_b32_e32 v2, 0
	;; [unrolled: 1-line block ×3, first 2 shown]
	s_mov_b32 s36, 0
.LBB22_148:
	s_and_b32 s37, s37, 3
	s_cmp_eq_u32 s37, 0
	s_cbranch_scc1 .LBB22_151
; %bb.149:
	s_lshl_b32 s22, s36, 3
	s_mul_i32 s24, s36, 12
	s_add_u32 s22, s16, s22
	s_addc_u32 s23, s17, 0
	s_add_u32 s22, s22, 0xc4
	s_addc_u32 s23, s23, 0
	;; [unrolled: 2-line block ×3, first 2 shown]
	.p2align	6
.LBB22_150:                             ; =>This Inner Loop Header: Depth=1
	s_clause 0x1
	s_load_dwordx2 s[38:39], s[24:25], 0x4
	s_load_dword s36, s[24:25], 0xc
	s_load_dwordx2 s[40:41], s[22:23], 0x0
	s_add_u32 s24, s24, 12
	s_addc_u32 s25, s25, 0
	s_add_u32 s22, s22, 8
	s_addc_u32 s23, s23, 0
	s_add_i32 s37, s37, -1
	s_cmp_lg_u32 s37, 0
	s_waitcnt lgkmcnt(0)
	v_mul_hi_u32 v3, s39, v1
	v_add_nc_u32_e32 v3, v1, v3
	v_lshrrev_b32_e32 v4, s36, v3
	v_mul_lo_u32 v3, v4, s38
	v_sub_nc_u32_e32 v3, v1, v3
	v_mad_u64_u32 v[0:1], null, v3, s40, v[0:1]
	v_mad_u64_u32 v[2:3], null, v3, s41, v[2:3]
	v_mov_b32_e32 v1, v4
	s_cbranch_scc1 .LBB22_150
.LBB22_151:
	s_cbranch_execnz .LBB22_154
.LBB22_152:
	s_waitcnt lgkmcnt(0)
	v_mul_hi_u32 v0, s13, v19
	s_andn2_b32 vcc_lo, exec_lo, s30
	v_add_nc_u32_e32 v0, v19, v0
	v_lshrrev_b32_e32 v1, s14, v0
	v_mul_lo_u32 v0, v1, s12
	v_sub_nc_u32_e32 v2, v19, v0
	v_mul_lo_u32 v0, v2, s8
	v_mul_lo_u32 v2, v2, s9
	s_cbranch_vccnz .LBB22_154
; %bb.153:
	v_mul_hi_u32 v3, s18, v1
	v_add_nc_u32_e32 v3, v1, v3
	v_lshrrev_b32_e32 v3, s19, v3
	v_mul_lo_u32 v3, v3, s15
	v_sub_nc_u32_e32 v3, v1, v3
	v_mad_u64_u32 v[0:1], null, v3, s10, v[0:1]
	v_mad_u64_u32 v[2:3], null, v3, s11, v[2:3]
.LBB22_154:
	s_waitcnt lgkmcnt(0)
	global_load_ushort v1, v2, s[2:3]
	s_mov_b32 s22, exec_lo
	s_waitcnt vmcnt(0)
	v_cvt_f32_f16_e32 v2, v1
	v_cmpx_nlg_f32_e64 0x7f800000, |v2|
	s_cbranch_execz .LBB22_156
; %bb.155:
	v_mov_b32_e32 v3, 0
	v_mov_b32_e32 v4, 1.0
	global_store_dword v3, v4, s[4:5]
.LBB22_156:
	s_or_b32 exec_lo, exec_lo, s22
	v_mov_b32_e32 v3, 0
	v_add_nc_u32_e32 v19, 0x80, v19
	global_load_dword v3, v3, s[6:7]
	s_waitcnt vmcnt(0)
	v_fma_mixlo_f16 v2, v3, v2, 0
	v_cmp_eq_f32_e32 vcc_lo, 1.0, v3
	v_cndmask_b32_e32 v1, v2, v1, vcc_lo
	global_store_short v0, v1, s[0:1]
	s_or_b32 exec_lo, exec_lo, s35
	s_mov_b32 s35, exec_lo
	v_cmpx_gt_i32_e64 s31, v19
	s_cbranch_execnz .LBB22_15
.LBB22_157:
	s_or_b32 exec_lo, exec_lo, s35
	s_mov_b32 s35, exec_lo
	v_cmpx_gt_i32_e64 s31, v19
	s_cbranch_execz .LBB22_175
.LBB22_158:
	s_andn2_b32 vcc_lo, exec_lo, s28
	s_cbranch_vccnz .LBB22_163
; %bb.159:
	s_andn2_b32 vcc_lo, exec_lo, s34
	s_cbranch_vccnz .LBB22_164
; %bb.160:
	s_add_i32 s37, s33, 1
	s_cmp_eq_u32 s27, 2
	s_cbranch_scc1 .LBB22_183
; %bb.161:
	v_mov_b32_e32 v2, 0
	v_mov_b32_e32 v0, 0
	v_mov_b32_e32 v1, v19
	s_and_b32 s36, s37, 28
	s_mov_b32 s38, 0
	s_mov_b64 s[22:23], s[16:17]
	s_mov_b64 s[24:25], s[20:21]
.LBB22_162:                             ; =>This Inner Loop Header: Depth=1
	s_clause 0x1
	s_load_dwordx8 s[40:47], s[22:23], 0x4
	s_load_dwordx4 s[56:59], s[22:23], 0x24
	s_load_dwordx8 s[48:55], s[24:25], 0x0
	s_add_u32 s22, s22, 48
	s_addc_u32 s23, s23, 0
	s_add_i32 s38, s38, 4
	s_add_u32 s24, s24, 32
	s_addc_u32 s25, s25, 0
	s_cmp_eq_u32 s36, s38
	s_waitcnt lgkmcnt(0)
	v_mul_hi_u32 v3, s41, v1
	v_add_nc_u32_e32 v3, v1, v3
	v_lshrrev_b32_e32 v3, s42, v3
	v_mul_hi_u32 v4, s44, v3
	v_mul_lo_u32 v6, v3, s40
	v_add_nc_u32_e32 v4, v3, v4
	v_sub_nc_u32_e32 v1, v1, v6
	v_lshrrev_b32_e32 v4, s45, v4
	v_mul_lo_u32 v6, v1, s48
	v_mul_lo_u32 v8, v1, s49
	v_mul_hi_u32 v5, s47, v4
	v_add_nc_u32_e32 v5, v4, v5
	v_lshrrev_b32_e32 v5, s56, v5
	v_mul_hi_u32 v7, s58, v5
	v_mul_lo_u32 v9, v5, s46
	v_add_nc_u32_e32 v1, v5, v7
	v_mul_lo_u32 v7, v4, s43
	v_sub_nc_u32_e32 v4, v4, v9
	v_lshrrev_b32_e32 v1, s59, v1
	v_mul_lo_u32 v9, v4, s52
	v_mul_lo_u32 v4, v4, s53
	v_sub_nc_u32_e32 v3, v3, v7
	v_mul_lo_u32 v10, v1, s57
	v_mul_lo_u32 v7, v3, s50
	;; [unrolled: 1-line block ×3, first 2 shown]
	v_sub_nc_u32_e32 v5, v5, v10
	v_add3_u32 v0, v6, v0, v7
	v_mul_lo_u32 v10, v5, s54
	v_mul_lo_u32 v5, v5, s55
	v_add3_u32 v2, v8, v2, v3
	v_add3_u32 v0, v9, v0, v10
	;; [unrolled: 1-line block ×3, first 2 shown]
	s_cbranch_scc0 .LBB22_162
	s_branch .LBB22_184
.LBB22_163:
                                        ; implicit-def: $vgpr0
                                        ; implicit-def: $vgpr2
	s_branch .LBB22_188
.LBB22_164:
	v_mov_b32_e32 v0, 0
	v_mov_b32_e32 v2, 0
	s_branch .LBB22_187
.LBB22_165:
	v_mov_b32_e32 v0, 0
	v_mov_b32_e32 v2, 0
	;; [unrolled: 1-line block ×3, first 2 shown]
	s_mov_b32 s36, 0
.LBB22_166:
	s_and_b32 s37, s37, 3
	s_cmp_eq_u32 s37, 0
	s_cbranch_scc1 .LBB22_169
; %bb.167:
	s_lshl_b32 s22, s36, 3
	s_mul_i32 s24, s36, 12
	s_add_u32 s22, s16, s22
	s_addc_u32 s23, s17, 0
	s_add_u32 s22, s22, 0xc4
	s_addc_u32 s23, s23, 0
	;; [unrolled: 2-line block ×3, first 2 shown]
	.p2align	6
.LBB22_168:                             ; =>This Inner Loop Header: Depth=1
	s_clause 0x1
	s_load_dwordx2 s[38:39], s[24:25], 0x4
	s_load_dword s36, s[24:25], 0xc
	s_load_dwordx2 s[40:41], s[22:23], 0x0
	s_add_u32 s24, s24, 12
	s_addc_u32 s25, s25, 0
	s_add_u32 s22, s22, 8
	s_addc_u32 s23, s23, 0
	s_add_i32 s37, s37, -1
	s_cmp_lg_u32 s37, 0
	s_waitcnt lgkmcnt(0)
	v_mul_hi_u32 v3, s39, v1
	v_add_nc_u32_e32 v3, v1, v3
	v_lshrrev_b32_e32 v4, s36, v3
	v_mul_lo_u32 v3, v4, s38
	v_sub_nc_u32_e32 v3, v1, v3
	v_mad_u64_u32 v[0:1], null, v3, s40, v[0:1]
	v_mad_u64_u32 v[2:3], null, v3, s41, v[2:3]
	v_mov_b32_e32 v1, v4
	s_cbranch_scc1 .LBB22_168
.LBB22_169:
	s_cbranch_execnz .LBB22_172
.LBB22_170:
	s_waitcnt lgkmcnt(0)
	v_mul_hi_u32 v0, s13, v19
	s_andn2_b32 vcc_lo, exec_lo, s30
	v_add_nc_u32_e32 v0, v19, v0
	v_lshrrev_b32_e32 v1, s14, v0
	v_mul_lo_u32 v0, v1, s12
	v_sub_nc_u32_e32 v2, v19, v0
	v_mul_lo_u32 v0, v2, s8
	v_mul_lo_u32 v2, v2, s9
	s_cbranch_vccnz .LBB22_172
; %bb.171:
	v_mul_hi_u32 v3, s18, v1
	v_add_nc_u32_e32 v3, v1, v3
	v_lshrrev_b32_e32 v3, s19, v3
	v_mul_lo_u32 v3, v3, s15
	v_sub_nc_u32_e32 v3, v1, v3
	v_mad_u64_u32 v[0:1], null, v3, s10, v[0:1]
	v_mad_u64_u32 v[2:3], null, v3, s11, v[2:3]
.LBB22_172:
	s_waitcnt lgkmcnt(0)
	global_load_ushort v1, v2, s[2:3]
	s_mov_b32 s22, exec_lo
	s_waitcnt vmcnt(0)
	v_cvt_f32_f16_e32 v2, v1
	v_cmpx_nlg_f32_e64 0x7f800000, |v2|
	s_cbranch_execz .LBB22_174
; %bb.173:
	v_mov_b32_e32 v3, 0
	v_mov_b32_e32 v4, 1.0
	global_store_dword v3, v4, s[4:5]
.LBB22_174:
	s_or_b32 exec_lo, exec_lo, s22
	v_mov_b32_e32 v3, 0
	v_add_nc_u32_e32 v19, 0x80, v19
	global_load_dword v3, v3, s[6:7]
	s_waitcnt vmcnt(0)
	v_fma_mixlo_f16 v2, v3, v2, 0
	v_cmp_eq_f32_e32 vcc_lo, 1.0, v3
	v_cndmask_b32_e32 v1, v2, v1, vcc_lo
	global_store_short v0, v1, s[0:1]
	s_or_b32 exec_lo, exec_lo, s35
	s_mov_b32 s35, exec_lo
	v_cmpx_gt_i32_e64 s31, v19
	s_cbranch_execnz .LBB22_158
.LBB22_175:
	s_or_b32 exec_lo, exec_lo, s35
	s_mov_b32 s35, exec_lo
	v_cmpx_gt_i32_e64 s31, v19
	s_cbranch_execz .LBB22_193
.LBB22_176:
	s_andn2_b32 vcc_lo, exec_lo, s28
	s_cbranch_vccnz .LBB22_181
; %bb.177:
	s_andn2_b32 vcc_lo, exec_lo, s34
	s_cbranch_vccnz .LBB22_182
; %bb.178:
	s_add_i32 s37, s33, 1
	s_cmp_eq_u32 s27, 2
	s_cbranch_scc1 .LBB22_201
; %bb.179:
	v_mov_b32_e32 v2, 0
	v_mov_b32_e32 v0, 0
	;; [unrolled: 1-line block ×3, first 2 shown]
	s_and_b32 s36, s37, 28
	s_mov_b32 s38, 0
	s_mov_b64 s[22:23], s[16:17]
	s_mov_b64 s[24:25], s[20:21]
.LBB22_180:                             ; =>This Inner Loop Header: Depth=1
	s_clause 0x1
	s_load_dwordx8 s[40:47], s[22:23], 0x4
	s_load_dwordx4 s[56:59], s[22:23], 0x24
	s_load_dwordx8 s[48:55], s[24:25], 0x0
	s_add_u32 s22, s22, 48
	s_addc_u32 s23, s23, 0
	s_add_i32 s38, s38, 4
	s_add_u32 s24, s24, 32
	s_addc_u32 s25, s25, 0
	s_cmp_eq_u32 s36, s38
	s_waitcnt lgkmcnt(0)
	v_mul_hi_u32 v3, s41, v1
	v_add_nc_u32_e32 v3, v1, v3
	v_lshrrev_b32_e32 v3, s42, v3
	v_mul_hi_u32 v4, s44, v3
	v_mul_lo_u32 v6, v3, s40
	v_add_nc_u32_e32 v4, v3, v4
	v_sub_nc_u32_e32 v1, v1, v6
	v_lshrrev_b32_e32 v4, s45, v4
	v_mul_lo_u32 v6, v1, s48
	v_mul_lo_u32 v8, v1, s49
	v_mul_hi_u32 v5, s47, v4
	v_add_nc_u32_e32 v5, v4, v5
	v_lshrrev_b32_e32 v5, s56, v5
	v_mul_hi_u32 v7, s58, v5
	v_mul_lo_u32 v9, v5, s46
	v_add_nc_u32_e32 v1, v5, v7
	v_mul_lo_u32 v7, v4, s43
	v_sub_nc_u32_e32 v4, v4, v9
	v_lshrrev_b32_e32 v1, s59, v1
	v_mul_lo_u32 v9, v4, s52
	v_mul_lo_u32 v4, v4, s53
	v_sub_nc_u32_e32 v3, v3, v7
	v_mul_lo_u32 v10, v1, s57
	v_mul_lo_u32 v7, v3, s50
	;; [unrolled: 1-line block ×3, first 2 shown]
	v_sub_nc_u32_e32 v5, v5, v10
	v_add3_u32 v0, v6, v0, v7
	v_mul_lo_u32 v10, v5, s54
	v_mul_lo_u32 v5, v5, s55
	v_add3_u32 v2, v8, v2, v3
	v_add3_u32 v0, v9, v0, v10
	;; [unrolled: 1-line block ×3, first 2 shown]
	s_cbranch_scc0 .LBB22_180
	s_branch .LBB22_202
.LBB22_181:
                                        ; implicit-def: $vgpr0
                                        ; implicit-def: $vgpr2
	s_branch .LBB22_206
.LBB22_182:
	v_mov_b32_e32 v0, 0
	v_mov_b32_e32 v2, 0
	s_branch .LBB22_205
.LBB22_183:
	v_mov_b32_e32 v0, 0
	v_mov_b32_e32 v2, 0
	;; [unrolled: 1-line block ×3, first 2 shown]
	s_mov_b32 s36, 0
.LBB22_184:
	s_and_b32 s37, s37, 3
	s_cmp_eq_u32 s37, 0
	s_cbranch_scc1 .LBB22_187
; %bb.185:
	s_lshl_b32 s22, s36, 3
	s_mul_i32 s24, s36, 12
	s_add_u32 s22, s16, s22
	s_addc_u32 s23, s17, 0
	s_add_u32 s22, s22, 0xc4
	s_addc_u32 s23, s23, 0
	;; [unrolled: 2-line block ×3, first 2 shown]
	.p2align	6
.LBB22_186:                             ; =>This Inner Loop Header: Depth=1
	s_clause 0x1
	s_load_dwordx2 s[38:39], s[24:25], 0x4
	s_load_dword s36, s[24:25], 0xc
	s_load_dwordx2 s[40:41], s[22:23], 0x0
	s_add_u32 s24, s24, 12
	s_addc_u32 s25, s25, 0
	s_add_u32 s22, s22, 8
	s_addc_u32 s23, s23, 0
	s_add_i32 s37, s37, -1
	s_cmp_lg_u32 s37, 0
	s_waitcnt lgkmcnt(0)
	v_mul_hi_u32 v3, s39, v1
	v_add_nc_u32_e32 v3, v1, v3
	v_lshrrev_b32_e32 v4, s36, v3
	v_mul_lo_u32 v3, v4, s38
	v_sub_nc_u32_e32 v3, v1, v3
	v_mad_u64_u32 v[0:1], null, v3, s40, v[0:1]
	v_mad_u64_u32 v[2:3], null, v3, s41, v[2:3]
	v_mov_b32_e32 v1, v4
	s_cbranch_scc1 .LBB22_186
.LBB22_187:
	s_cbranch_execnz .LBB22_190
.LBB22_188:
	s_waitcnt lgkmcnt(0)
	v_mul_hi_u32 v0, s13, v19
	s_andn2_b32 vcc_lo, exec_lo, s30
	v_add_nc_u32_e32 v0, v19, v0
	v_lshrrev_b32_e32 v1, s14, v0
	v_mul_lo_u32 v0, v1, s12
	v_sub_nc_u32_e32 v2, v19, v0
	v_mul_lo_u32 v0, v2, s8
	v_mul_lo_u32 v2, v2, s9
	s_cbranch_vccnz .LBB22_190
; %bb.189:
	v_mul_hi_u32 v3, s18, v1
	v_add_nc_u32_e32 v3, v1, v3
	v_lshrrev_b32_e32 v3, s19, v3
	v_mul_lo_u32 v3, v3, s15
	v_sub_nc_u32_e32 v3, v1, v3
	v_mad_u64_u32 v[0:1], null, v3, s10, v[0:1]
	v_mad_u64_u32 v[2:3], null, v3, s11, v[2:3]
.LBB22_190:
	s_waitcnt lgkmcnt(0)
	global_load_ushort v1, v2, s[2:3]
	s_mov_b32 s22, exec_lo
	s_waitcnt vmcnt(0)
	v_cvt_f32_f16_e32 v2, v1
	v_cmpx_nlg_f32_e64 0x7f800000, |v2|
	s_cbranch_execz .LBB22_192
; %bb.191:
	v_mov_b32_e32 v3, 0
	v_mov_b32_e32 v4, 1.0
	global_store_dword v3, v4, s[4:5]
.LBB22_192:
	s_or_b32 exec_lo, exec_lo, s22
	v_mov_b32_e32 v3, 0
	v_add_nc_u32_e32 v19, 0x80, v19
	global_load_dword v3, v3, s[6:7]
	s_waitcnt vmcnt(0)
	v_fma_mixlo_f16 v2, v3, v2, 0
	v_cmp_eq_f32_e32 vcc_lo, 1.0, v3
	v_cndmask_b32_e32 v1, v2, v1, vcc_lo
	global_store_short v0, v1, s[0:1]
	s_or_b32 exec_lo, exec_lo, s35
	s_mov_b32 s35, exec_lo
	v_cmpx_gt_i32_e64 s31, v19
	s_cbranch_execnz .LBB22_176
.LBB22_193:
	s_or_b32 exec_lo, exec_lo, s35
	s_mov_b32 s35, exec_lo
	v_cmpx_gt_i32_e64 s31, v19
	s_cbranch_execz .LBB22_211
.LBB22_194:
	s_andn2_b32 vcc_lo, exec_lo, s28
	s_cbranch_vccnz .LBB22_199
; %bb.195:
	s_andn2_b32 vcc_lo, exec_lo, s34
	s_cbranch_vccnz .LBB22_200
; %bb.196:
	s_add_i32 s37, s33, 1
	s_cmp_eq_u32 s27, 2
	s_cbranch_scc1 .LBB22_219
; %bb.197:
	v_mov_b32_e32 v2, 0
	v_mov_b32_e32 v0, 0
	;; [unrolled: 1-line block ×3, first 2 shown]
	s_and_b32 s36, s37, 28
	s_mov_b32 s38, 0
	s_mov_b64 s[22:23], s[16:17]
	s_mov_b64 s[24:25], s[20:21]
.LBB22_198:                             ; =>This Inner Loop Header: Depth=1
	s_clause 0x1
	s_load_dwordx8 s[40:47], s[22:23], 0x4
	s_load_dwordx4 s[56:59], s[22:23], 0x24
	s_load_dwordx8 s[48:55], s[24:25], 0x0
	s_add_u32 s22, s22, 48
	s_addc_u32 s23, s23, 0
	s_add_i32 s38, s38, 4
	s_add_u32 s24, s24, 32
	s_addc_u32 s25, s25, 0
	s_cmp_eq_u32 s36, s38
	s_waitcnt lgkmcnt(0)
	v_mul_hi_u32 v3, s41, v1
	v_add_nc_u32_e32 v3, v1, v3
	v_lshrrev_b32_e32 v3, s42, v3
	v_mul_hi_u32 v4, s44, v3
	v_mul_lo_u32 v6, v3, s40
	v_add_nc_u32_e32 v4, v3, v4
	v_sub_nc_u32_e32 v1, v1, v6
	v_lshrrev_b32_e32 v4, s45, v4
	v_mul_lo_u32 v6, v1, s48
	v_mul_lo_u32 v8, v1, s49
	v_mul_hi_u32 v5, s47, v4
	v_add_nc_u32_e32 v5, v4, v5
	v_lshrrev_b32_e32 v5, s56, v5
	v_mul_hi_u32 v7, s58, v5
	v_mul_lo_u32 v9, v5, s46
	v_add_nc_u32_e32 v1, v5, v7
	v_mul_lo_u32 v7, v4, s43
	v_sub_nc_u32_e32 v4, v4, v9
	v_lshrrev_b32_e32 v1, s59, v1
	v_mul_lo_u32 v9, v4, s52
	v_mul_lo_u32 v4, v4, s53
	v_sub_nc_u32_e32 v3, v3, v7
	v_mul_lo_u32 v10, v1, s57
	v_mul_lo_u32 v7, v3, s50
	;; [unrolled: 1-line block ×3, first 2 shown]
	v_sub_nc_u32_e32 v5, v5, v10
	v_add3_u32 v0, v6, v0, v7
	v_mul_lo_u32 v10, v5, s54
	v_mul_lo_u32 v5, v5, s55
	v_add3_u32 v2, v8, v2, v3
	v_add3_u32 v0, v9, v0, v10
	;; [unrolled: 1-line block ×3, first 2 shown]
	s_cbranch_scc0 .LBB22_198
	s_branch .LBB22_220
.LBB22_199:
                                        ; implicit-def: $vgpr0
                                        ; implicit-def: $vgpr2
	s_branch .LBB22_224
.LBB22_200:
	v_mov_b32_e32 v0, 0
	v_mov_b32_e32 v2, 0
	s_branch .LBB22_223
.LBB22_201:
	v_mov_b32_e32 v0, 0
	v_mov_b32_e32 v2, 0
	;; [unrolled: 1-line block ×3, first 2 shown]
	s_mov_b32 s36, 0
.LBB22_202:
	s_and_b32 s37, s37, 3
	s_cmp_eq_u32 s37, 0
	s_cbranch_scc1 .LBB22_205
; %bb.203:
	s_lshl_b32 s22, s36, 3
	s_mul_i32 s24, s36, 12
	s_add_u32 s22, s16, s22
	s_addc_u32 s23, s17, 0
	s_add_u32 s22, s22, 0xc4
	s_addc_u32 s23, s23, 0
	;; [unrolled: 2-line block ×3, first 2 shown]
	.p2align	6
.LBB22_204:                             ; =>This Inner Loop Header: Depth=1
	s_clause 0x1
	s_load_dwordx2 s[38:39], s[24:25], 0x4
	s_load_dword s36, s[24:25], 0xc
	s_load_dwordx2 s[40:41], s[22:23], 0x0
	s_add_u32 s24, s24, 12
	s_addc_u32 s25, s25, 0
	s_add_u32 s22, s22, 8
	s_addc_u32 s23, s23, 0
	s_add_i32 s37, s37, -1
	s_cmp_lg_u32 s37, 0
	s_waitcnt lgkmcnt(0)
	v_mul_hi_u32 v3, s39, v1
	v_add_nc_u32_e32 v3, v1, v3
	v_lshrrev_b32_e32 v4, s36, v3
	v_mul_lo_u32 v3, v4, s38
	v_sub_nc_u32_e32 v3, v1, v3
	v_mad_u64_u32 v[0:1], null, v3, s40, v[0:1]
	v_mad_u64_u32 v[2:3], null, v3, s41, v[2:3]
	v_mov_b32_e32 v1, v4
	s_cbranch_scc1 .LBB22_204
.LBB22_205:
	s_cbranch_execnz .LBB22_208
.LBB22_206:
	s_waitcnt lgkmcnt(0)
	v_mul_hi_u32 v0, s13, v19
	s_andn2_b32 vcc_lo, exec_lo, s30
	v_add_nc_u32_e32 v0, v19, v0
	v_lshrrev_b32_e32 v1, s14, v0
	v_mul_lo_u32 v0, v1, s12
	v_sub_nc_u32_e32 v2, v19, v0
	v_mul_lo_u32 v0, v2, s8
	v_mul_lo_u32 v2, v2, s9
	s_cbranch_vccnz .LBB22_208
; %bb.207:
	v_mul_hi_u32 v3, s18, v1
	v_add_nc_u32_e32 v3, v1, v3
	v_lshrrev_b32_e32 v3, s19, v3
	v_mul_lo_u32 v3, v3, s15
	v_sub_nc_u32_e32 v3, v1, v3
	v_mad_u64_u32 v[0:1], null, v3, s10, v[0:1]
	v_mad_u64_u32 v[2:3], null, v3, s11, v[2:3]
.LBB22_208:
	s_waitcnt lgkmcnt(0)
	global_load_ushort v1, v2, s[2:3]
	s_mov_b32 s22, exec_lo
	s_waitcnt vmcnt(0)
	v_cvt_f32_f16_e32 v2, v1
	v_cmpx_nlg_f32_e64 0x7f800000, |v2|
	s_cbranch_execz .LBB22_210
; %bb.209:
	v_mov_b32_e32 v3, 0
	v_mov_b32_e32 v4, 1.0
	global_store_dword v3, v4, s[4:5]
.LBB22_210:
	s_or_b32 exec_lo, exec_lo, s22
	v_mov_b32_e32 v3, 0
	v_add_nc_u32_e32 v19, 0x80, v19
	global_load_dword v3, v3, s[6:7]
	s_waitcnt vmcnt(0)
	v_fma_mixlo_f16 v2, v3, v2, 0
	v_cmp_eq_f32_e32 vcc_lo, 1.0, v3
	v_cndmask_b32_e32 v1, v2, v1, vcc_lo
	global_store_short v0, v1, s[0:1]
	s_or_b32 exec_lo, exec_lo, s35
	s_mov_b32 s35, exec_lo
	v_cmpx_gt_i32_e64 s31, v19
	s_cbranch_execnz .LBB22_194
.LBB22_211:
	s_or_b32 exec_lo, exec_lo, s35
	s_mov_b32 s35, exec_lo
	v_cmpx_gt_i32_e64 s31, v19
	s_cbranch_execz .LBB22_229
.LBB22_212:
	s_andn2_b32 vcc_lo, exec_lo, s28
	s_cbranch_vccnz .LBB22_217
; %bb.213:
	s_andn2_b32 vcc_lo, exec_lo, s34
	s_cbranch_vccnz .LBB22_218
; %bb.214:
	s_add_i32 s37, s33, 1
	s_cmp_eq_u32 s27, 2
	s_cbranch_scc1 .LBB22_237
; %bb.215:
	v_mov_b32_e32 v2, 0
	v_mov_b32_e32 v0, 0
	;; [unrolled: 1-line block ×3, first 2 shown]
	s_and_b32 s36, s37, 28
	s_mov_b32 s38, 0
	s_mov_b64 s[22:23], s[16:17]
	s_mov_b64 s[24:25], s[20:21]
.LBB22_216:                             ; =>This Inner Loop Header: Depth=1
	s_clause 0x1
	s_load_dwordx8 s[40:47], s[22:23], 0x4
	s_load_dwordx4 s[56:59], s[22:23], 0x24
	s_load_dwordx8 s[48:55], s[24:25], 0x0
	s_add_u32 s22, s22, 48
	s_addc_u32 s23, s23, 0
	s_add_i32 s38, s38, 4
	s_add_u32 s24, s24, 32
	s_addc_u32 s25, s25, 0
	s_cmp_eq_u32 s36, s38
	s_waitcnt lgkmcnt(0)
	v_mul_hi_u32 v3, s41, v1
	v_add_nc_u32_e32 v3, v1, v3
	v_lshrrev_b32_e32 v3, s42, v3
	v_mul_hi_u32 v4, s44, v3
	v_mul_lo_u32 v6, v3, s40
	v_add_nc_u32_e32 v4, v3, v4
	v_sub_nc_u32_e32 v1, v1, v6
	v_lshrrev_b32_e32 v4, s45, v4
	v_mul_lo_u32 v6, v1, s48
	v_mul_lo_u32 v8, v1, s49
	v_mul_hi_u32 v5, s47, v4
	v_add_nc_u32_e32 v5, v4, v5
	v_lshrrev_b32_e32 v5, s56, v5
	v_mul_hi_u32 v7, s58, v5
	v_mul_lo_u32 v9, v5, s46
	v_add_nc_u32_e32 v1, v5, v7
	v_mul_lo_u32 v7, v4, s43
	v_sub_nc_u32_e32 v4, v4, v9
	v_lshrrev_b32_e32 v1, s59, v1
	v_mul_lo_u32 v9, v4, s52
	v_mul_lo_u32 v4, v4, s53
	v_sub_nc_u32_e32 v3, v3, v7
	v_mul_lo_u32 v10, v1, s57
	v_mul_lo_u32 v7, v3, s50
	;; [unrolled: 1-line block ×3, first 2 shown]
	v_sub_nc_u32_e32 v5, v5, v10
	v_add3_u32 v0, v6, v0, v7
	v_mul_lo_u32 v10, v5, s54
	v_mul_lo_u32 v5, v5, s55
	v_add3_u32 v2, v8, v2, v3
	v_add3_u32 v0, v9, v0, v10
	;; [unrolled: 1-line block ×3, first 2 shown]
	s_cbranch_scc0 .LBB22_216
	s_branch .LBB22_238
.LBB22_217:
                                        ; implicit-def: $vgpr0
                                        ; implicit-def: $vgpr2
	s_branch .LBB22_242
.LBB22_218:
	v_mov_b32_e32 v0, 0
	v_mov_b32_e32 v2, 0
	s_branch .LBB22_241
.LBB22_219:
	v_mov_b32_e32 v0, 0
	v_mov_b32_e32 v2, 0
	;; [unrolled: 1-line block ×3, first 2 shown]
	s_mov_b32 s36, 0
.LBB22_220:
	s_and_b32 s37, s37, 3
	s_cmp_eq_u32 s37, 0
	s_cbranch_scc1 .LBB22_223
; %bb.221:
	s_lshl_b32 s22, s36, 3
	s_mul_i32 s24, s36, 12
	s_add_u32 s22, s16, s22
	s_addc_u32 s23, s17, 0
	s_add_u32 s22, s22, 0xc4
	s_addc_u32 s23, s23, 0
	s_add_u32 s24, s16, s24
	s_addc_u32 s25, s17, 0
	.p2align	6
.LBB22_222:                             ; =>This Inner Loop Header: Depth=1
	s_clause 0x1
	s_load_dwordx2 s[38:39], s[24:25], 0x4
	s_load_dword s36, s[24:25], 0xc
	s_load_dwordx2 s[40:41], s[22:23], 0x0
	s_add_u32 s24, s24, 12
	s_addc_u32 s25, s25, 0
	s_add_u32 s22, s22, 8
	s_addc_u32 s23, s23, 0
	s_add_i32 s37, s37, -1
	s_cmp_lg_u32 s37, 0
	s_waitcnt lgkmcnt(0)
	v_mul_hi_u32 v3, s39, v1
	v_add_nc_u32_e32 v3, v1, v3
	v_lshrrev_b32_e32 v4, s36, v3
	v_mul_lo_u32 v3, v4, s38
	v_sub_nc_u32_e32 v3, v1, v3
	v_mad_u64_u32 v[0:1], null, v3, s40, v[0:1]
	v_mad_u64_u32 v[2:3], null, v3, s41, v[2:3]
	v_mov_b32_e32 v1, v4
	s_cbranch_scc1 .LBB22_222
.LBB22_223:
	s_cbranch_execnz .LBB22_226
.LBB22_224:
	s_waitcnt lgkmcnt(0)
	v_mul_hi_u32 v0, s13, v19
	s_andn2_b32 vcc_lo, exec_lo, s30
	v_add_nc_u32_e32 v0, v19, v0
	v_lshrrev_b32_e32 v1, s14, v0
	v_mul_lo_u32 v0, v1, s12
	v_sub_nc_u32_e32 v2, v19, v0
	v_mul_lo_u32 v0, v2, s8
	v_mul_lo_u32 v2, v2, s9
	s_cbranch_vccnz .LBB22_226
; %bb.225:
	v_mul_hi_u32 v3, s18, v1
	v_add_nc_u32_e32 v3, v1, v3
	v_lshrrev_b32_e32 v3, s19, v3
	v_mul_lo_u32 v3, v3, s15
	v_sub_nc_u32_e32 v3, v1, v3
	v_mad_u64_u32 v[0:1], null, v3, s10, v[0:1]
	v_mad_u64_u32 v[2:3], null, v3, s11, v[2:3]
.LBB22_226:
	s_waitcnt lgkmcnt(0)
	global_load_ushort v1, v2, s[2:3]
	s_mov_b32 s22, exec_lo
	s_waitcnt vmcnt(0)
	v_cvt_f32_f16_e32 v2, v1
	v_cmpx_nlg_f32_e64 0x7f800000, |v2|
	s_cbranch_execz .LBB22_228
; %bb.227:
	v_mov_b32_e32 v3, 0
	v_mov_b32_e32 v4, 1.0
	global_store_dword v3, v4, s[4:5]
.LBB22_228:
	s_or_b32 exec_lo, exec_lo, s22
	v_mov_b32_e32 v3, 0
	v_add_nc_u32_e32 v19, 0x80, v19
	global_load_dword v3, v3, s[6:7]
	s_waitcnt vmcnt(0)
	v_fma_mixlo_f16 v2, v3, v2, 0
	v_cmp_eq_f32_e32 vcc_lo, 1.0, v3
	v_cndmask_b32_e32 v1, v2, v1, vcc_lo
	global_store_short v0, v1, s[0:1]
	s_or_b32 exec_lo, exec_lo, s35
	s_mov_b32 s35, exec_lo
	v_cmpx_gt_i32_e64 s31, v19
	s_cbranch_execnz .LBB22_212
.LBB22_229:
	s_or_b32 exec_lo, exec_lo, s35
	s_mov_b32 s35, exec_lo
	v_cmpx_gt_i32_e64 s31, v19
	s_cbranch_execz .LBB22_247
.LBB22_230:
	s_andn2_b32 vcc_lo, exec_lo, s28
	s_cbranch_vccnz .LBB22_235
; %bb.231:
	s_andn2_b32 vcc_lo, exec_lo, s34
	s_cbranch_vccnz .LBB22_236
; %bb.232:
	s_add_i32 s37, s33, 1
	s_cmp_eq_u32 s27, 2
	s_cbranch_scc1 .LBB22_250
; %bb.233:
	v_mov_b32_e32 v2, 0
	v_mov_b32_e32 v0, 0
	;; [unrolled: 1-line block ×3, first 2 shown]
	s_and_b32 s36, s37, 28
	s_mov_b32 s38, 0
	s_mov_b64 s[22:23], s[16:17]
	s_mov_b64 s[24:25], s[20:21]
.LBB22_234:                             ; =>This Inner Loop Header: Depth=1
	s_clause 0x1
	s_load_dwordx8 s[40:47], s[22:23], 0x4
	s_load_dwordx4 s[56:59], s[22:23], 0x24
	s_load_dwordx8 s[48:55], s[24:25], 0x0
	s_add_u32 s22, s22, 48
	s_addc_u32 s23, s23, 0
	s_add_i32 s38, s38, 4
	s_add_u32 s24, s24, 32
	s_addc_u32 s25, s25, 0
	s_cmp_eq_u32 s36, s38
	s_waitcnt lgkmcnt(0)
	v_mul_hi_u32 v3, s41, v1
	v_add_nc_u32_e32 v3, v1, v3
	v_lshrrev_b32_e32 v3, s42, v3
	v_mul_hi_u32 v4, s44, v3
	v_mul_lo_u32 v6, v3, s40
	v_add_nc_u32_e32 v4, v3, v4
	v_sub_nc_u32_e32 v1, v1, v6
	v_lshrrev_b32_e32 v4, s45, v4
	v_mul_lo_u32 v6, v1, s48
	v_mul_lo_u32 v8, v1, s49
	v_mul_hi_u32 v5, s47, v4
	v_add_nc_u32_e32 v5, v4, v5
	v_lshrrev_b32_e32 v5, s56, v5
	v_mul_hi_u32 v7, s58, v5
	v_mul_lo_u32 v9, v5, s46
	v_add_nc_u32_e32 v1, v5, v7
	v_mul_lo_u32 v7, v4, s43
	v_sub_nc_u32_e32 v4, v4, v9
	v_lshrrev_b32_e32 v1, s59, v1
	v_mul_lo_u32 v9, v4, s52
	v_mul_lo_u32 v4, v4, s53
	v_sub_nc_u32_e32 v3, v3, v7
	v_mul_lo_u32 v10, v1, s57
	v_mul_lo_u32 v7, v3, s50
	;; [unrolled: 1-line block ×3, first 2 shown]
	v_sub_nc_u32_e32 v5, v5, v10
	v_add3_u32 v0, v6, v0, v7
	v_mul_lo_u32 v10, v5, s54
	v_mul_lo_u32 v5, v5, s55
	v_add3_u32 v2, v8, v2, v3
	v_add3_u32 v0, v9, v0, v10
	;; [unrolled: 1-line block ×3, first 2 shown]
	s_cbranch_scc0 .LBB22_234
	s_branch .LBB22_251
.LBB22_235:
                                        ; implicit-def: $vgpr0
                                        ; implicit-def: $vgpr2
	s_branch .LBB22_255
.LBB22_236:
	v_mov_b32_e32 v0, 0
	v_mov_b32_e32 v2, 0
	s_branch .LBB22_254
.LBB22_237:
	v_mov_b32_e32 v0, 0
	v_mov_b32_e32 v2, 0
	;; [unrolled: 1-line block ×3, first 2 shown]
	s_mov_b32 s36, 0
.LBB22_238:
	s_and_b32 s37, s37, 3
	s_cmp_eq_u32 s37, 0
	s_cbranch_scc1 .LBB22_241
; %bb.239:
	s_lshl_b32 s22, s36, 3
	s_mul_i32 s24, s36, 12
	s_add_u32 s22, s16, s22
	s_addc_u32 s23, s17, 0
	s_add_u32 s22, s22, 0xc4
	s_addc_u32 s23, s23, 0
	;; [unrolled: 2-line block ×3, first 2 shown]
	.p2align	6
.LBB22_240:                             ; =>This Inner Loop Header: Depth=1
	s_clause 0x1
	s_load_dwordx2 s[38:39], s[24:25], 0x4
	s_load_dword s36, s[24:25], 0xc
	s_load_dwordx2 s[40:41], s[22:23], 0x0
	s_add_u32 s24, s24, 12
	s_addc_u32 s25, s25, 0
	s_add_u32 s22, s22, 8
	s_addc_u32 s23, s23, 0
	s_add_i32 s37, s37, -1
	s_cmp_lg_u32 s37, 0
	s_waitcnt lgkmcnt(0)
	v_mul_hi_u32 v3, s39, v1
	v_add_nc_u32_e32 v3, v1, v3
	v_lshrrev_b32_e32 v4, s36, v3
	v_mul_lo_u32 v3, v4, s38
	v_sub_nc_u32_e32 v3, v1, v3
	v_mad_u64_u32 v[0:1], null, v3, s40, v[0:1]
	v_mad_u64_u32 v[2:3], null, v3, s41, v[2:3]
	v_mov_b32_e32 v1, v4
	s_cbranch_scc1 .LBB22_240
.LBB22_241:
	s_cbranch_execnz .LBB22_244
.LBB22_242:
	s_waitcnt lgkmcnt(0)
	v_mul_hi_u32 v0, s13, v19
	s_andn2_b32 vcc_lo, exec_lo, s30
	v_add_nc_u32_e32 v0, v19, v0
	v_lshrrev_b32_e32 v1, s14, v0
	v_mul_lo_u32 v0, v1, s12
	v_sub_nc_u32_e32 v2, v19, v0
	v_mul_lo_u32 v0, v2, s8
	v_mul_lo_u32 v2, v2, s9
	s_cbranch_vccnz .LBB22_244
; %bb.243:
	v_mul_hi_u32 v3, s18, v1
	v_add_nc_u32_e32 v3, v1, v3
	v_lshrrev_b32_e32 v3, s19, v3
	v_mul_lo_u32 v3, v3, s15
	v_sub_nc_u32_e32 v3, v1, v3
	v_mad_u64_u32 v[0:1], null, v3, s10, v[0:1]
	v_mad_u64_u32 v[2:3], null, v3, s11, v[2:3]
.LBB22_244:
	s_waitcnt lgkmcnt(0)
	global_load_ushort v1, v2, s[2:3]
	s_mov_b32 s22, exec_lo
	s_waitcnt vmcnt(0)
	v_cvt_f32_f16_e32 v2, v1
	v_cmpx_nlg_f32_e64 0x7f800000, |v2|
	s_cbranch_execz .LBB22_246
; %bb.245:
	v_mov_b32_e32 v3, 0
	v_mov_b32_e32 v4, 1.0
	global_store_dword v3, v4, s[4:5]
.LBB22_246:
	s_or_b32 exec_lo, exec_lo, s22
	v_mov_b32_e32 v3, 0
	v_add_nc_u32_e32 v19, 0x80, v19
	global_load_dword v3, v3, s[6:7]
	s_waitcnt vmcnt(0)
	v_fma_mixlo_f16 v2, v3, v2, 0
	v_cmp_eq_f32_e32 vcc_lo, 1.0, v3
	v_cndmask_b32_e32 v1, v2, v1, vcc_lo
	global_store_short v0, v1, s[0:1]
	s_or_b32 exec_lo, exec_lo, s35
	s_mov_b32 s35, exec_lo
	v_cmpx_gt_i32_e64 s31, v19
	s_cbranch_execnz .LBB22_230
.LBB22_247:
	s_or_b32 exec_lo, exec_lo, s35
	s_mov_b32 s24, exec_lo
	v_cmpx_gt_i32_e64 s31, v19
	s_cbranch_execnz .LBB22_260
.LBB22_248:
	s_or_b32 exec_lo, exec_lo, s24
                                        ; implicit-def: $vgpr25
                                        ; implicit-def: $vgpr19
	s_waitcnt lgkmcnt(0)
	s_andn2_saveexec_b32 s0, s29
	s_cbranch_execnz .LBB22_8
.LBB22_249:
	s_endpgm
.LBB22_250:
	v_mov_b32_e32 v0, 0
	v_mov_b32_e32 v2, 0
	v_mov_b32_e32 v1, v19
	s_mov_b32 s36, 0
.LBB22_251:
	s_and_b32 s37, s37, 3
	s_cmp_eq_u32 s37, 0
	s_cbranch_scc1 .LBB22_254
; %bb.252:
	s_lshl_b32 s22, s36, 3
	s_mul_i32 s24, s36, 12
	s_add_u32 s22, s16, s22
	s_addc_u32 s23, s17, 0
	s_add_u32 s22, s22, 0xc4
	s_addc_u32 s23, s23, 0
	;; [unrolled: 2-line block ×3, first 2 shown]
	.p2align	6
.LBB22_253:                             ; =>This Inner Loop Header: Depth=1
	s_clause 0x1
	s_load_dwordx2 s[38:39], s[24:25], 0x4
	s_load_dword s36, s[24:25], 0xc
	s_load_dwordx2 s[40:41], s[22:23], 0x0
	s_add_u32 s24, s24, 12
	s_addc_u32 s25, s25, 0
	s_add_u32 s22, s22, 8
	s_addc_u32 s23, s23, 0
	s_add_i32 s37, s37, -1
	s_cmp_lg_u32 s37, 0
	s_waitcnt lgkmcnt(0)
	v_mul_hi_u32 v3, s39, v1
	v_add_nc_u32_e32 v3, v1, v3
	v_lshrrev_b32_e32 v4, s36, v3
	v_mul_lo_u32 v3, v4, s38
	v_sub_nc_u32_e32 v3, v1, v3
	v_mad_u64_u32 v[0:1], null, v3, s40, v[0:1]
	v_mad_u64_u32 v[2:3], null, v3, s41, v[2:3]
	v_mov_b32_e32 v1, v4
	s_cbranch_scc1 .LBB22_253
.LBB22_254:
	s_cbranch_execnz .LBB22_257
.LBB22_255:
	s_waitcnt lgkmcnt(0)
	v_mul_hi_u32 v0, s13, v19
	s_andn2_b32 vcc_lo, exec_lo, s30
	v_add_nc_u32_e32 v0, v19, v0
	v_lshrrev_b32_e32 v1, s14, v0
	v_mul_lo_u32 v0, v1, s12
	v_sub_nc_u32_e32 v2, v19, v0
	v_mul_lo_u32 v0, v2, s8
	v_mul_lo_u32 v2, v2, s9
	s_cbranch_vccnz .LBB22_257
; %bb.256:
	v_mul_hi_u32 v3, s18, v1
	v_add_nc_u32_e32 v3, v1, v3
	v_lshrrev_b32_e32 v3, s19, v3
	v_mul_lo_u32 v3, v3, s15
	v_sub_nc_u32_e32 v3, v1, v3
	v_mad_u64_u32 v[0:1], null, v3, s10, v[0:1]
	v_mad_u64_u32 v[2:3], null, v3, s11, v[2:3]
.LBB22_257:
	s_waitcnt lgkmcnt(0)
	global_load_ushort v1, v2, s[2:3]
	s_mov_b32 s22, exec_lo
	s_waitcnt vmcnt(0)
	v_cvt_f32_f16_e32 v2, v1
	v_cmpx_nlg_f32_e64 0x7f800000, |v2|
	s_cbranch_execz .LBB22_259
; %bb.258:
	v_mov_b32_e32 v3, 0
	v_mov_b32_e32 v4, 1.0
	global_store_dword v3, v4, s[4:5]
.LBB22_259:
	s_or_b32 exec_lo, exec_lo, s22
	v_mov_b32_e32 v3, 0
	v_add_nc_u32_e32 v19, 0x80, v19
	global_load_dword v3, v3, s[6:7]
	s_waitcnt vmcnt(0)
	v_fma_mixlo_f16 v2, v3, v2, 0
	v_cmp_eq_f32_e32 vcc_lo, 1.0, v3
	v_cndmask_b32_e32 v1, v2, v1, vcc_lo
	global_store_short v0, v1, s[0:1]
	s_or_b32 exec_lo, exec_lo, s35
	s_mov_b32 s24, exec_lo
	v_cmpx_gt_i32_e64 s31, v19
	s_cbranch_execz .LBB22_248
.LBB22_260:
	s_andn2_b32 vcc_lo, exec_lo, s28
	s_cbranch_vccnz .LBB22_265
; %bb.261:
	s_andn2_b32 vcc_lo, exec_lo, s34
	s_cbranch_vccnz .LBB22_266
; %bb.262:
	s_add_i32 s33, s33, 1
	s_cmp_eq_u32 s27, 2
	s_cbranch_scc1 .LBB22_267
; %bb.263:
	v_mov_b32_e32 v2, 0
	v_mov_b32_e32 v0, 0
	;; [unrolled: 1-line block ×3, first 2 shown]
	s_and_b32 s25, s33, 28
	s_mov_b32 s31, 0
	s_mov_b64 s[22:23], s[16:17]
.LBB22_264:                             ; =>This Inner Loop Header: Depth=1
	s_clause 0x1
	s_load_dwordx8 s[36:43], s[22:23], 0x4
	s_load_dwordx4 s[52:55], s[22:23], 0x24
	s_load_dwordx8 s[44:51], s[20:21], 0x0
	s_add_u32 s22, s22, 48
	s_addc_u32 s23, s23, 0
	s_add_i32 s31, s31, 4
	s_add_u32 s20, s20, 32
	s_addc_u32 s21, s21, 0
	s_cmp_eq_u32 s25, s31
	s_waitcnt lgkmcnt(0)
	v_mul_hi_u32 v3, s37, v1
	v_add_nc_u32_e32 v3, v1, v3
	v_lshrrev_b32_e32 v3, s38, v3
	v_mul_hi_u32 v4, s40, v3
	v_mul_lo_u32 v6, v3, s36
	v_add_nc_u32_e32 v4, v3, v4
	v_sub_nc_u32_e32 v1, v1, v6
	v_lshrrev_b32_e32 v4, s41, v4
	v_mul_lo_u32 v6, v1, s44
	v_mul_lo_u32 v8, v1, s45
	v_mul_hi_u32 v5, s43, v4
	v_add_nc_u32_e32 v5, v4, v5
	v_lshrrev_b32_e32 v5, s52, v5
	v_mul_hi_u32 v7, s54, v5
	v_mul_lo_u32 v9, v5, s42
	v_add_nc_u32_e32 v1, v5, v7
	v_mul_lo_u32 v7, v4, s39
	v_sub_nc_u32_e32 v4, v4, v9
	v_lshrrev_b32_e32 v1, s55, v1
	v_mul_lo_u32 v9, v4, s48
	v_mul_lo_u32 v4, v4, s49
	v_sub_nc_u32_e32 v3, v3, v7
	v_mul_lo_u32 v10, v1, s53
	v_mul_lo_u32 v7, v3, s46
	;; [unrolled: 1-line block ×3, first 2 shown]
	v_sub_nc_u32_e32 v5, v5, v10
	v_add3_u32 v0, v6, v0, v7
	v_mul_lo_u32 v10, v5, s50
	v_mul_lo_u32 v5, v5, s51
	v_add3_u32 v2, v8, v2, v3
	v_add3_u32 v0, v9, v0, v10
	;; [unrolled: 1-line block ×3, first 2 shown]
	s_cbranch_scc0 .LBB22_264
	s_branch .LBB22_268
.LBB22_265:
                                        ; implicit-def: $vgpr0
                                        ; implicit-def: $vgpr2
	s_branch .LBB22_272
.LBB22_266:
	v_mov_b32_e32 v0, 0
	v_mov_b32_e32 v2, 0
	s_branch .LBB22_271
.LBB22_267:
	v_mov_b32_e32 v0, 0
	v_mov_b32_e32 v2, 0
	;; [unrolled: 1-line block ×3, first 2 shown]
	s_mov_b32 s25, 0
.LBB22_268:
	s_and_b32 s31, s33, 3
	s_cmp_eq_u32 s31, 0
	s_cbranch_scc1 .LBB22_271
; %bb.269:
	s_lshl_b32 s20, s25, 3
	s_mul_i32 s22, s25, 12
	s_add_u32 s20, s16, s20
	s_addc_u32 s21, s17, 0
	s_add_u32 s20, s20, 0xc4
	s_addc_u32 s21, s21, 0
	;; [unrolled: 2-line block ×3, first 2 shown]
	.p2align	6
.LBB22_270:                             ; =>This Inner Loop Header: Depth=1
	s_clause 0x1
	s_load_dwordx2 s[34:35], s[22:23], 0x4
	s_load_dword s25, s[22:23], 0xc
	s_load_dwordx2 s[36:37], s[20:21], 0x0
	s_add_u32 s22, s22, 12
	s_addc_u32 s23, s23, 0
	s_add_u32 s20, s20, 8
	s_addc_u32 s21, s21, 0
	s_add_i32 s31, s31, -1
	s_cmp_lg_u32 s31, 0
	s_waitcnt lgkmcnt(0)
	v_mul_hi_u32 v3, s35, v1
	v_add_nc_u32_e32 v3, v1, v3
	v_lshrrev_b32_e32 v4, s25, v3
	v_mul_lo_u32 v3, v4, s34
	v_sub_nc_u32_e32 v3, v1, v3
	v_mad_u64_u32 v[0:1], null, v3, s36, v[0:1]
	v_mad_u64_u32 v[2:3], null, v3, s37, v[2:3]
	v_mov_b32_e32 v1, v4
	s_cbranch_scc1 .LBB22_270
.LBB22_271:
	s_cbranch_execnz .LBB22_274
.LBB22_272:
	s_waitcnt lgkmcnt(0)
	v_mul_hi_u32 v0, s13, v19
	s_andn2_b32 vcc_lo, exec_lo, s30
	v_add_nc_u32_e32 v0, v19, v0
	v_lshrrev_b32_e32 v1, s14, v0
	v_mul_lo_u32 v0, v1, s12
	v_sub_nc_u32_e32 v2, v19, v0
	v_mul_lo_u32 v0, v2, s8
	v_mul_lo_u32 v2, v2, s9
	s_cbranch_vccnz .LBB22_274
; %bb.273:
	v_mul_hi_u32 v3, s18, v1
	v_add_nc_u32_e32 v3, v1, v3
	v_lshrrev_b32_e32 v3, s19, v3
	v_mul_lo_u32 v3, v3, s15
	v_sub_nc_u32_e32 v3, v1, v3
	v_mad_u64_u32 v[0:1], null, v3, s10, v[0:1]
	v_mad_u64_u32 v[2:3], null, v3, s11, v[2:3]
.LBB22_274:
	s_waitcnt lgkmcnt(0)
	global_load_ushort v1, v2, s[2:3]
	s_mov_b32 s2, exec_lo
	s_waitcnt vmcnt(0)
	v_cvt_f32_f16_e32 v2, v1
	v_cmpx_nlg_f32_e64 0x7f800000, |v2|
	s_cbranch_execz .LBB22_276
; %bb.275:
	v_mov_b32_e32 v3, 0
	v_mov_b32_e32 v4, 1.0
	global_store_dword v3, v4, s[4:5]
.LBB22_276:
	s_or_b32 exec_lo, exec_lo, s2
	v_mov_b32_e32 v3, 0
	global_load_dword v3, v3, s[6:7]
	s_waitcnt vmcnt(0)
	v_fma_mixlo_f16 v2, v3, v2, 0
	v_cmp_eq_f32_e32 vcc_lo, 1.0, v3
	v_cndmask_b32_e32 v1, v2, v1, vcc_lo
	global_store_short v0, v1, s[0:1]
	s_or_b32 exec_lo, exec_lo, s24
                                        ; implicit-def: $vgpr25
                                        ; implicit-def: $vgpr19
	s_andn2_saveexec_b32 s0, s29
	s_cbranch_execz .LBB22_249
	s_branch .LBB22_8
	.section	.rodata,"a",@progbits
	.p2align	6, 0x0
	.amdhsa_kernel _ZN2at6native32elementwise_kernel_manual_unrollILi128ELi8EZNS0_22gpu_kernel_impl_nocastIZZZNS0_12_GLOBAL__N_139_amp_non_finite_check_and_unscale_cuda_ERNS_6TensorES5_RKS4_ENKUlvE_clEvENKUlvE1_clEvEUlN3c104HalfEE_EEvRNS_18TensorIteratorBaseERKT_EUlibE_EEviT1_
		.amdhsa_group_segment_fixed_size 0
		.amdhsa_private_segment_fixed_size 0
		.amdhsa_kernarg_size 368
		.amdhsa_user_sgpr_count 6
		.amdhsa_user_sgpr_private_segment_buffer 1
		.amdhsa_user_sgpr_dispatch_ptr 0
		.amdhsa_user_sgpr_queue_ptr 0
		.amdhsa_user_sgpr_kernarg_segment_ptr 1
		.amdhsa_user_sgpr_dispatch_id 0
		.amdhsa_user_sgpr_flat_scratch_init 0
		.amdhsa_user_sgpr_private_segment_size 0
		.amdhsa_wavefront_size32 1
		.amdhsa_uses_dynamic_stack 0
		.amdhsa_system_sgpr_private_segment_wavefront_offset 0
		.amdhsa_system_sgpr_workgroup_id_x 1
		.amdhsa_system_sgpr_workgroup_id_y 0
		.amdhsa_system_sgpr_workgroup_id_z 0
		.amdhsa_system_sgpr_workgroup_info 0
		.amdhsa_system_vgpr_workitem_id 0
		.amdhsa_next_free_vgpr 33
		.amdhsa_next_free_sgpr 60
		.amdhsa_reserve_vcc 1
		.amdhsa_reserve_flat_scratch 0
		.amdhsa_float_round_mode_32 0
		.amdhsa_float_round_mode_16_64 0
		.amdhsa_float_denorm_mode_32 3
		.amdhsa_float_denorm_mode_16_64 3
		.amdhsa_dx10_clamp 1
		.amdhsa_ieee_mode 1
		.amdhsa_fp16_overflow 0
		.amdhsa_workgroup_processor_mode 1
		.amdhsa_memory_ordered 1
		.amdhsa_forward_progress 1
		.amdhsa_shared_vgpr_count 0
		.amdhsa_exception_fp_ieee_invalid_op 0
		.amdhsa_exception_fp_denorm_src 0
		.amdhsa_exception_fp_ieee_div_zero 0
		.amdhsa_exception_fp_ieee_overflow 0
		.amdhsa_exception_fp_ieee_underflow 0
		.amdhsa_exception_fp_ieee_inexact 0
		.amdhsa_exception_int_div_zero 0
	.end_amdhsa_kernel
	.section	.text._ZN2at6native32elementwise_kernel_manual_unrollILi128ELi8EZNS0_22gpu_kernel_impl_nocastIZZZNS0_12_GLOBAL__N_139_amp_non_finite_check_and_unscale_cuda_ERNS_6TensorES5_RKS4_ENKUlvE_clEvENKUlvE1_clEvEUlN3c104HalfEE_EEvRNS_18TensorIteratorBaseERKT_EUlibE_EEviT1_,"axG",@progbits,_ZN2at6native32elementwise_kernel_manual_unrollILi128ELi8EZNS0_22gpu_kernel_impl_nocastIZZZNS0_12_GLOBAL__N_139_amp_non_finite_check_and_unscale_cuda_ERNS_6TensorES5_RKS4_ENKUlvE_clEvENKUlvE1_clEvEUlN3c104HalfEE_EEvRNS_18TensorIteratorBaseERKT_EUlibE_EEviT1_,comdat
.Lfunc_end22:
	.size	_ZN2at6native32elementwise_kernel_manual_unrollILi128ELi8EZNS0_22gpu_kernel_impl_nocastIZZZNS0_12_GLOBAL__N_139_amp_non_finite_check_and_unscale_cuda_ERNS_6TensorES5_RKS4_ENKUlvE_clEvENKUlvE1_clEvEUlN3c104HalfEE_EEvRNS_18TensorIteratorBaseERKT_EUlibE_EEviT1_, .Lfunc_end22-_ZN2at6native32elementwise_kernel_manual_unrollILi128ELi8EZNS0_22gpu_kernel_impl_nocastIZZZNS0_12_GLOBAL__N_139_amp_non_finite_check_and_unscale_cuda_ERNS_6TensorES5_RKS4_ENKUlvE_clEvENKUlvE1_clEvEUlN3c104HalfEE_EEvRNS_18TensorIteratorBaseERKT_EUlibE_EEviT1_
                                        ; -- End function
	.set _ZN2at6native32elementwise_kernel_manual_unrollILi128ELi8EZNS0_22gpu_kernel_impl_nocastIZZZNS0_12_GLOBAL__N_139_amp_non_finite_check_and_unscale_cuda_ERNS_6TensorES5_RKS4_ENKUlvE_clEvENKUlvE1_clEvEUlN3c104HalfEE_EEvRNS_18TensorIteratorBaseERKT_EUlibE_EEviT1_.num_vgpr, 33
	.set _ZN2at6native32elementwise_kernel_manual_unrollILi128ELi8EZNS0_22gpu_kernel_impl_nocastIZZZNS0_12_GLOBAL__N_139_amp_non_finite_check_and_unscale_cuda_ERNS_6TensorES5_RKS4_ENKUlvE_clEvENKUlvE1_clEvEUlN3c104HalfEE_EEvRNS_18TensorIteratorBaseERKT_EUlibE_EEviT1_.num_agpr, 0
	.set _ZN2at6native32elementwise_kernel_manual_unrollILi128ELi8EZNS0_22gpu_kernel_impl_nocastIZZZNS0_12_GLOBAL__N_139_amp_non_finite_check_and_unscale_cuda_ERNS_6TensorES5_RKS4_ENKUlvE_clEvENKUlvE1_clEvEUlN3c104HalfEE_EEvRNS_18TensorIteratorBaseERKT_EUlibE_EEviT1_.numbered_sgpr, 60
	.set _ZN2at6native32elementwise_kernel_manual_unrollILi128ELi8EZNS0_22gpu_kernel_impl_nocastIZZZNS0_12_GLOBAL__N_139_amp_non_finite_check_and_unscale_cuda_ERNS_6TensorES5_RKS4_ENKUlvE_clEvENKUlvE1_clEvEUlN3c104HalfEE_EEvRNS_18TensorIteratorBaseERKT_EUlibE_EEviT1_.num_named_barrier, 0
	.set _ZN2at6native32elementwise_kernel_manual_unrollILi128ELi8EZNS0_22gpu_kernel_impl_nocastIZZZNS0_12_GLOBAL__N_139_amp_non_finite_check_and_unscale_cuda_ERNS_6TensorES5_RKS4_ENKUlvE_clEvENKUlvE1_clEvEUlN3c104HalfEE_EEvRNS_18TensorIteratorBaseERKT_EUlibE_EEviT1_.private_seg_size, 0
	.set _ZN2at6native32elementwise_kernel_manual_unrollILi128ELi8EZNS0_22gpu_kernel_impl_nocastIZZZNS0_12_GLOBAL__N_139_amp_non_finite_check_and_unscale_cuda_ERNS_6TensorES5_RKS4_ENKUlvE_clEvENKUlvE1_clEvEUlN3c104HalfEE_EEvRNS_18TensorIteratorBaseERKT_EUlibE_EEviT1_.uses_vcc, 1
	.set _ZN2at6native32elementwise_kernel_manual_unrollILi128ELi8EZNS0_22gpu_kernel_impl_nocastIZZZNS0_12_GLOBAL__N_139_amp_non_finite_check_and_unscale_cuda_ERNS_6TensorES5_RKS4_ENKUlvE_clEvENKUlvE1_clEvEUlN3c104HalfEE_EEvRNS_18TensorIteratorBaseERKT_EUlibE_EEviT1_.uses_flat_scratch, 0
	.set _ZN2at6native32elementwise_kernel_manual_unrollILi128ELi8EZNS0_22gpu_kernel_impl_nocastIZZZNS0_12_GLOBAL__N_139_amp_non_finite_check_and_unscale_cuda_ERNS_6TensorES5_RKS4_ENKUlvE_clEvENKUlvE1_clEvEUlN3c104HalfEE_EEvRNS_18TensorIteratorBaseERKT_EUlibE_EEviT1_.has_dyn_sized_stack, 0
	.set _ZN2at6native32elementwise_kernel_manual_unrollILi128ELi8EZNS0_22gpu_kernel_impl_nocastIZZZNS0_12_GLOBAL__N_139_amp_non_finite_check_and_unscale_cuda_ERNS_6TensorES5_RKS4_ENKUlvE_clEvENKUlvE1_clEvEUlN3c104HalfEE_EEvRNS_18TensorIteratorBaseERKT_EUlibE_EEviT1_.has_recursion, 0
	.set _ZN2at6native32elementwise_kernel_manual_unrollILi128ELi8EZNS0_22gpu_kernel_impl_nocastIZZZNS0_12_GLOBAL__N_139_amp_non_finite_check_and_unscale_cuda_ERNS_6TensorES5_RKS4_ENKUlvE_clEvENKUlvE1_clEvEUlN3c104HalfEE_EEvRNS_18TensorIteratorBaseERKT_EUlibE_EEviT1_.has_indirect_call, 0
	.section	.AMDGPU.csdata,"",@progbits
; Kernel info:
; codeLenInByte = 13320
; TotalNumSgprs: 62
; NumVgprs: 33
; ScratchSize: 0
; MemoryBound: 0
; FloatMode: 240
; IeeeMode: 1
; LDSByteSize: 0 bytes/workgroup (compile time only)
; SGPRBlocks: 0
; VGPRBlocks: 4
; NumSGPRsForWavesPerEU: 62
; NumVGPRsForWavesPerEU: 33
; Occupancy: 16
; WaveLimiterHint : 1
; COMPUTE_PGM_RSRC2:SCRATCH_EN: 0
; COMPUTE_PGM_RSRC2:USER_SGPR: 6
; COMPUTE_PGM_RSRC2:TRAP_HANDLER: 0
; COMPUTE_PGM_RSRC2:TGID_X_EN: 1
; COMPUTE_PGM_RSRC2:TGID_Y_EN: 0
; COMPUTE_PGM_RSRC2:TGID_Z_EN: 0
; COMPUTE_PGM_RSRC2:TIDIG_COMP_CNT: 0
	.section	.text._ZN2at6native32elementwise_kernel_manual_unrollILi128ELi4EZNS0_15gpu_kernel_implIZZZNS0_12_GLOBAL__N_139_amp_non_finite_check_and_unscale_cuda_ERNS_6TensorES5_RKS4_ENKUlvE_clEvENKUlvE1_clEvEUlN3c104HalfEE_EEvRNS_18TensorIteratorBaseERKT_EUlibE_EEviT1_,"axG",@progbits,_ZN2at6native32elementwise_kernel_manual_unrollILi128ELi4EZNS0_15gpu_kernel_implIZZZNS0_12_GLOBAL__N_139_amp_non_finite_check_and_unscale_cuda_ERNS_6TensorES5_RKS4_ENKUlvE_clEvENKUlvE1_clEvEUlN3c104HalfEE_EEvRNS_18TensorIteratorBaseERKT_EUlibE_EEviT1_,comdat
	.globl	_ZN2at6native32elementwise_kernel_manual_unrollILi128ELi4EZNS0_15gpu_kernel_implIZZZNS0_12_GLOBAL__N_139_amp_non_finite_check_and_unscale_cuda_ERNS_6TensorES5_RKS4_ENKUlvE_clEvENKUlvE1_clEvEUlN3c104HalfEE_EEvRNS_18TensorIteratorBaseERKT_EUlibE_EEviT1_ ; -- Begin function _ZN2at6native32elementwise_kernel_manual_unrollILi128ELi4EZNS0_15gpu_kernel_implIZZZNS0_12_GLOBAL__N_139_amp_non_finite_check_and_unscale_cuda_ERNS_6TensorES5_RKS4_ENKUlvE_clEvENKUlvE1_clEvEUlN3c104HalfEE_EEvRNS_18TensorIteratorBaseERKT_EUlibE_EEviT1_
	.p2align	8
	.type	_ZN2at6native32elementwise_kernel_manual_unrollILi128ELi4EZNS0_15gpu_kernel_implIZZZNS0_12_GLOBAL__N_139_amp_non_finite_check_and_unscale_cuda_ERNS_6TensorES5_RKS4_ENKUlvE_clEvENKUlvE1_clEvEUlN3c104HalfEE_EEvRNS_18TensorIteratorBaseERKT_EUlibE_EEviT1_,@function
_ZN2at6native32elementwise_kernel_manual_unrollILi128ELi4EZNS0_15gpu_kernel_implIZZZNS0_12_GLOBAL__N_139_amp_non_finite_check_and_unscale_cuda_ERNS_6TensorES5_RKS4_ENKUlvE_clEvENKUlvE1_clEvEUlN3c104HalfEE_EEvRNS_18TensorIteratorBaseERKT_EUlibE_EEviT1_: ; @_ZN2at6native32elementwise_kernel_manual_unrollILi128ELi4EZNS0_15gpu_kernel_implIZZZNS0_12_GLOBAL__N_139_amp_non_finite_check_and_unscale_cuda_ERNS_6TensorES5_RKS4_ENKUlvE_clEvENKUlvE1_clEvEUlN3c104HalfEE_EEvRNS_18TensorIteratorBaseERKT_EUlibE_EEviT1_
; %bb.0:
	s_clause 0x4
	s_load_dword s16, s[4:5], 0x0
	s_load_dword s1, s[4:5], 0x30
	s_load_dwordx4 s[8:11], s[4:5], 0x8
	s_load_dwordx2 s[2:3], s[4:5], 0x18
	s_load_dwordx4 s[12:15], s[4:5], 0x20
	v_lshl_or_b32 v2, s6, 9, v0
	s_mov_b32 s4, 0
	s_mov_b32 s7, 0
	s_mov_b32 s0, exec_lo
	v_or_b32_e32 v0, 0x180, v2
	s_waitcnt lgkmcnt(0)
	s_bfe_u32 s5, s1, 0x80008
	v_cmpx_le_i32_e64 s16, v0
	s_xor_b32 s6, exec_lo, s0
	s_cbranch_execz .LBB23_1039
; %bb.1:
	s_mov_b32 s21, -1
	s_mov_b32 s19, 0
	s_mov_b32 s17, 0
	s_mov_b32 s18, exec_lo
	v_cmpx_gt_i32_e64 s16, v2
	s_cbranch_execz .LBB23_254
; %bb.2:
	v_mul_lo_u32 v0, v2, s3
	s_and_b32 s0, 0xffff, s5
	s_cmp_lt_i32 s0, 11
	v_ashrrev_i32_e32 v1, 31, v0
	v_add_co_u32 v0, vcc_lo, s10, v0
	v_add_co_ci_u32_e64 v1, null, s11, v1, vcc_lo
	s_cbranch_scc1 .LBB23_9
; %bb.3:
	s_cmp_gt_i32 s0, 25
	s_cbranch_scc0 .LBB23_20
; %bb.4:
	s_cmp_gt_i32 s0, 28
	s_cbranch_scc0 .LBB23_23
	;; [unrolled: 3-line block ×4, first 2 shown]
; %bb.7:
	s_cmp_eq_u32 s0, 46
	s_mov_b32 s20, 0
	s_cbranch_scc0 .LBB23_29
; %bb.8:
	global_load_dword v3, v[0:1], off
	s_mov_b32 s7, -1
	s_waitcnt vmcnt(0)
	v_lshlrev_b32_e32 v3, 16, v3
	v_cvt_f16_f32_e32 v3, v3
	s_branch .LBB23_31
.LBB23_9:
                                        ; implicit-def: $vgpr3
	s_cbranch_execnz .LBB23_204
.LBB23_10:
	s_andn2_b32 vcc_lo, exec_lo, s7
	s_cbranch_vccnz .LBB23_251
.LBB23_11:
	s_waitcnt vmcnt(0)
	v_cvt_f32_f16_e32 v0, v3
	s_mov_b32 s0, exec_lo
	v_cmpx_nlg_f32_e64 0x7f800000, |v0|
	s_cbranch_execz .LBB23_13
; %bb.12:
	v_mov_b32_e32 v1, 0
	v_mov_b32_e32 v4, 1.0
	global_store_dword v1, v4, s[12:13]
.LBB23_13:
	s_or_b32 exec_lo, exec_lo, s0
	v_mov_b32_e32 v1, 0
	s_and_b32 s7, s1, 0xff
	s_cmp_lt_i32 s7, 11
	global_load_dword v4, v1, s[14:15]
	v_mul_lo_u32 v1, v2, s2
	v_ashrrev_i32_e32 v5, 31, v1
	s_waitcnt vmcnt(0)
	v_fma_mixlo_f16 v6, v4, v0, 0
	v_add_co_u32 v0, vcc_lo, s8, v1
	v_add_co_ci_u32_e64 v1, null, s9, v5, vcc_lo
	v_cmp_eq_f32_e32 vcc_lo, 1.0, v4
	v_cndmask_b32_e32 v3, v6, v3, vcc_lo
	s_cbranch_scc1 .LBB23_21
; %bb.14:
	s_and_b32 s20, 0xffff, s7
	s_cmp_gt_i32 s20, 25
	s_cbranch_scc0 .LBB23_24
; %bb.15:
	s_cmp_gt_i32 s20, 28
	s_cbranch_scc0 .LBB23_26
; %bb.16:
	s_cmp_gt_i32 s20, 43
	s_cbranch_scc0 .LBB23_28
; %bb.17:
	s_cmp_gt_i32 s20, 45
	s_cbranch_scc0 .LBB23_34
; %bb.18:
	s_mov_b32 s22, 0
	s_mov_b32 s0, -1
	s_cmp_eq_u32 s20, 46
	s_mov_b32 s21, 0
	s_cbranch_scc0 .LBB23_35
; %bb.19:
	v_cvt_f32_f16_e32 v4, v3
	v_cmp_o_f16_e32 vcc_lo, v3, v3
	s_mov_b32 s21, -1
	s_mov_b32 s0, 0
	v_bfe_u32 v5, v4, 16, 1
	v_add3_u32 v4, v4, v5, 0x7fff
	v_mov_b32_e32 v5, 0x7fc0
	v_cndmask_b32_sdwa v4, v5, v4, vcc_lo dst_sel:DWORD dst_unused:UNUSED_PAD src0_sel:DWORD src1_sel:WORD_1
	global_store_dword v[0:1], v4, off
	s_branch .LBB23_35
.LBB23_20:
                                        ; implicit-def: $vgpr3
	s_cbranch_execnz .LBB23_169
	s_branch .LBB23_203
.LBB23_21:
	s_mov_b32 s0, 0
	s_mov_b32 s21, 0
	s_cbranch_execnz .LBB23_104
.LBB23_22:
	s_andn2_b32 vcc_lo, exec_lo, s21
	s_cbranch_vccnz .LBB23_252
	s_branch .LBB23_142
.LBB23_23:
	s_mov_b32 s20, -1
                                        ; implicit-def: $vgpr3
	s_branch .LBB23_150
.LBB23_24:
	s_mov_b32 s22, -1
	s_mov_b32 s0, 0
	s_mov_b32 s21, 0
	s_branch .LBB23_62
.LBB23_25:
	s_mov_b32 s20, -1
                                        ; implicit-def: $vgpr3
	s_branch .LBB23_145
.LBB23_26:
	s_mov_b32 s22, -1
	s_mov_b32 s0, 0
	s_mov_b32 s21, 0
	s_branch .LBB23_45
.LBB23_27:
	s_mov_b32 s20, -1
	s_branch .LBB23_30
.LBB23_28:
	s_mov_b32 s22, -1
	s_mov_b32 s0, 0
	s_mov_b32 s21, 0
	s_branch .LBB23_41
.LBB23_29:
	s_mov_b32 s17, -1
.LBB23_30:
                                        ; implicit-def: $vgpr3
.LBB23_31:
	s_and_b32 vcc_lo, exec_lo, s20
	s_cbranch_vccz .LBB23_144
; %bb.32:
	s_cmp_eq_u32 s0, 44
	s_cbranch_scc0 .LBB23_143
; %bb.33:
	global_load_ubyte v3, v[0:1], off
	s_mov_b32 s17, 0
	s_mov_b32 s7, -1
	s_waitcnt vmcnt(0)
	v_lshlrev_b32_e32 v4, 23, v3
	v_cmp_ne_u32_e32 vcc_lo, 0xff, v3
	v_cvt_f16_f32_e32 v4, v4
	v_cndmask_b32_e32 v4, 0x7e00, v4, vcc_lo
	v_cmp_ne_u32_e32 vcc_lo, 0, v3
	v_cndmask_b32_e32 v3, 0, v4, vcc_lo
	s_branch .LBB23_144
.LBB23_34:
	s_mov_b32 s22, -1
	s_mov_b32 s0, 0
	s_mov_b32 s21, 0
.LBB23_35:
	s_and_b32 vcc_lo, exec_lo, s22
	s_cbranch_vccz .LBB23_40
; %bb.36:
	s_cmp_eq_u32 s20, 44
	s_mov_b32 s0, -1
	s_cbranch_scc0 .LBB23_40
; %bb.37:
	v_cvt_f32_f16_e32 v4, v3
	v_mov_b32_e32 v5, 0xff
	s_mov_b32 s21, exec_lo
	v_bfe_u32 v6, v4, 23, 8
	v_cmpx_ne_u32_e32 0xff, v6
	s_cbranch_execz .LBB23_39
; %bb.38:
	v_and_b32_e32 v5, 0x400000, v4
	v_and_or_b32 v6, 0x3fffff, v4, v6
	v_lshrrev_b32_e32 v4, 23, v4
	v_cmp_ne_u32_e32 vcc_lo, 0, v5
	v_cmp_ne_u32_e64 s0, 0, v6
	s_and_b32 s0, vcc_lo, s0
	v_cndmask_b32_e64 v5, 0, 1, s0
	v_add_nc_u32_e32 v5, v4, v5
.LBB23_39:
	s_or_b32 exec_lo, exec_lo, s21
	s_mov_b32 s21, -1
	s_mov_b32 s0, 0
	global_store_byte v[0:1], v5, off
.LBB23_40:
	s_mov_b32 s22, 0
.LBB23_41:
	s_and_b32 vcc_lo, exec_lo, s22
	s_cbranch_vccz .LBB23_44
; %bb.42:
	s_cmp_eq_u32 s20, 29
	s_mov_b32 s0, -1
	s_cbranch_scc0 .LBB23_44
; %bb.43:
	v_cvt_f32_f16_e32 v4, v3
	v_mov_b32_e32 v5, 0
	s_mov_b32 s21, -1
	s_mov_b32 s0, 0
	s_mov_b32 s22, 0
	v_cvt_u32_f32_e32 v4, v4
	global_store_dwordx2 v[0:1], v[4:5], off
	s_branch .LBB23_45
.LBB23_44:
	s_mov_b32 s22, 0
.LBB23_45:
	s_and_b32 vcc_lo, exec_lo, s22
	s_cbranch_vccz .LBB23_61
; %bb.46:
	s_cmp_lt_i32 s20, 27
	s_mov_b32 s21, -1
	s_cbranch_scc1 .LBB23_52
; %bb.47:
	s_cmp_gt_i32 s20, 27
	s_cbranch_scc0 .LBB23_49
; %bb.48:
	v_cvt_f32_f16_e32 v4, v3
	s_mov_b32 s21, 0
	v_cvt_u32_f32_e32 v4, v4
	global_store_dword v[0:1], v4, off
.LBB23_49:
	s_andn2_b32 vcc_lo, exec_lo, s21
	s_cbranch_vccnz .LBB23_51
; %bb.50:
	v_cvt_u16_f16_e32 v4, v3
	global_store_short v[0:1], v4, off
.LBB23_51:
	s_mov_b32 s21, 0
.LBB23_52:
	s_andn2_b32 vcc_lo, exec_lo, s21
	s_cbranch_vccnz .LBB23_60
; %bb.53:
	v_cvt_f32_f16_e32 v4, v3
	v_mov_b32_e32 v6, 0x80
	s_mov_b32 s21, exec_lo
	v_and_b32_e32 v5, 0x7fffffff, v4
	v_cmpx_gt_u32_e32 0x43800000, v5
	s_cbranch_execz .LBB23_59
; %bb.54:
	v_cmp_lt_u32_e32 vcc_lo, 0x3bffffff, v5
	s_mov_b32 s22, 0
                                        ; implicit-def: $vgpr5
	s_and_saveexec_b32 s23, vcc_lo
	s_xor_b32 s23, exec_lo, s23
	s_cbranch_execz .LBB23_283
; %bb.55:
	v_bfe_u32 v5, v4, 20, 1
	s_mov_b32 s22, exec_lo
	v_add3_u32 v5, v4, v5, 0x487ffff
	v_lshrrev_b32_e32 v5, 20, v5
	s_andn2_saveexec_b32 s23, s23
	s_cbranch_execnz .LBB23_284
.LBB23_56:
	s_or_b32 exec_lo, exec_lo, s23
	v_mov_b32_e32 v6, 0
	s_and_saveexec_b32 s23, s22
.LBB23_57:
	v_lshrrev_b32_e32 v4, 24, v4
	v_and_or_b32 v6, 0x80, v4, v5
.LBB23_58:
	s_or_b32 exec_lo, exec_lo, s23
.LBB23_59:
	s_or_b32 exec_lo, exec_lo, s21
	global_store_byte v[0:1], v6, off
.LBB23_60:
	s_mov_b32 s21, -1
.LBB23_61:
	s_mov_b32 s22, 0
.LBB23_62:
	s_and_b32 vcc_lo, exec_lo, s22
	s_cbranch_vccz .LBB23_103
; %bb.63:
	s_cmp_gt_i32 s20, 22
	s_mov_b32 s22, -1
	s_cbranch_scc0 .LBB23_95
; %bb.64:
	s_cmp_lt_i32 s20, 24
	s_mov_b32 s21, -1
	s_cbranch_scc1 .LBB23_84
; %bb.65:
	s_cmp_gt_i32 s20, 24
	s_cbranch_scc0 .LBB23_73
; %bb.66:
	v_cvt_f32_f16_e32 v4, v3
	v_mov_b32_e32 v6, 0x80
	s_mov_b32 s21, exec_lo
	v_and_b32_e32 v5, 0x7fffffff, v4
	v_cmpx_gt_u32_e32 0x47800000, v5
	s_cbranch_execz .LBB23_72
; %bb.67:
	v_cmp_lt_u32_e32 vcc_lo, 0x37ffffff, v5
	s_mov_b32 s22, 0
                                        ; implicit-def: $vgpr5
	s_and_saveexec_b32 s23, vcc_lo
	s_xor_b32 s23, exec_lo, s23
	s_cbranch_execz .LBB23_287
; %bb.68:
	v_bfe_u32 v5, v4, 21, 1
	s_mov_b32 s22, exec_lo
	v_add3_u32 v5, v4, v5, 0x88fffff
	v_lshrrev_b32_e32 v5, 21, v5
	s_andn2_saveexec_b32 s23, s23
	s_cbranch_execnz .LBB23_288
.LBB23_69:
	s_or_b32 exec_lo, exec_lo, s23
	v_mov_b32_e32 v6, 0
	s_and_saveexec_b32 s23, s22
.LBB23_70:
	v_lshrrev_b32_e32 v4, 24, v4
	v_and_or_b32 v6, 0x80, v4, v5
.LBB23_71:
	s_or_b32 exec_lo, exec_lo, s23
.LBB23_72:
	s_or_b32 exec_lo, exec_lo, s21
	s_mov_b32 s21, 0
	global_store_byte v[0:1], v6, off
.LBB23_73:
	s_and_b32 vcc_lo, exec_lo, s21
	s_cbranch_vccz .LBB23_83
; %bb.74:
	v_cvt_f32_f16_e32 v4, v3
	s_mov_b32 s21, exec_lo
                                        ; implicit-def: $vgpr5
	v_and_b32_e32 v6, 0x7fffffff, v4
	v_cmpx_gt_u32_e32 0x43f00000, v6
	s_xor_b32 s21, exec_lo, s21
	s_cbranch_execz .LBB23_80
; %bb.75:
	s_mov_b32 s22, exec_lo
                                        ; implicit-def: $vgpr5
	v_cmpx_lt_u32_e32 0x3c7fffff, v6
	s_xor_b32 s22, exec_lo, s22
; %bb.76:
	v_bfe_u32 v5, v4, 20, 1
	v_add3_u32 v5, v4, v5, 0x407ffff
	v_and_b32_e32 v6, 0xff00000, v5
	v_lshrrev_b32_e32 v5, 20, v5
	v_cmp_ne_u32_e32 vcc_lo, 0x7f00000, v6
	v_cndmask_b32_e32 v5, 0x7e, v5, vcc_lo
; %bb.77:
	s_andn2_saveexec_b32 s22, s22
; %bb.78:
	v_add_f32_e64 v5, 0x46800000, |v4|
; %bb.79:
	s_or_b32 exec_lo, exec_lo, s22
                                        ; implicit-def: $vgpr6
.LBB23_80:
	s_andn2_saveexec_b32 s21, s21
; %bb.81:
	v_mov_b32_e32 v5, 0x7f
	v_cmp_lt_u32_e32 vcc_lo, 0x7f800000, v6
	v_cndmask_b32_e32 v5, 0x7e, v5, vcc_lo
; %bb.82:
	s_or_b32 exec_lo, exec_lo, s21
	v_lshrrev_b32_e32 v4, 24, v4
	v_and_or_b32 v4, 0x80, v4, v5
	global_store_byte v[0:1], v4, off
.LBB23_83:
	s_mov_b32 s21, 0
.LBB23_84:
	s_andn2_b32 vcc_lo, exec_lo, s21
	s_cbranch_vccnz .LBB23_94
; %bb.85:
	v_cvt_f32_f16_e32 v4, v3
	s_mov_b32 s21, exec_lo
                                        ; implicit-def: $vgpr5
	v_and_b32_e32 v6, 0x7fffffff, v4
	v_cmpx_gt_u32_e32 0x47800000, v6
	s_xor_b32 s21, exec_lo, s21
	s_cbranch_execz .LBB23_91
; %bb.86:
	s_mov_b32 s22, exec_lo
                                        ; implicit-def: $vgpr5
	v_cmpx_lt_u32_e32 0x387fffff, v6
	s_xor_b32 s22, exec_lo, s22
; %bb.87:
	v_bfe_u32 v5, v4, 21, 1
	v_add3_u32 v5, v4, v5, 0x80fffff
	v_lshrrev_b32_e32 v5, 21, v5
; %bb.88:
	s_andn2_saveexec_b32 s22, s22
; %bb.89:
	v_add_f32_e64 v5, 0x43000000, |v4|
; %bb.90:
	s_or_b32 exec_lo, exec_lo, s22
                                        ; implicit-def: $vgpr6
.LBB23_91:
	s_andn2_saveexec_b32 s21, s21
; %bb.92:
	v_mov_b32_e32 v5, 0x7f
	v_cmp_lt_u32_e32 vcc_lo, 0x7f800000, v6
	v_cndmask_b32_e32 v5, 0x7c, v5, vcc_lo
; %bb.93:
	s_or_b32 exec_lo, exec_lo, s21
	v_lshrrev_b32_e32 v4, 24, v4
	v_and_or_b32 v4, 0x80, v4, v5
	global_store_byte v[0:1], v4, off
.LBB23_94:
	s_mov_b32 s22, 0
	s_mov_b32 s21, -1
.LBB23_95:
	s_andn2_b32 vcc_lo, exec_lo, s22
	s_cbranch_vccnz .LBB23_103
; %bb.96:
	s_cmp_gt_i32 s20, 14
	s_mov_b32 s22, -1
	s_cbranch_scc0 .LBB23_100
; %bb.97:
	s_cmp_eq_u32 s20, 15
	s_mov_b32 s0, -1
	s_cbranch_scc0 .LBB23_99
; %bb.98:
	v_cvt_f32_f16_e32 v4, v3
	v_cmp_o_f16_e32 vcc_lo, v3, v3
	s_mov_b32 s21, -1
	s_mov_b32 s0, 0
	v_bfe_u32 v5, v4, 16, 1
	v_add3_u32 v4, v4, v5, 0x7fff
	v_mov_b32_e32 v5, 0x7fc0
	v_cndmask_b32_sdwa v4, v5, v4, vcc_lo dst_sel:DWORD dst_unused:UNUSED_PAD src0_sel:DWORD src1_sel:WORD_1
	global_store_short v[0:1], v4, off
.LBB23_99:
	s_mov_b32 s22, 0
.LBB23_100:
	s_and_b32 vcc_lo, exec_lo, s22
	s_cbranch_vccz .LBB23_103
; %bb.101:
	s_cmp_eq_u32 s20, 11
	s_mov_b32 s0, -1
	s_cbranch_scc0 .LBB23_103
; %bb.102:
	v_and_b32_e32 v4, 0x7fff, v3
	s_mov_b32 s0, 0
	s_mov_b32 s21, -1
	v_cmp_ne_u16_e32 vcc_lo, 0, v4
	v_cndmask_b32_e64 v4, 0, 1, vcc_lo
	global_store_byte v[0:1], v4, off
.LBB23_103:
	s_branch .LBB23_22
.LBB23_104:
	s_and_b32 s7, 0xffff, s7
	s_mov_b32 s20, -1
	s_cmp_lt_i32 s7, 5
	s_cbranch_scc1 .LBB23_125
; %bb.105:
	s_cmp_lt_i32 s7, 8
	s_cbranch_scc1 .LBB23_115
; %bb.106:
	;; [unrolled: 3-line block ×3, first 2 shown]
	s_cmp_gt_i32 s7, 9
	s_cbranch_scc0 .LBB23_109
; %bb.108:
	v_cvt_f32_f16_e32 v4, v3
	v_mov_b32_e32 v6, 0
	s_mov_b32 s20, 0
	v_cvt_f64_f32_e32 v[4:5], v4
	v_mov_b32_e32 v7, v6
	global_store_dwordx4 v[0:1], v[4:7], off
.LBB23_109:
	s_andn2_b32 vcc_lo, exec_lo, s20
	s_cbranch_vccnz .LBB23_111
; %bb.110:
	v_cvt_f32_f16_e32 v4, v3
	v_mov_b32_e32 v5, 0
	global_store_dwordx2 v[0:1], v[4:5], off
.LBB23_111:
	s_mov_b32 s20, 0
.LBB23_112:
	s_andn2_b32 vcc_lo, exec_lo, s20
	s_cbranch_vccnz .LBB23_114
; %bb.113:
	v_and_b32_e32 v4, 0xffff, v3
	global_store_dword v[0:1], v4, off
.LBB23_114:
	s_mov_b32 s20, 0
.LBB23_115:
	s_andn2_b32 vcc_lo, exec_lo, s20
	s_cbranch_vccnz .LBB23_124
; %bb.116:
	s_cmp_lt_i32 s7, 6
	s_mov_b32 s20, -1
	s_cbranch_scc1 .LBB23_122
; %bb.117:
	s_cmp_gt_i32 s7, 6
	s_cbranch_scc0 .LBB23_119
; %bb.118:
	v_cvt_f32_f16_e32 v4, v3
	s_mov_b32 s20, 0
	v_cvt_f64_f32_e32 v[4:5], v4
	global_store_dwordx2 v[0:1], v[4:5], off
.LBB23_119:
	s_andn2_b32 vcc_lo, exec_lo, s20
	s_cbranch_vccnz .LBB23_121
; %bb.120:
	v_cvt_f32_f16_e32 v4, v3
	global_store_dword v[0:1], v4, off
.LBB23_121:
	s_mov_b32 s20, 0
.LBB23_122:
	s_andn2_b32 vcc_lo, exec_lo, s20
	s_cbranch_vccnz .LBB23_124
; %bb.123:
	global_store_short v[0:1], v3, off
.LBB23_124:
	s_mov_b32 s20, 0
.LBB23_125:
	s_andn2_b32 vcc_lo, exec_lo, s20
	s_cbranch_vccnz .LBB23_141
; %bb.126:
	s_cmp_lt_i32 s7, 2
	s_mov_b32 s20, -1
	s_cbranch_scc1 .LBB23_136
; %bb.127:
	s_cmp_lt_i32 s7, 3
	s_cbranch_scc1 .LBB23_133
; %bb.128:
	s_cmp_gt_i32 s7, 3
	s_cbranch_scc0 .LBB23_130
; %bb.129:
	v_cvt_f32_f16_e32 v4, v3
	s_mov_b32 s20, 0
	v_cvt_i32_f32_e32 v4, v4
	v_ashrrev_i32_e32 v5, 31, v4
	global_store_dwordx2 v[0:1], v[4:5], off
.LBB23_130:
	s_andn2_b32 vcc_lo, exec_lo, s20
	s_cbranch_vccnz .LBB23_132
; %bb.131:
	v_cvt_f32_f16_e32 v4, v3
	v_cvt_i32_f32_e32 v4, v4
	global_store_dword v[0:1], v4, off
.LBB23_132:
	s_mov_b32 s20, 0
.LBB23_133:
	s_andn2_b32 vcc_lo, exec_lo, s20
	s_cbranch_vccnz .LBB23_135
; %bb.134:
	v_cvt_i16_f16_e32 v4, v3
	global_store_short v[0:1], v4, off
.LBB23_135:
	s_mov_b32 s20, 0
.LBB23_136:
	s_andn2_b32 vcc_lo, exec_lo, s20
	s_cbranch_vccnz .LBB23_141
; %bb.137:
	s_cmp_gt_i32 s7, 0
	s_mov_b32 s7, -1
	s_cbranch_scc0 .LBB23_139
; %bb.138:
	v_cvt_i16_f16_e32 v4, v3
	s_mov_b32 s7, 0
	global_store_byte v[0:1], v4, off
.LBB23_139:
	s_andn2_b32 vcc_lo, exec_lo, s7
	s_cbranch_vccnz .LBB23_141
; %bb.140:
	v_cvt_f32_f16_e32 v3, v3
	v_cvt_i32_f32_e32 v3, v3
	global_store_byte v[0:1], v3, off
.LBB23_141:
.LBB23_142:
	v_add_nc_u32_e32 v2, 0x80, v2
	s_mov_b32 s20, -1
	s_branch .LBB23_253
.LBB23_143:
	s_mov_b32 s17, -1
                                        ; implicit-def: $vgpr3
.LBB23_144:
	s_mov_b32 s20, 0
.LBB23_145:
	s_and_b32 vcc_lo, exec_lo, s20
	s_cbranch_vccz .LBB23_149
; %bb.146:
	s_cmp_eq_u32 s0, 29
	s_cbranch_scc0 .LBB23_148
; %bb.147:
	global_load_dwordx2 v[3:4], v[0:1], off
	s_mov_b32 s7, -1
	s_mov_b32 s17, 0
	s_mov_b32 s20, 0
	s_waitcnt vmcnt(0)
	v_ffbh_u32_e32 v5, v4
	v_min_u32_e32 v5, 32, v5
	v_lshlrev_b64 v[3:4], v5, v[3:4]
	v_min_u32_e32 v3, 1, v3
	v_or_b32_e32 v3, v4, v3
	v_sub_nc_u32_e32 v4, 32, v5
	v_cvt_f32_u32_e32 v3, v3
	v_ldexp_f32 v3, v3, v4
	v_cvt_f16_f32_e32 v3, v3
	s_branch .LBB23_150
.LBB23_148:
	s_mov_b32 s17, -1
                                        ; implicit-def: $vgpr3
.LBB23_149:
	s_mov_b32 s20, 0
.LBB23_150:
	s_and_b32 vcc_lo, exec_lo, s20
	s_cbranch_vccz .LBB23_168
; %bb.151:
	s_cmp_lt_i32 s0, 27
	s_cbranch_scc1 .LBB23_154
; %bb.152:
	s_cmp_gt_i32 s0, 27
	s_cbranch_scc0 .LBB23_155
; %bb.153:
	global_load_dword v3, v[0:1], off
	s_mov_b32 s7, 0
	s_waitcnt vmcnt(0)
	v_cvt_f32_u32_e32 v3, v3
	v_cvt_f16_f32_e32 v3, v3
	s_branch .LBB23_156
.LBB23_154:
	s_mov_b32 s7, -1
                                        ; implicit-def: $vgpr3
	s_branch .LBB23_159
.LBB23_155:
	s_mov_b32 s7, -1
                                        ; implicit-def: $vgpr3
.LBB23_156:
	s_andn2_b32 vcc_lo, exec_lo, s7
	s_cbranch_vccnz .LBB23_158
; %bb.157:
	global_load_ushort v3, v[0:1], off
	s_waitcnt vmcnt(0)
	v_cvt_f16_u16_e32 v3, v3
.LBB23_158:
	s_mov_b32 s7, 0
.LBB23_159:
	s_andn2_b32 vcc_lo, exec_lo, s7
	s_cbranch_vccnz .LBB23_167
; %bb.160:
	global_load_ubyte v4, v[0:1], off
	s_mov_b32 s7, 0
	s_mov_b32 s20, exec_lo
	s_waitcnt vmcnt(0)
	v_cmpx_lt_i16_e32 0x7f, v4
	s_xor_b32 s20, exec_lo, s20
	s_cbranch_execz .LBB23_180
; %bb.161:
	s_mov_b32 s7, -1
	s_mov_b32 s21, exec_lo
	v_cmpx_eq_u16_e32 0x80, v4
; %bb.162:
	s_xor_b32 s7, exec_lo, -1
; %bb.163:
	s_or_b32 exec_lo, exec_lo, s21
	s_and_b32 s7, s7, exec_lo
	s_or_saveexec_b32 s20, s20
	v_mov_b32_e32 v3, 0x7e00
	s_xor_b32 exec_lo, exec_lo, s20
	s_cbranch_execnz .LBB23_181
.LBB23_164:
	s_or_b32 exec_lo, exec_lo, s20
	s_and_saveexec_b32 s20, s7
	s_cbranch_execz .LBB23_166
.LBB23_165:
	v_and_b32_e32 v3, 0xffff, v4
	v_lshlrev_b32_e32 v4, 24, v4
	v_and_b32_e32 v5, 7, v3
	v_bfe_u32 v8, v3, 3, 4
	v_and_b32_e32 v4, 0x80000000, v4
	v_ffbh_u32_e32 v6, v5
	v_cmp_eq_u32_e32 vcc_lo, 0, v8
	v_min_u32_e32 v6, 32, v6
	v_subrev_nc_u32_e32 v7, 28, v6
	v_sub_nc_u32_e32 v6, 29, v6
	v_lshlrev_b32_e32 v3, v7, v3
	v_cndmask_b32_e32 v6, v8, v6, vcc_lo
	v_and_b32_e32 v3, 7, v3
	v_cndmask_b32_e32 v3, v5, v3, vcc_lo
	v_lshl_add_u32 v5, v6, 23, 0x3b800000
	v_lshlrev_b32_e32 v3, 20, v3
	v_or3_b32 v3, v4, v5, v3
	v_cvt_f16_f32_e32 v3, v3
.LBB23_166:
	s_or_b32 exec_lo, exec_lo, s20
.LBB23_167:
	s_mov_b32 s7, -1
.LBB23_168:
	s_branch .LBB23_203
.LBB23_169:
	s_cmp_gt_i32 s0, 22
	s_cbranch_scc0 .LBB23_179
; %bb.170:
	s_cmp_lt_i32 s0, 24
	s_cbranch_scc1 .LBB23_182
; %bb.171:
	s_cmp_gt_i32 s0, 24
	s_cbranch_scc0 .LBB23_183
; %bb.172:
	global_load_ubyte v4, v[0:1], off
	s_mov_b32 s7, 0
	s_mov_b32 s20, exec_lo
	s_waitcnt vmcnt(0)
	v_cmpx_lt_i16_e32 0x7f, v4
	s_xor_b32 s20, exec_lo, s20
	s_cbranch_execz .LBB23_195
; %bb.173:
	s_mov_b32 s7, -1
	s_mov_b32 s21, exec_lo
	v_cmpx_eq_u16_e32 0x80, v4
; %bb.174:
	s_xor_b32 s7, exec_lo, -1
; %bb.175:
	s_or_b32 exec_lo, exec_lo, s21
	s_and_b32 s7, s7, exec_lo
	s_or_saveexec_b32 s20, s20
	v_mov_b32_e32 v3, 0x7e00
	s_xor_b32 exec_lo, exec_lo, s20
	s_cbranch_execnz .LBB23_196
.LBB23_176:
	s_or_b32 exec_lo, exec_lo, s20
	s_and_saveexec_b32 s20, s7
	s_cbranch_execz .LBB23_178
.LBB23_177:
	v_and_b32_e32 v3, 0xffff, v4
	v_lshlrev_b32_e32 v4, 24, v4
	v_and_b32_e32 v5, 3, v3
	v_bfe_u32 v8, v3, 2, 5
	v_and_b32_e32 v4, 0x80000000, v4
	v_ffbh_u32_e32 v6, v5
	v_cmp_eq_u32_e32 vcc_lo, 0, v8
	v_min_u32_e32 v6, 32, v6
	v_subrev_nc_u32_e32 v7, 29, v6
	v_sub_nc_u32_e32 v6, 30, v6
	v_lshlrev_b32_e32 v3, v7, v3
	v_cndmask_b32_e32 v6, v8, v6, vcc_lo
	v_and_b32_e32 v3, 3, v3
	v_cndmask_b32_e32 v3, v5, v3, vcc_lo
	v_lshl_add_u32 v5, v6, 23, 0x37800000
	v_lshlrev_b32_e32 v3, 21, v3
	v_or3_b32 v3, v4, v5, v3
	v_cvt_f16_f32_e32 v3, v3
.LBB23_178:
	s_or_b32 exec_lo, exec_lo, s20
	s_mov_b32 s7, 0
	s_branch .LBB23_184
.LBB23_179:
	s_mov_b32 s20, -1
                                        ; implicit-def: $vgpr3
	s_branch .LBB23_190
.LBB23_180:
	s_or_saveexec_b32 s20, s20
	v_mov_b32_e32 v3, 0x7e00
	s_xor_b32 exec_lo, exec_lo, s20
	s_cbranch_execz .LBB23_164
.LBB23_181:
	v_cmp_ne_u16_e32 vcc_lo, 0, v4
	v_mov_b32_e32 v3, v4
	s_andn2_b32 s7, s7, exec_lo
	s_and_b32 s21, vcc_lo, exec_lo
	s_or_b32 s7, s7, s21
	s_or_b32 exec_lo, exec_lo, s20
	s_and_saveexec_b32 s20, s7
	s_cbranch_execnz .LBB23_165
	s_branch .LBB23_166
.LBB23_182:
	s_mov_b32 s7, -1
                                        ; implicit-def: $vgpr3
	s_branch .LBB23_187
.LBB23_183:
	s_mov_b32 s7, -1
                                        ; implicit-def: $vgpr3
.LBB23_184:
	s_and_b32 vcc_lo, exec_lo, s7
	s_cbranch_vccz .LBB23_186
; %bb.185:
	global_load_ubyte v3, v[0:1], off
	s_waitcnt vmcnt(0)
	v_lshlrev_b32_e32 v3, 24, v3
	v_and_b32_e32 v4, 0x7f000000, v3
	v_ffbh_u32_e32 v5, v4
	v_add_nc_u32_e32 v7, 0x1000000, v4
	v_cmp_ne_u32_e32 vcc_lo, 0, v4
	v_min_u32_e32 v5, 32, v5
	v_sub_nc_u32_e64 v5, v5, 4 clamp
	v_lshlrev_b32_e32 v6, v5, v4
	v_lshlrev_b32_e32 v5, 23, v5
	v_lshrrev_b32_e32 v6, 4, v6
	v_sub_nc_u32_e32 v5, v6, v5
	v_ashrrev_i32_e32 v6, 8, v7
	v_add_nc_u32_e32 v5, 0x3c000000, v5
	v_and_or_b32 v5, 0x7f800000, v6, v5
	v_cndmask_b32_e32 v4, 0, v5, vcc_lo
	v_and_or_b32 v3, 0x80000000, v3, v4
	v_cvt_f16_f32_e32 v3, v3
.LBB23_186:
	s_mov_b32 s7, 0
.LBB23_187:
	s_andn2_b32 vcc_lo, exec_lo, s7
	s_cbranch_vccnz .LBB23_189
; %bb.188:
	global_load_ubyte v3, v[0:1], off
	s_waitcnt vmcnt(0)
	v_lshlrev_b32_e32 v4, 25, v3
	v_lshlrev_b16 v3, 8, v3
	v_lshrrev_b32_e32 v5, 4, v4
	v_and_or_b32 v6, 0x7f00, v3, 0.5
	v_cmp_gt_u32_e32 vcc_lo, 0x8000000, v4
	v_bfe_i32 v3, v3, 0, 16
	v_or_b32_e32 v5, 0x70000000, v5
	v_add_f32_e32 v6, -0.5, v6
	v_mul_f32_e32 v5, 0x7800000, v5
	v_cndmask_b32_e32 v4, v5, v6, vcc_lo
	v_and_or_b32 v3, 0x80000000, v3, v4
	v_cvt_f16_f32_e32 v3, v3
.LBB23_189:
	s_mov_b32 s20, 0
	s_mov_b32 s7, -1
.LBB23_190:
	s_andn2_b32 vcc_lo, exec_lo, s20
	s_cbranch_vccnz .LBB23_203
; %bb.191:
	s_cmp_gt_i32 s0, 14
	s_cbranch_scc0 .LBB23_194
; %bb.192:
	s_cmp_eq_u32 s0, 15
	s_cbranch_scc0 .LBB23_197
; %bb.193:
	global_load_ushort v3, v[0:1], off
	s_mov_b32 s7, -1
	s_mov_b32 s17, 0
	s_waitcnt vmcnt(0)
	v_lshlrev_b32_e32 v3, 16, v3
	v_cvt_f16_f32_e32 v3, v3
	s_branch .LBB23_198
.LBB23_194:
	s_mov_b32 s20, -1
                                        ; implicit-def: $vgpr3
	s_branch .LBB23_199
.LBB23_195:
	s_or_saveexec_b32 s20, s20
	v_mov_b32_e32 v3, 0x7e00
	s_xor_b32 exec_lo, exec_lo, s20
	s_cbranch_execz .LBB23_176
.LBB23_196:
	v_cmp_ne_u16_e32 vcc_lo, 0, v4
	v_mov_b32_e32 v3, v4
	s_andn2_b32 s7, s7, exec_lo
	s_and_b32 s21, vcc_lo, exec_lo
	s_or_b32 s7, s7, s21
	s_or_b32 exec_lo, exec_lo, s20
	s_and_saveexec_b32 s20, s7
	s_cbranch_execnz .LBB23_177
	s_branch .LBB23_178
.LBB23_197:
	s_mov_b32 s17, -1
                                        ; implicit-def: $vgpr3
.LBB23_198:
	s_mov_b32 s20, 0
.LBB23_199:
	s_and_b32 vcc_lo, exec_lo, s20
	s_cbranch_vccz .LBB23_203
; %bb.200:
	s_cmp_eq_u32 s0, 11
	s_cbranch_scc0 .LBB23_202
; %bb.201:
	global_load_ubyte v3, v[0:1], off
	s_mov_b32 s17, 0
	s_mov_b32 s7, -1
	s_waitcnt vmcnt(0)
	v_cmp_ne_u16_e32 vcc_lo, 0, v3
	v_cndmask_b32_e64 v3, 0, 0x3c00, vcc_lo
	s_branch .LBB23_203
.LBB23_202:
	s_mov_b32 s17, -1
                                        ; implicit-def: $vgpr3
.LBB23_203:
	s_branch .LBB23_10
.LBB23_204:
	s_cmp_lt_i32 s0, 5
	s_cbranch_scc1 .LBB23_209
; %bb.205:
	s_cmp_lt_i32 s0, 8
	s_cbranch_scc1 .LBB23_210
; %bb.206:
	;; [unrolled: 3-line block ×3, first 2 shown]
	s_cmp_gt_i32 s0, 9
	s_cbranch_scc0 .LBB23_212
; %bb.208:
	global_load_dwordx2 v[3:4], v[0:1], off
	s_mov_b32 s7, 0
	s_waitcnt vmcnt(0)
	v_and_or_b32 v3, 0x1ff, v4, v3
	v_lshrrev_b32_e32 v5, 8, v4
	v_bfe_u32 v6, v4, 20, 11
	v_lshrrev_b32_e32 v4, 16, v4
	v_cmp_ne_u32_e32 vcc_lo, 0, v3
	v_sub_nc_u32_e32 v7, 0x3f1, v6
	v_add_nc_u32_e32 v6, 0xfffffc10, v6
	v_cndmask_b32_e64 v3, 0, 1, vcc_lo
	v_and_or_b32 v3, 0xffe, v5, v3
	v_med3_i32 v5, v7, 0, 13
	v_or_b32_e32 v7, 0x1000, v3
	v_lshrrev_b32_e32 v8, v5, v7
	v_lshlrev_b32_e32 v5, v5, v8
	v_cmp_ne_u32_e32 vcc_lo, v5, v7
	v_lshl_or_b32 v7, v6, 12, v3
	v_cndmask_b32_e64 v5, 0, 1, vcc_lo
	v_cmp_gt_i32_e32 vcc_lo, 1, v6
	v_or_b32_e32 v5, v8, v5
	v_cndmask_b32_e32 v5, v7, v5, vcc_lo
	v_and_b32_e32 v7, 7, v5
	v_lshrrev_b32_e32 v5, 2, v5
	v_cmp_lt_i32_e32 vcc_lo, 5, v7
	v_cndmask_b32_e64 v8, 0, 1, vcc_lo
	v_cmp_eq_u32_e32 vcc_lo, 3, v7
	v_cndmask_b32_e64 v7, 0, 1, vcc_lo
	v_cmp_ne_u32_e32 vcc_lo, 0, v3
	v_or_b32_e32 v7, v7, v8
	v_mov_b32_e32 v8, 0x7e00
	v_add_nc_u32_e32 v5, v5, v7
	v_cndmask_b32_e32 v3, 0x7c00, v8, vcc_lo
	v_cmp_gt_i32_e32 vcc_lo, 31, v6
	v_cndmask_b32_e32 v5, 0x7c00, v5, vcc_lo
	v_cmp_eq_u32_e32 vcc_lo, 0x40f, v6
	v_cndmask_b32_e32 v3, v5, v3, vcc_lo
	v_and_or_b32 v3, 0x8000, v4, v3
	s_branch .LBB23_213
.LBB23_209:
                                        ; implicit-def: $vgpr3
	s_branch .LBB23_231
.LBB23_210:
	s_mov_b32 s7, -1
                                        ; implicit-def: $vgpr3
	s_branch .LBB23_219
.LBB23_211:
	s_mov_b32 s7, -1
                                        ; implicit-def: $vgpr3
	s_branch .LBB23_216
.LBB23_212:
	s_mov_b32 s7, -1
                                        ; implicit-def: $vgpr3
.LBB23_213:
	s_andn2_b32 vcc_lo, exec_lo, s7
	s_cbranch_vccnz .LBB23_215
; %bb.214:
	global_load_dword v3, v[0:1], off
	s_waitcnt vmcnt(0)
	v_cvt_f16_f32_e32 v3, v3
.LBB23_215:
	s_mov_b32 s7, 0
.LBB23_216:
	s_andn2_b32 vcc_lo, exec_lo, s7
	s_cbranch_vccnz .LBB23_218
; %bb.217:
	global_load_dword v3, v[0:1], off
.LBB23_218:
	s_mov_b32 s7, 0
.LBB23_219:
	s_andn2_b32 vcc_lo, exec_lo, s7
	s_cbranch_vccnz .LBB23_230
; %bb.220:
	s_cmp_lt_i32 s0, 6
	s_cbranch_scc1 .LBB23_223
; %bb.221:
	s_cmp_gt_i32 s0, 6
	s_cbranch_scc0 .LBB23_224
; %bb.222:
	global_load_dwordx2 v[3:4], v[0:1], off
	s_mov_b32 s7, 0
	s_waitcnt vmcnt(0)
	v_and_or_b32 v3, 0x1ff, v4, v3
	v_lshrrev_b32_e32 v5, 8, v4
	v_bfe_u32 v6, v4, 20, 11
	v_lshrrev_b32_e32 v4, 16, v4
	v_cmp_ne_u32_e32 vcc_lo, 0, v3
	v_sub_nc_u32_e32 v7, 0x3f1, v6
	v_add_nc_u32_e32 v6, 0xfffffc10, v6
	v_cndmask_b32_e64 v3, 0, 1, vcc_lo
	v_and_or_b32 v3, 0xffe, v5, v3
	v_med3_i32 v5, v7, 0, 13
	v_or_b32_e32 v7, 0x1000, v3
	v_lshrrev_b32_e32 v8, v5, v7
	v_lshlrev_b32_e32 v5, v5, v8
	v_cmp_ne_u32_e32 vcc_lo, v5, v7
	v_lshl_or_b32 v7, v6, 12, v3
	v_cndmask_b32_e64 v5, 0, 1, vcc_lo
	v_cmp_gt_i32_e32 vcc_lo, 1, v6
	v_or_b32_e32 v5, v8, v5
	v_cndmask_b32_e32 v5, v7, v5, vcc_lo
	v_and_b32_e32 v7, 7, v5
	v_lshrrev_b32_e32 v5, 2, v5
	v_cmp_lt_i32_e32 vcc_lo, 5, v7
	v_cndmask_b32_e64 v8, 0, 1, vcc_lo
	v_cmp_eq_u32_e32 vcc_lo, 3, v7
	v_cndmask_b32_e64 v7, 0, 1, vcc_lo
	v_cmp_ne_u32_e32 vcc_lo, 0, v3
	v_or_b32_e32 v7, v7, v8
	v_mov_b32_e32 v8, 0x7e00
	v_add_nc_u32_e32 v5, v5, v7
	v_cndmask_b32_e32 v3, 0x7c00, v8, vcc_lo
	v_cmp_gt_i32_e32 vcc_lo, 31, v6
	v_cndmask_b32_e32 v5, 0x7c00, v5, vcc_lo
	v_cmp_eq_u32_e32 vcc_lo, 0x40f, v6
	v_cndmask_b32_e32 v3, v5, v3, vcc_lo
	v_and_or_b32 v3, 0x8000, v4, v3
	s_branch .LBB23_225
.LBB23_223:
	s_mov_b32 s7, -1
                                        ; implicit-def: $vgpr3
	s_branch .LBB23_228
.LBB23_224:
	s_mov_b32 s7, -1
                                        ; implicit-def: $vgpr3
.LBB23_225:
	s_andn2_b32 vcc_lo, exec_lo, s7
	s_cbranch_vccnz .LBB23_227
; %bb.226:
	global_load_dword v3, v[0:1], off
	s_waitcnt vmcnt(0)
	v_cvt_f16_f32_e32 v3, v3
.LBB23_227:
	s_mov_b32 s7, 0
.LBB23_228:
	s_andn2_b32 vcc_lo, exec_lo, s7
	s_cbranch_vccnz .LBB23_230
; %bb.229:
	global_load_ushort v3, v[0:1], off
.LBB23_230:
	s_cbranch_execnz .LBB23_250
.LBB23_231:
	s_cmp_lt_i32 s0, 2
	s_cbranch_scc1 .LBB23_235
; %bb.232:
	s_cmp_lt_i32 s0, 3
	s_cbranch_scc1 .LBB23_236
; %bb.233:
	s_cmp_gt_i32 s0, 3
	s_cbranch_scc0 .LBB23_237
; %bb.234:
	global_load_dwordx2 v[3:4], v[0:1], off
	s_mov_b32 s7, 0
	s_waitcnt vmcnt(0)
	v_xor_b32_e32 v5, v3, v4
	v_ffbh_i32_e32 v6, v4
	v_ashrrev_i32_e32 v5, 31, v5
	v_add_nc_u32_e32 v6, -1, v6
	v_add_nc_u32_e32 v5, 32, v5
	v_min_u32_e32 v5, v6, v5
	v_lshlrev_b64 v[3:4], v5, v[3:4]
	v_min_u32_e32 v3, 1, v3
	v_or_b32_e32 v3, v4, v3
	v_sub_nc_u32_e32 v4, 32, v5
	v_cvt_f32_i32_e32 v3, v3
	v_ldexp_f32 v3, v3, v4
	v_cvt_f16_f32_e32 v3, v3
	s_branch .LBB23_238
.LBB23_235:
	s_mov_b32 s7, -1
                                        ; implicit-def: $vgpr3
	s_branch .LBB23_244
.LBB23_236:
	s_mov_b32 s7, -1
                                        ; implicit-def: $vgpr3
	s_branch .LBB23_241
.LBB23_237:
	s_mov_b32 s7, -1
                                        ; implicit-def: $vgpr3
.LBB23_238:
	s_andn2_b32 vcc_lo, exec_lo, s7
	s_cbranch_vccnz .LBB23_240
; %bb.239:
	global_load_dword v3, v[0:1], off
	s_waitcnt vmcnt(0)
	v_cvt_f32_i32_e32 v3, v3
	v_cvt_f16_f32_e32 v3, v3
.LBB23_240:
	s_mov_b32 s7, 0
.LBB23_241:
	s_andn2_b32 vcc_lo, exec_lo, s7
	s_cbranch_vccnz .LBB23_243
; %bb.242:
	global_load_ushort v3, v[0:1], off
	s_waitcnt vmcnt(0)
	v_cvt_f16_i16_e32 v3, v3
.LBB23_243:
	s_mov_b32 s7, 0
.LBB23_244:
	s_andn2_b32 vcc_lo, exec_lo, s7
	s_cbranch_vccnz .LBB23_250
; %bb.245:
	s_cmp_gt_i32 s0, 0
	s_mov_b32 s0, 0
	s_cbranch_scc0 .LBB23_247
; %bb.246:
	global_load_sbyte v3, v[0:1], off
	s_waitcnt vmcnt(0)
	v_cvt_f16_i16_e32 v3, v3
	s_branch .LBB23_248
.LBB23_247:
	s_mov_b32 s0, -1
                                        ; implicit-def: $vgpr3
.LBB23_248:
	s_andn2_b32 vcc_lo, exec_lo, s0
	s_cbranch_vccnz .LBB23_250
; %bb.249:
	global_load_ubyte v0, v[0:1], off
	s_waitcnt vmcnt(0)
	v_cvt_f16_u16_e32 v3, v0
.LBB23_250:
	s_branch .LBB23_11
.LBB23_251:
	s_mov_b32 s0, 0
.LBB23_252:
	s_mov_b32 s20, 0
                                        ; implicit-def: $vgpr2
.LBB23_253:
	s_and_b32 s7, s0, exec_lo
	s_and_b32 s17, s17, exec_lo
	s_orn2_b32 s21, s20, exec_lo
.LBB23_254:
	s_or_b32 exec_lo, exec_lo, s18
	s_mov_b32 s20, 0
	s_mov_b32 s0, 0
                                        ; implicit-def: $vgpr0_vgpr1
                                        ; implicit-def: $vgpr4
	s_and_saveexec_b32 s18, s21
	s_cbranch_execz .LBB23_263
; %bb.255:
	s_mov_b32 s0, -1
	s_mov_b32 s19, s17
	s_mov_b32 s20, s7
	s_mov_b32 s21, exec_lo
	v_cmpx_gt_i32_e64 s16, v2
	s_cbranch_execz .LBB23_519
; %bb.256:
	v_mul_lo_u32 v0, v2, s3
	s_and_b32 s0, 0xffff, s5
	s_cmp_lt_i32 s0, 11
	v_ashrrev_i32_e32 v1, 31, v0
	v_add_co_u32 v0, vcc_lo, s10, v0
	v_add_co_ci_u32_e64 v1, null, s11, v1, vcc_lo
	s_cbranch_scc1 .LBB23_266
; %bb.257:
	s_cmp_gt_i32 s0, 25
	s_cbranch_scc0 .LBB23_277
; %bb.258:
	s_cmp_gt_i32 s0, 28
	s_cbranch_scc0 .LBB23_279
	;; [unrolled: 3-line block ×4, first 2 shown]
; %bb.261:
	s_cmp_eq_u32 s0, 46
	s_mov_b32 s22, 0
	s_cbranch_scc0 .LBB23_289
; %bb.262:
	global_load_dword v3, v[0:1], off
	s_mov_b32 s20, -1
	s_mov_b32 s19, 0
	s_waitcnt vmcnt(0)
	v_lshlrev_b32_e32 v3, 16, v3
	v_cvt_f16_f32_e32 v3, v3
	s_branch .LBB23_291
.LBB23_263:
	s_or_b32 exec_lo, exec_lo, s18
	s_mov_b32 s16, 0
	s_and_saveexec_b32 s18, s17
	s_cbranch_execnz .LBB23_869
.LBB23_264:
	s_or_b32 exec_lo, exec_lo, s18
	s_and_saveexec_b32 s17, s19
	s_xor_b32 s17, exec_lo, s17
	s_cbranch_execz .LBB23_870
.LBB23_265:
	global_load_ubyte v3, v[0:1], off
	s_or_b32 s0, s0, exec_lo
	s_waitcnt vmcnt(0)
	v_cmp_ne_u16_e32 vcc_lo, 0, v3
	v_cndmask_b32_e64 v4, 0, 0x3c00, vcc_lo
	s_or_b32 exec_lo, exec_lo, s17
	s_and_saveexec_b32 s17, s20
	s_cbranch_execz .LBB23_916
	s_branch .LBB23_871
.LBB23_266:
	s_mov_b32 s20, 0
	s_mov_b32 s19, s17
                                        ; implicit-def: $vgpr3
	s_cbranch_execnz .LBB23_468
.LBB23_267:
	s_andn2_b32 vcc_lo, exec_lo, s20
	s_cbranch_vccnz .LBB23_516
.LBB23_268:
	s_waitcnt vmcnt(0)
	v_cvt_f32_f16_e32 v0, v3
	s_mov_b32 s0, exec_lo
	v_cmpx_nlg_f32_e64 0x7f800000, |v0|
	s_cbranch_execz .LBB23_270
; %bb.269:
	v_mov_b32_e32 v1, 0
	v_mov_b32_e32 v4, 1.0
	global_store_dword v1, v4, s[12:13]
.LBB23_270:
	s_or_b32 exec_lo, exec_lo, s0
	v_mov_b32_e32 v1, 0
	s_and_b32 s20, s1, 0xff
	s_cmp_lt_i32 s20, 11
	global_load_dword v4, v1, s[14:15]
	v_mul_lo_u32 v1, v2, s2
	v_ashrrev_i32_e32 v5, 31, v1
	s_waitcnt vmcnt(0)
	v_fma_mixlo_f16 v6, v4, v0, 0
	v_add_co_u32 v0, vcc_lo, s8, v1
	v_add_co_ci_u32_e64 v1, null, s9, v5, vcc_lo
	v_cmp_eq_f32_e32 vcc_lo, 1.0, v4
	v_cndmask_b32_e32 v3, v6, v3, vcc_lo
	s_cbranch_scc1 .LBB23_278
; %bb.271:
	s_and_b32 s22, 0xffff, s20
	s_cmp_gt_i32 s22, 25
	s_cbranch_scc0 .LBB23_280
; %bb.272:
	s_cmp_gt_i32 s22, 28
	s_cbranch_scc0 .LBB23_282
; %bb.273:
	;; [unrolled: 3-line block ×4, first 2 shown]
	s_mov_b32 s24, 0
	s_mov_b32 s0, -1
	s_cmp_eq_u32 s22, 46
	s_mov_b32 s23, 0
	s_cbranch_scc0 .LBB23_295
; %bb.276:
	v_cvt_f32_f16_e32 v4, v3
	v_cmp_o_f16_e32 vcc_lo, v3, v3
	s_mov_b32 s23, -1
	s_mov_b32 s0, 0
	v_bfe_u32 v5, v4, 16, 1
	v_add3_u32 v4, v4, v5, 0x7fff
	v_mov_b32_e32 v5, 0x7fc0
	v_cndmask_b32_sdwa v4, v5, v4, vcc_lo dst_sel:DWORD dst_unused:UNUSED_PAD src0_sel:DWORD src1_sel:WORD_1
	global_store_dword v[0:1], v4, off
	s_branch .LBB23_295
.LBB23_277:
	s_mov_b32 s22, -1
	s_mov_b32 s20, 0
	s_mov_b32 s19, s17
                                        ; implicit-def: $vgpr3
	s_branch .LBB23_432
.LBB23_278:
	s_mov_b32 s22, -1
	s_mov_b32 s23, 0
	s_mov_b32 s0, s7
	s_branch .LBB23_364
.LBB23_279:
	s_mov_b32 s22, -1
	s_mov_b32 s20, 0
	s_mov_b32 s19, s17
                                        ; implicit-def: $vgpr3
	s_branch .LBB23_413
.LBB23_280:
	s_mov_b32 s24, -1
	s_mov_b32 s23, 0
	s_mov_b32 s0, s7
	s_branch .LBB23_322
.LBB23_281:
	s_mov_b32 s22, -1
	s_mov_b32 s20, 0
	s_mov_b32 s19, s17
                                        ; implicit-def: $vgpr3
	s_branch .LBB23_408
.LBB23_282:
	s_mov_b32 s24, -1
	s_mov_b32 s23, 0
	s_mov_b32 s0, s7
	s_branch .LBB23_305
.LBB23_283:
	s_andn2_saveexec_b32 s23, s23
	s_cbranch_execz .LBB23_56
.LBB23_284:
	v_add_f32_e64 v5, 0x46000000, |v4|
	s_andn2_b32 s22, s22, exec_lo
	v_and_b32_e32 v5, 0xff, v5
	v_cmp_ne_u32_e32 vcc_lo, 0, v5
	s_and_b32 s24, vcc_lo, exec_lo
	s_or_b32 s22, s22, s24
	s_or_b32 exec_lo, exec_lo, s23
	v_mov_b32_e32 v6, 0
	s_and_saveexec_b32 s23, s22
	s_cbranch_execnz .LBB23_57
	s_branch .LBB23_58
.LBB23_285:
	s_mov_b32 s22, -1
	s_mov_b32 s20, 0
	s_mov_b32 s19, s17
	s_branch .LBB23_290
.LBB23_286:
	s_mov_b32 s24, -1
	s_mov_b32 s23, 0
	s_mov_b32 s0, s7
	s_branch .LBB23_301
.LBB23_287:
	s_andn2_saveexec_b32 s23, s23
	s_cbranch_execz .LBB23_69
.LBB23_288:
	v_add_f32_e64 v5, 0x42800000, |v4|
	s_andn2_b32 s22, s22, exec_lo
	v_and_b32_e32 v5, 0xff, v5
	v_cmp_ne_u32_e32 vcc_lo, 0, v5
	s_and_b32 s24, vcc_lo, exec_lo
	s_or_b32 s22, s22, s24
	s_or_b32 exec_lo, exec_lo, s23
	v_mov_b32_e32 v6, 0
	s_and_saveexec_b32 s23, s22
	s_cbranch_execnz .LBB23_70
	s_branch .LBB23_71
.LBB23_289:
	s_mov_b32 s19, -1
	s_mov_b32 s20, 0
.LBB23_290:
                                        ; implicit-def: $vgpr3
.LBB23_291:
	s_and_b32 vcc_lo, exec_lo, s22
	s_cbranch_vccz .LBB23_407
; %bb.292:
	s_cmp_eq_u32 s0, 44
	s_cbranch_scc0 .LBB23_406
; %bb.293:
	global_load_ubyte v3, v[0:1], off
	s_mov_b32 s19, 0
	s_mov_b32 s20, -1
	s_waitcnt vmcnt(0)
	v_lshlrev_b32_e32 v4, 23, v3
	v_cmp_ne_u32_e32 vcc_lo, 0xff, v3
	v_cvt_f16_f32_e32 v4, v4
	v_cndmask_b32_e32 v4, 0x7e00, v4, vcc_lo
	v_cmp_ne_u32_e32 vcc_lo, 0, v3
	v_cndmask_b32_e32 v3, 0, v4, vcc_lo
	s_branch .LBB23_407
.LBB23_294:
	s_mov_b32 s24, -1
	s_mov_b32 s23, 0
	s_mov_b32 s0, s7
.LBB23_295:
	s_and_b32 vcc_lo, exec_lo, s24
	s_cbranch_vccz .LBB23_300
; %bb.296:
	s_cmp_eq_u32 s22, 44
	s_mov_b32 s0, -1
	s_cbranch_scc0 .LBB23_300
; %bb.297:
	v_cvt_f32_f16_e32 v4, v3
	v_mov_b32_e32 v5, 0xff
	s_mov_b32 s23, exec_lo
	v_bfe_u32 v6, v4, 23, 8
	v_cmpx_ne_u32_e32 0xff, v6
	s_cbranch_execz .LBB23_299
; %bb.298:
	v_and_b32_e32 v5, 0x400000, v4
	v_and_or_b32 v6, 0x3fffff, v4, v6
	v_lshrrev_b32_e32 v4, 23, v4
	v_cmp_ne_u32_e32 vcc_lo, 0, v5
	v_cmp_ne_u32_e64 s0, 0, v6
	s_and_b32 s0, vcc_lo, s0
	v_cndmask_b32_e64 v5, 0, 1, s0
	v_add_nc_u32_e32 v5, v4, v5
.LBB23_299:
	s_or_b32 exec_lo, exec_lo, s23
	s_mov_b32 s23, -1
	s_mov_b32 s0, 0
	global_store_byte v[0:1], v5, off
.LBB23_300:
	s_mov_b32 s24, 0
.LBB23_301:
	s_and_b32 vcc_lo, exec_lo, s24
	s_cbranch_vccz .LBB23_304
; %bb.302:
	s_cmp_eq_u32 s22, 29
	s_mov_b32 s0, -1
	s_cbranch_scc0 .LBB23_304
; %bb.303:
	v_cvt_f32_f16_e32 v4, v3
	v_mov_b32_e32 v5, 0
	s_mov_b32 s23, -1
	s_mov_b32 s0, 0
	s_mov_b32 s24, 0
	v_cvt_u32_f32_e32 v4, v4
	global_store_dwordx2 v[0:1], v[4:5], off
	s_branch .LBB23_305
.LBB23_304:
	s_mov_b32 s24, 0
.LBB23_305:
	s_and_b32 vcc_lo, exec_lo, s24
	s_cbranch_vccz .LBB23_321
; %bb.306:
	s_cmp_lt_i32 s22, 27
	s_mov_b32 s23, -1
	s_cbranch_scc1 .LBB23_312
; %bb.307:
	s_cmp_gt_i32 s22, 27
	s_cbranch_scc0 .LBB23_309
; %bb.308:
	v_cvt_f32_f16_e32 v4, v3
	s_mov_b32 s23, 0
	v_cvt_u32_f32_e32 v4, v4
	global_store_dword v[0:1], v4, off
.LBB23_309:
	s_andn2_b32 vcc_lo, exec_lo, s23
	s_cbranch_vccnz .LBB23_311
; %bb.310:
	v_cvt_u16_f16_e32 v4, v3
	global_store_short v[0:1], v4, off
.LBB23_311:
	s_mov_b32 s23, 0
.LBB23_312:
	s_andn2_b32 vcc_lo, exec_lo, s23
	s_cbranch_vccnz .LBB23_320
; %bb.313:
	v_cvt_f32_f16_e32 v4, v3
	v_mov_b32_e32 v6, 0x80
	s_mov_b32 s23, exec_lo
	v_and_b32_e32 v5, 0x7fffffff, v4
	v_cmpx_gt_u32_e32 0x43800000, v5
	s_cbranch_execz .LBB23_319
; %bb.314:
	v_cmp_lt_u32_e32 vcc_lo, 0x3bffffff, v5
	s_mov_b32 s24, 0
                                        ; implicit-def: $vgpr5
	s_and_saveexec_b32 s25, vcc_lo
	s_xor_b32 s25, exec_lo, s25
	s_cbranch_execz .LBB23_532
; %bb.315:
	v_bfe_u32 v5, v4, 20, 1
	s_mov_b32 s24, exec_lo
	v_add3_u32 v5, v4, v5, 0x487ffff
	v_lshrrev_b32_e32 v5, 20, v5
	s_andn2_saveexec_b32 s25, s25
	s_cbranch_execnz .LBB23_533
.LBB23_316:
	s_or_b32 exec_lo, exec_lo, s25
	v_mov_b32_e32 v6, 0
	s_and_saveexec_b32 s25, s24
.LBB23_317:
	v_lshrrev_b32_e32 v4, 24, v4
	v_and_or_b32 v6, 0x80, v4, v5
.LBB23_318:
	s_or_b32 exec_lo, exec_lo, s25
.LBB23_319:
	s_or_b32 exec_lo, exec_lo, s23
	global_store_byte v[0:1], v6, off
.LBB23_320:
	s_mov_b32 s23, -1
.LBB23_321:
	s_mov_b32 s24, 0
.LBB23_322:
	s_and_b32 vcc_lo, exec_lo, s24
	s_cbranch_vccz .LBB23_363
; %bb.323:
	s_cmp_gt_i32 s22, 22
	s_mov_b32 s24, -1
	s_cbranch_scc0 .LBB23_355
; %bb.324:
	s_cmp_lt_i32 s22, 24
	s_mov_b32 s23, -1
	s_cbranch_scc1 .LBB23_344
; %bb.325:
	s_cmp_gt_i32 s22, 24
	s_cbranch_scc0 .LBB23_333
; %bb.326:
	v_cvt_f32_f16_e32 v4, v3
	v_mov_b32_e32 v6, 0x80
	s_mov_b32 s23, exec_lo
	v_and_b32_e32 v5, 0x7fffffff, v4
	v_cmpx_gt_u32_e32 0x47800000, v5
	s_cbranch_execz .LBB23_332
; %bb.327:
	v_cmp_lt_u32_e32 vcc_lo, 0x37ffffff, v5
	s_mov_b32 s24, 0
                                        ; implicit-def: $vgpr5
	s_and_saveexec_b32 s25, vcc_lo
	s_xor_b32 s25, exec_lo, s25
	s_cbranch_execz .LBB23_535
; %bb.328:
	v_bfe_u32 v5, v4, 21, 1
	s_mov_b32 s24, exec_lo
	v_add3_u32 v5, v4, v5, 0x88fffff
	v_lshrrev_b32_e32 v5, 21, v5
	s_andn2_saveexec_b32 s25, s25
	s_cbranch_execnz .LBB23_536
.LBB23_329:
	s_or_b32 exec_lo, exec_lo, s25
	v_mov_b32_e32 v6, 0
	s_and_saveexec_b32 s25, s24
.LBB23_330:
	v_lshrrev_b32_e32 v4, 24, v4
	v_and_or_b32 v6, 0x80, v4, v5
.LBB23_331:
	s_or_b32 exec_lo, exec_lo, s25
.LBB23_332:
	s_or_b32 exec_lo, exec_lo, s23
	s_mov_b32 s23, 0
	global_store_byte v[0:1], v6, off
.LBB23_333:
	s_and_b32 vcc_lo, exec_lo, s23
	s_cbranch_vccz .LBB23_343
; %bb.334:
	v_cvt_f32_f16_e32 v4, v3
	s_mov_b32 s23, exec_lo
                                        ; implicit-def: $vgpr5
	v_and_b32_e32 v6, 0x7fffffff, v4
	v_cmpx_gt_u32_e32 0x43f00000, v6
	s_xor_b32 s23, exec_lo, s23
	s_cbranch_execz .LBB23_340
; %bb.335:
	s_mov_b32 s24, exec_lo
                                        ; implicit-def: $vgpr5
	v_cmpx_lt_u32_e32 0x3c7fffff, v6
	s_xor_b32 s24, exec_lo, s24
; %bb.336:
	v_bfe_u32 v5, v4, 20, 1
	v_add3_u32 v5, v4, v5, 0x407ffff
	v_and_b32_e32 v6, 0xff00000, v5
	v_lshrrev_b32_e32 v5, 20, v5
	v_cmp_ne_u32_e32 vcc_lo, 0x7f00000, v6
	v_cndmask_b32_e32 v5, 0x7e, v5, vcc_lo
; %bb.337:
	s_andn2_saveexec_b32 s24, s24
; %bb.338:
	v_add_f32_e64 v5, 0x46800000, |v4|
; %bb.339:
	s_or_b32 exec_lo, exec_lo, s24
                                        ; implicit-def: $vgpr6
.LBB23_340:
	s_andn2_saveexec_b32 s23, s23
; %bb.341:
	v_mov_b32_e32 v5, 0x7f
	v_cmp_lt_u32_e32 vcc_lo, 0x7f800000, v6
	v_cndmask_b32_e32 v5, 0x7e, v5, vcc_lo
; %bb.342:
	s_or_b32 exec_lo, exec_lo, s23
	v_lshrrev_b32_e32 v4, 24, v4
	v_and_or_b32 v4, 0x80, v4, v5
	global_store_byte v[0:1], v4, off
.LBB23_343:
	s_mov_b32 s23, 0
.LBB23_344:
	s_andn2_b32 vcc_lo, exec_lo, s23
	s_cbranch_vccnz .LBB23_354
; %bb.345:
	v_cvt_f32_f16_e32 v4, v3
	s_mov_b32 s23, exec_lo
                                        ; implicit-def: $vgpr5
	v_and_b32_e32 v6, 0x7fffffff, v4
	v_cmpx_gt_u32_e32 0x47800000, v6
	s_xor_b32 s23, exec_lo, s23
	s_cbranch_execz .LBB23_351
; %bb.346:
	s_mov_b32 s24, exec_lo
                                        ; implicit-def: $vgpr5
	v_cmpx_lt_u32_e32 0x387fffff, v6
	s_xor_b32 s24, exec_lo, s24
; %bb.347:
	v_bfe_u32 v5, v4, 21, 1
	v_add3_u32 v5, v4, v5, 0x80fffff
	v_lshrrev_b32_e32 v5, 21, v5
; %bb.348:
	s_andn2_saveexec_b32 s24, s24
; %bb.349:
	v_add_f32_e64 v5, 0x43000000, |v4|
; %bb.350:
	s_or_b32 exec_lo, exec_lo, s24
                                        ; implicit-def: $vgpr6
.LBB23_351:
	s_andn2_saveexec_b32 s23, s23
; %bb.352:
	v_mov_b32_e32 v5, 0x7f
	v_cmp_lt_u32_e32 vcc_lo, 0x7f800000, v6
	v_cndmask_b32_e32 v5, 0x7c, v5, vcc_lo
; %bb.353:
	s_or_b32 exec_lo, exec_lo, s23
	v_lshrrev_b32_e32 v4, 24, v4
	v_and_or_b32 v4, 0x80, v4, v5
	global_store_byte v[0:1], v4, off
.LBB23_354:
	s_mov_b32 s24, 0
	s_mov_b32 s23, -1
.LBB23_355:
	s_andn2_b32 vcc_lo, exec_lo, s24
	s_cbranch_vccnz .LBB23_363
; %bb.356:
	s_cmp_gt_i32 s22, 14
	s_mov_b32 s24, -1
	s_cbranch_scc0 .LBB23_360
; %bb.357:
	s_cmp_eq_u32 s22, 15
	s_mov_b32 s0, -1
	s_cbranch_scc0 .LBB23_359
; %bb.358:
	v_cvt_f32_f16_e32 v4, v3
	v_cmp_o_f16_e32 vcc_lo, v3, v3
	s_mov_b32 s23, -1
	s_mov_b32 s0, 0
	v_bfe_u32 v5, v4, 16, 1
	v_add3_u32 v4, v4, v5, 0x7fff
	v_mov_b32_e32 v5, 0x7fc0
	v_cndmask_b32_sdwa v4, v5, v4, vcc_lo dst_sel:DWORD dst_unused:UNUSED_PAD src0_sel:DWORD src1_sel:WORD_1
	global_store_short v[0:1], v4, off
.LBB23_359:
	s_mov_b32 s24, 0
.LBB23_360:
	s_and_b32 vcc_lo, exec_lo, s24
	s_cbranch_vccz .LBB23_363
; %bb.361:
	s_cmp_eq_u32 s22, 11
	s_mov_b32 s0, -1
	s_cbranch_scc0 .LBB23_363
; %bb.362:
	v_and_b32_e32 v4, 0x7fff, v3
	s_mov_b32 s0, 0
	s_mov_b32 s23, -1
	v_cmp_ne_u16_e32 vcc_lo, 0, v4
	v_cndmask_b32_e64 v4, 0, 1, vcc_lo
	global_store_byte v[0:1], v4, off
.LBB23_363:
	s_mov_b32 s22, 0
.LBB23_364:
	s_and_b32 vcc_lo, exec_lo, s22
	s_cbranch_vccz .LBB23_403
; %bb.365:
	s_and_b32 s20, 0xffff, s20
	s_mov_b32 s22, -1
	s_cmp_lt_i32 s20, 5
	s_cbranch_scc1 .LBB23_386
; %bb.366:
	s_cmp_lt_i32 s20, 8
	s_cbranch_scc1 .LBB23_376
; %bb.367:
	;; [unrolled: 3-line block ×3, first 2 shown]
	s_cmp_gt_i32 s20, 9
	s_cbranch_scc0 .LBB23_370
; %bb.369:
	v_cvt_f32_f16_e32 v4, v3
	v_mov_b32_e32 v6, 0
	s_mov_b32 s22, 0
	v_cvt_f64_f32_e32 v[4:5], v4
	v_mov_b32_e32 v7, v6
	global_store_dwordx4 v[0:1], v[4:7], off
.LBB23_370:
	s_andn2_b32 vcc_lo, exec_lo, s22
	s_cbranch_vccnz .LBB23_372
; %bb.371:
	v_cvt_f32_f16_e32 v4, v3
	v_mov_b32_e32 v5, 0
	global_store_dwordx2 v[0:1], v[4:5], off
.LBB23_372:
	s_mov_b32 s22, 0
.LBB23_373:
	s_andn2_b32 vcc_lo, exec_lo, s22
	s_cbranch_vccnz .LBB23_375
; %bb.374:
	v_and_b32_e32 v4, 0xffff, v3
	global_store_dword v[0:1], v4, off
.LBB23_375:
	s_mov_b32 s22, 0
.LBB23_376:
	s_andn2_b32 vcc_lo, exec_lo, s22
	s_cbranch_vccnz .LBB23_385
; %bb.377:
	s_cmp_lt_i32 s20, 6
	s_mov_b32 s22, -1
	s_cbranch_scc1 .LBB23_383
; %bb.378:
	s_cmp_gt_i32 s20, 6
	s_cbranch_scc0 .LBB23_380
; %bb.379:
	v_cvt_f32_f16_e32 v4, v3
	s_mov_b32 s22, 0
	v_cvt_f64_f32_e32 v[4:5], v4
	global_store_dwordx2 v[0:1], v[4:5], off
.LBB23_380:
	s_andn2_b32 vcc_lo, exec_lo, s22
	s_cbranch_vccnz .LBB23_382
; %bb.381:
	v_cvt_f32_f16_e32 v4, v3
	global_store_dword v[0:1], v4, off
.LBB23_382:
	s_mov_b32 s22, 0
.LBB23_383:
	s_andn2_b32 vcc_lo, exec_lo, s22
	s_cbranch_vccnz .LBB23_385
; %bb.384:
	global_store_short v[0:1], v3, off
.LBB23_385:
	s_mov_b32 s22, 0
.LBB23_386:
	s_andn2_b32 vcc_lo, exec_lo, s22
	s_cbranch_vccnz .LBB23_402
; %bb.387:
	s_cmp_lt_i32 s20, 2
	s_mov_b32 s22, -1
	s_cbranch_scc1 .LBB23_397
; %bb.388:
	s_cmp_lt_i32 s20, 3
	s_cbranch_scc1 .LBB23_394
; %bb.389:
	s_cmp_gt_i32 s20, 3
	s_cbranch_scc0 .LBB23_391
; %bb.390:
	v_cvt_f32_f16_e32 v4, v3
	s_mov_b32 s22, 0
	v_cvt_i32_f32_e32 v4, v4
	v_ashrrev_i32_e32 v5, 31, v4
	global_store_dwordx2 v[0:1], v[4:5], off
.LBB23_391:
	s_andn2_b32 vcc_lo, exec_lo, s22
	s_cbranch_vccnz .LBB23_393
; %bb.392:
	v_cvt_f32_f16_e32 v4, v3
	v_cvt_i32_f32_e32 v4, v4
	global_store_dword v[0:1], v4, off
.LBB23_393:
	s_mov_b32 s22, 0
.LBB23_394:
	s_andn2_b32 vcc_lo, exec_lo, s22
	s_cbranch_vccnz .LBB23_396
; %bb.395:
	v_cvt_i16_f16_e32 v4, v3
	global_store_short v[0:1], v4, off
.LBB23_396:
	s_mov_b32 s22, 0
.LBB23_397:
	s_andn2_b32 vcc_lo, exec_lo, s22
	s_cbranch_vccnz .LBB23_402
; %bb.398:
	s_cmp_gt_i32 s20, 0
	s_mov_b32 s20, -1
	s_cbranch_scc0 .LBB23_400
; %bb.399:
	v_cvt_i16_f16_e32 v4, v3
	s_mov_b32 s20, 0
	global_store_byte v[0:1], v4, off
.LBB23_400:
	s_andn2_b32 vcc_lo, exec_lo, s20
	s_cbranch_vccnz .LBB23_402
; %bb.401:
	v_cvt_f32_f16_e32 v3, v3
	v_cvt_i32_f32_e32 v3, v3
	global_store_byte v[0:1], v3, off
.LBB23_402:
	s_mov_b32 s23, -1
.LBB23_403:
	s_andn2_b32 vcc_lo, exec_lo, s23
	s_cbranch_vccnz .LBB23_405
; %bb.404:
	v_add_nc_u32_e32 v2, 0x80, v2
	s_mov_b32 s22, -1
	s_branch .LBB23_518
.LBB23_405:
	s_mov_b32 s22, 0
	s_branch .LBB23_517
.LBB23_406:
	s_mov_b32 s19, -1
                                        ; implicit-def: $vgpr3
.LBB23_407:
	s_mov_b32 s22, 0
.LBB23_408:
	s_and_b32 vcc_lo, exec_lo, s22
	s_cbranch_vccz .LBB23_412
; %bb.409:
	s_cmp_eq_u32 s0, 29
	s_cbranch_scc0 .LBB23_411
; %bb.410:
	global_load_dwordx2 v[3:4], v[0:1], off
	s_mov_b32 s20, -1
	s_mov_b32 s19, 0
	s_mov_b32 s22, 0
	s_waitcnt vmcnt(0)
	v_ffbh_u32_e32 v5, v4
	v_min_u32_e32 v5, 32, v5
	v_lshlrev_b64 v[3:4], v5, v[3:4]
	v_min_u32_e32 v3, 1, v3
	v_or_b32_e32 v3, v4, v3
	v_sub_nc_u32_e32 v4, 32, v5
	v_cvt_f32_u32_e32 v3, v3
	v_ldexp_f32 v3, v3, v4
	v_cvt_f16_f32_e32 v3, v3
	s_branch .LBB23_413
.LBB23_411:
	s_mov_b32 s19, -1
                                        ; implicit-def: $vgpr3
.LBB23_412:
	s_mov_b32 s22, 0
.LBB23_413:
	s_and_b32 vcc_lo, exec_lo, s22
	s_cbranch_vccz .LBB23_431
; %bb.414:
	s_cmp_lt_i32 s0, 27
	s_cbranch_scc1 .LBB23_417
; %bb.415:
	s_cmp_gt_i32 s0, 27
	s_cbranch_scc0 .LBB23_418
; %bb.416:
	global_load_dword v3, v[0:1], off
	s_mov_b32 s20, 0
	s_waitcnt vmcnt(0)
	v_cvt_f32_u32_e32 v3, v3
	v_cvt_f16_f32_e32 v3, v3
	s_branch .LBB23_419
.LBB23_417:
	s_mov_b32 s20, -1
                                        ; implicit-def: $vgpr3
	s_branch .LBB23_422
.LBB23_418:
	s_mov_b32 s20, -1
                                        ; implicit-def: $vgpr3
.LBB23_419:
	s_andn2_b32 vcc_lo, exec_lo, s20
	s_cbranch_vccnz .LBB23_421
; %bb.420:
	global_load_ushort v3, v[0:1], off
	s_waitcnt vmcnt(0)
	v_cvt_f16_u16_e32 v3, v3
.LBB23_421:
	s_mov_b32 s20, 0
.LBB23_422:
	s_andn2_b32 vcc_lo, exec_lo, s20
	s_cbranch_vccnz .LBB23_430
; %bb.423:
	global_load_ubyte v4, v[0:1], off
	s_mov_b32 s20, 0
	s_mov_b32 s22, exec_lo
	s_waitcnt vmcnt(0)
	v_cmpx_lt_i16_e32 0x7f, v4
	s_xor_b32 s22, exec_lo, s22
	s_cbranch_execz .LBB23_444
; %bb.424:
	s_mov_b32 s20, -1
	s_mov_b32 s23, exec_lo
	v_cmpx_eq_u16_e32 0x80, v4
; %bb.425:
	s_xor_b32 s20, exec_lo, -1
; %bb.426:
	s_or_b32 exec_lo, exec_lo, s23
	s_and_b32 s20, s20, exec_lo
	s_or_saveexec_b32 s22, s22
	v_mov_b32_e32 v3, 0x7e00
	s_xor_b32 exec_lo, exec_lo, s22
	s_cbranch_execnz .LBB23_445
.LBB23_427:
	s_or_b32 exec_lo, exec_lo, s22
	s_and_saveexec_b32 s22, s20
	s_cbranch_execz .LBB23_429
.LBB23_428:
	v_and_b32_e32 v3, 0xffff, v4
	v_lshlrev_b32_e32 v4, 24, v4
	v_and_b32_e32 v5, 7, v3
	v_bfe_u32 v8, v3, 3, 4
	v_and_b32_e32 v4, 0x80000000, v4
	v_ffbh_u32_e32 v6, v5
	v_cmp_eq_u32_e32 vcc_lo, 0, v8
	v_min_u32_e32 v6, 32, v6
	v_subrev_nc_u32_e32 v7, 28, v6
	v_sub_nc_u32_e32 v6, 29, v6
	v_lshlrev_b32_e32 v3, v7, v3
	v_cndmask_b32_e32 v6, v8, v6, vcc_lo
	v_and_b32_e32 v3, 7, v3
	v_cndmask_b32_e32 v3, v5, v3, vcc_lo
	v_lshl_add_u32 v5, v6, 23, 0x3b800000
	v_lshlrev_b32_e32 v3, 20, v3
	v_or3_b32 v3, v4, v5, v3
	v_cvt_f16_f32_e32 v3, v3
.LBB23_429:
	s_or_b32 exec_lo, exec_lo, s22
.LBB23_430:
	s_mov_b32 s20, -1
.LBB23_431:
	s_mov_b32 s22, 0
.LBB23_432:
	s_and_b32 vcc_lo, exec_lo, s22
	s_cbranch_vccz .LBB23_467
; %bb.433:
	s_cmp_gt_i32 s0, 22
	s_cbranch_scc0 .LBB23_443
; %bb.434:
	s_cmp_lt_i32 s0, 24
	s_cbranch_scc1 .LBB23_446
; %bb.435:
	s_cmp_gt_i32 s0, 24
	s_cbranch_scc0 .LBB23_447
; %bb.436:
	global_load_ubyte v4, v[0:1], off
	s_mov_b32 s20, 0
	s_mov_b32 s22, exec_lo
	s_waitcnt vmcnt(0)
	v_cmpx_lt_i16_e32 0x7f, v4
	s_xor_b32 s22, exec_lo, s22
	s_cbranch_execz .LBB23_459
; %bb.437:
	s_mov_b32 s20, -1
	s_mov_b32 s23, exec_lo
	v_cmpx_eq_u16_e32 0x80, v4
; %bb.438:
	s_xor_b32 s20, exec_lo, -1
; %bb.439:
	s_or_b32 exec_lo, exec_lo, s23
	s_and_b32 s20, s20, exec_lo
	s_or_saveexec_b32 s22, s22
	v_mov_b32_e32 v3, 0x7e00
	s_xor_b32 exec_lo, exec_lo, s22
	s_cbranch_execnz .LBB23_460
.LBB23_440:
	s_or_b32 exec_lo, exec_lo, s22
	s_and_saveexec_b32 s22, s20
	s_cbranch_execz .LBB23_442
.LBB23_441:
	v_and_b32_e32 v3, 0xffff, v4
	v_lshlrev_b32_e32 v4, 24, v4
	v_and_b32_e32 v5, 3, v3
	v_bfe_u32 v8, v3, 2, 5
	v_and_b32_e32 v4, 0x80000000, v4
	v_ffbh_u32_e32 v6, v5
	v_cmp_eq_u32_e32 vcc_lo, 0, v8
	v_min_u32_e32 v6, 32, v6
	v_subrev_nc_u32_e32 v7, 29, v6
	v_sub_nc_u32_e32 v6, 30, v6
	v_lshlrev_b32_e32 v3, v7, v3
	v_cndmask_b32_e32 v6, v8, v6, vcc_lo
	v_and_b32_e32 v3, 3, v3
	v_cndmask_b32_e32 v3, v5, v3, vcc_lo
	v_lshl_add_u32 v5, v6, 23, 0x37800000
	v_lshlrev_b32_e32 v3, 21, v3
	v_or3_b32 v3, v4, v5, v3
	v_cvt_f16_f32_e32 v3, v3
.LBB23_442:
	s_or_b32 exec_lo, exec_lo, s22
	s_mov_b32 s20, 0
	s_branch .LBB23_448
.LBB23_443:
	s_mov_b32 s22, -1
                                        ; implicit-def: $vgpr3
	s_branch .LBB23_454
.LBB23_444:
	s_or_saveexec_b32 s22, s22
	v_mov_b32_e32 v3, 0x7e00
	s_xor_b32 exec_lo, exec_lo, s22
	s_cbranch_execz .LBB23_427
.LBB23_445:
	v_cmp_ne_u16_e32 vcc_lo, 0, v4
	v_mov_b32_e32 v3, v4
	s_andn2_b32 s20, s20, exec_lo
	s_and_b32 s23, vcc_lo, exec_lo
	s_or_b32 s20, s20, s23
	s_or_b32 exec_lo, exec_lo, s22
	s_and_saveexec_b32 s22, s20
	s_cbranch_execnz .LBB23_428
	s_branch .LBB23_429
.LBB23_446:
	s_mov_b32 s20, -1
                                        ; implicit-def: $vgpr3
	s_branch .LBB23_451
.LBB23_447:
	s_mov_b32 s20, -1
                                        ; implicit-def: $vgpr3
.LBB23_448:
	s_and_b32 vcc_lo, exec_lo, s20
	s_cbranch_vccz .LBB23_450
; %bb.449:
	global_load_ubyte v3, v[0:1], off
	s_waitcnt vmcnt(0)
	v_lshlrev_b32_e32 v3, 24, v3
	v_and_b32_e32 v4, 0x7f000000, v3
	v_ffbh_u32_e32 v5, v4
	v_add_nc_u32_e32 v7, 0x1000000, v4
	v_cmp_ne_u32_e32 vcc_lo, 0, v4
	v_min_u32_e32 v5, 32, v5
	v_sub_nc_u32_e64 v5, v5, 4 clamp
	v_lshlrev_b32_e32 v6, v5, v4
	v_lshlrev_b32_e32 v5, 23, v5
	v_lshrrev_b32_e32 v6, 4, v6
	v_sub_nc_u32_e32 v5, v6, v5
	v_ashrrev_i32_e32 v6, 8, v7
	v_add_nc_u32_e32 v5, 0x3c000000, v5
	v_and_or_b32 v5, 0x7f800000, v6, v5
	v_cndmask_b32_e32 v4, 0, v5, vcc_lo
	v_and_or_b32 v3, 0x80000000, v3, v4
	v_cvt_f16_f32_e32 v3, v3
.LBB23_450:
	s_mov_b32 s20, 0
.LBB23_451:
	s_andn2_b32 vcc_lo, exec_lo, s20
	s_cbranch_vccnz .LBB23_453
; %bb.452:
	global_load_ubyte v3, v[0:1], off
	s_waitcnt vmcnt(0)
	v_lshlrev_b32_e32 v4, 25, v3
	v_lshlrev_b16 v3, 8, v3
	v_lshrrev_b32_e32 v5, 4, v4
	v_and_or_b32 v6, 0x7f00, v3, 0.5
	v_cmp_gt_u32_e32 vcc_lo, 0x8000000, v4
	v_bfe_i32 v3, v3, 0, 16
	v_or_b32_e32 v5, 0x70000000, v5
	v_add_f32_e32 v6, -0.5, v6
	v_mul_f32_e32 v5, 0x7800000, v5
	v_cndmask_b32_e32 v4, v5, v6, vcc_lo
	v_and_or_b32 v3, 0x80000000, v3, v4
	v_cvt_f16_f32_e32 v3, v3
.LBB23_453:
	s_mov_b32 s22, 0
	s_mov_b32 s20, -1
.LBB23_454:
	s_andn2_b32 vcc_lo, exec_lo, s22
	s_cbranch_vccnz .LBB23_467
; %bb.455:
	s_cmp_gt_i32 s0, 14
	s_cbranch_scc0 .LBB23_458
; %bb.456:
	s_cmp_eq_u32 s0, 15
	s_cbranch_scc0 .LBB23_461
; %bb.457:
	global_load_ushort v3, v[0:1], off
	s_mov_b32 s20, -1
	s_mov_b32 s19, 0
	s_waitcnt vmcnt(0)
	v_lshlrev_b32_e32 v3, 16, v3
	v_cvt_f16_f32_e32 v3, v3
	s_branch .LBB23_462
.LBB23_458:
	s_mov_b32 s22, -1
                                        ; implicit-def: $vgpr3
	s_branch .LBB23_463
.LBB23_459:
	s_or_saveexec_b32 s22, s22
	v_mov_b32_e32 v3, 0x7e00
	s_xor_b32 exec_lo, exec_lo, s22
	s_cbranch_execz .LBB23_440
.LBB23_460:
	v_cmp_ne_u16_e32 vcc_lo, 0, v4
	v_mov_b32_e32 v3, v4
	s_andn2_b32 s20, s20, exec_lo
	s_and_b32 s23, vcc_lo, exec_lo
	s_or_b32 s20, s20, s23
	s_or_b32 exec_lo, exec_lo, s22
	s_and_saveexec_b32 s22, s20
	s_cbranch_execnz .LBB23_441
	s_branch .LBB23_442
.LBB23_461:
	s_mov_b32 s19, -1
                                        ; implicit-def: $vgpr3
.LBB23_462:
	s_mov_b32 s22, 0
.LBB23_463:
	s_and_b32 vcc_lo, exec_lo, s22
	s_cbranch_vccz .LBB23_467
; %bb.464:
	s_cmp_eq_u32 s0, 11
	s_cbranch_scc0 .LBB23_466
; %bb.465:
	global_load_ubyte v3, v[0:1], off
	s_mov_b32 s19, 0
	s_mov_b32 s20, -1
	s_waitcnt vmcnt(0)
	v_cmp_ne_u16_e32 vcc_lo, 0, v3
	v_cndmask_b32_e64 v3, 0, 0x3c00, vcc_lo
	s_branch .LBB23_467
.LBB23_466:
	s_mov_b32 s19, -1
                                        ; implicit-def: $vgpr3
.LBB23_467:
	s_branch .LBB23_267
.LBB23_468:
	s_cmp_lt_i32 s0, 5
	s_cbranch_scc1 .LBB23_473
; %bb.469:
	s_cmp_lt_i32 s0, 8
	s_cbranch_scc1 .LBB23_474
; %bb.470:
	;; [unrolled: 3-line block ×3, first 2 shown]
	s_cmp_gt_i32 s0, 9
	s_cbranch_scc0 .LBB23_476
; %bb.472:
	global_load_dwordx2 v[3:4], v[0:1], off
	s_mov_b32 s20, 0
	s_waitcnt vmcnt(0)
	v_and_or_b32 v3, 0x1ff, v4, v3
	v_lshrrev_b32_e32 v5, 8, v4
	v_bfe_u32 v6, v4, 20, 11
	v_lshrrev_b32_e32 v4, 16, v4
	v_cmp_ne_u32_e32 vcc_lo, 0, v3
	v_sub_nc_u32_e32 v7, 0x3f1, v6
	v_add_nc_u32_e32 v6, 0xfffffc10, v6
	v_cndmask_b32_e64 v3, 0, 1, vcc_lo
	v_and_or_b32 v3, 0xffe, v5, v3
	v_med3_i32 v5, v7, 0, 13
	v_or_b32_e32 v7, 0x1000, v3
	v_lshrrev_b32_e32 v8, v5, v7
	v_lshlrev_b32_e32 v5, v5, v8
	v_cmp_ne_u32_e32 vcc_lo, v5, v7
	v_lshl_or_b32 v7, v6, 12, v3
	v_cndmask_b32_e64 v5, 0, 1, vcc_lo
	v_cmp_gt_i32_e32 vcc_lo, 1, v6
	v_or_b32_e32 v5, v8, v5
	v_cndmask_b32_e32 v5, v7, v5, vcc_lo
	v_and_b32_e32 v7, 7, v5
	v_lshrrev_b32_e32 v5, 2, v5
	v_cmp_lt_i32_e32 vcc_lo, 5, v7
	v_cndmask_b32_e64 v8, 0, 1, vcc_lo
	v_cmp_eq_u32_e32 vcc_lo, 3, v7
	v_cndmask_b32_e64 v7, 0, 1, vcc_lo
	v_cmp_ne_u32_e32 vcc_lo, 0, v3
	v_or_b32_e32 v7, v7, v8
	v_mov_b32_e32 v8, 0x7e00
	v_add_nc_u32_e32 v5, v5, v7
	v_cndmask_b32_e32 v3, 0x7c00, v8, vcc_lo
	v_cmp_gt_i32_e32 vcc_lo, 31, v6
	v_cndmask_b32_e32 v5, 0x7c00, v5, vcc_lo
	v_cmp_eq_u32_e32 vcc_lo, 0x40f, v6
	v_cndmask_b32_e32 v3, v5, v3, vcc_lo
	v_and_or_b32 v3, 0x8000, v4, v3
	s_branch .LBB23_477
.LBB23_473:
	s_mov_b32 s20, -1
                                        ; implicit-def: $vgpr3
	s_branch .LBB23_495
.LBB23_474:
	s_mov_b32 s20, -1
                                        ; implicit-def: $vgpr3
	s_branch .LBB23_483
.LBB23_475:
	s_mov_b32 s20, -1
                                        ; implicit-def: $vgpr3
	s_branch .LBB23_480
.LBB23_476:
	s_mov_b32 s20, -1
                                        ; implicit-def: $vgpr3
.LBB23_477:
	s_andn2_b32 vcc_lo, exec_lo, s20
	s_cbranch_vccnz .LBB23_479
; %bb.478:
	global_load_dword v3, v[0:1], off
	s_waitcnt vmcnt(0)
	v_cvt_f16_f32_e32 v3, v3
.LBB23_479:
	s_mov_b32 s20, 0
.LBB23_480:
	s_andn2_b32 vcc_lo, exec_lo, s20
	s_cbranch_vccnz .LBB23_482
; %bb.481:
	global_load_dword v3, v[0:1], off
.LBB23_482:
	s_mov_b32 s20, 0
.LBB23_483:
	s_andn2_b32 vcc_lo, exec_lo, s20
	s_cbranch_vccnz .LBB23_494
; %bb.484:
	s_cmp_lt_i32 s0, 6
	s_cbranch_scc1 .LBB23_487
; %bb.485:
	s_cmp_gt_i32 s0, 6
	s_cbranch_scc0 .LBB23_488
; %bb.486:
	global_load_dwordx2 v[3:4], v[0:1], off
	s_mov_b32 s20, 0
	s_waitcnt vmcnt(0)
	v_and_or_b32 v3, 0x1ff, v4, v3
	v_lshrrev_b32_e32 v5, 8, v4
	v_bfe_u32 v6, v4, 20, 11
	v_lshrrev_b32_e32 v4, 16, v4
	v_cmp_ne_u32_e32 vcc_lo, 0, v3
	v_sub_nc_u32_e32 v7, 0x3f1, v6
	v_add_nc_u32_e32 v6, 0xfffffc10, v6
	v_cndmask_b32_e64 v3, 0, 1, vcc_lo
	v_and_or_b32 v3, 0xffe, v5, v3
	v_med3_i32 v5, v7, 0, 13
	v_or_b32_e32 v7, 0x1000, v3
	v_lshrrev_b32_e32 v8, v5, v7
	v_lshlrev_b32_e32 v5, v5, v8
	v_cmp_ne_u32_e32 vcc_lo, v5, v7
	v_lshl_or_b32 v7, v6, 12, v3
	v_cndmask_b32_e64 v5, 0, 1, vcc_lo
	v_cmp_gt_i32_e32 vcc_lo, 1, v6
	v_or_b32_e32 v5, v8, v5
	v_cndmask_b32_e32 v5, v7, v5, vcc_lo
	v_and_b32_e32 v7, 7, v5
	v_lshrrev_b32_e32 v5, 2, v5
	v_cmp_lt_i32_e32 vcc_lo, 5, v7
	v_cndmask_b32_e64 v8, 0, 1, vcc_lo
	v_cmp_eq_u32_e32 vcc_lo, 3, v7
	v_cndmask_b32_e64 v7, 0, 1, vcc_lo
	v_cmp_ne_u32_e32 vcc_lo, 0, v3
	v_or_b32_e32 v7, v7, v8
	v_mov_b32_e32 v8, 0x7e00
	v_add_nc_u32_e32 v5, v5, v7
	v_cndmask_b32_e32 v3, 0x7c00, v8, vcc_lo
	v_cmp_gt_i32_e32 vcc_lo, 31, v6
	v_cndmask_b32_e32 v5, 0x7c00, v5, vcc_lo
	v_cmp_eq_u32_e32 vcc_lo, 0x40f, v6
	v_cndmask_b32_e32 v3, v5, v3, vcc_lo
	v_and_or_b32 v3, 0x8000, v4, v3
	s_branch .LBB23_489
.LBB23_487:
	s_mov_b32 s20, -1
                                        ; implicit-def: $vgpr3
	s_branch .LBB23_492
.LBB23_488:
	s_mov_b32 s20, -1
                                        ; implicit-def: $vgpr3
.LBB23_489:
	s_andn2_b32 vcc_lo, exec_lo, s20
	s_cbranch_vccnz .LBB23_491
; %bb.490:
	global_load_dword v3, v[0:1], off
	s_waitcnt vmcnt(0)
	v_cvt_f16_f32_e32 v3, v3
.LBB23_491:
	s_mov_b32 s20, 0
.LBB23_492:
	s_andn2_b32 vcc_lo, exec_lo, s20
	s_cbranch_vccnz .LBB23_494
; %bb.493:
	global_load_ushort v3, v[0:1], off
.LBB23_494:
	s_mov_b32 s20, 0
.LBB23_495:
	s_andn2_b32 vcc_lo, exec_lo, s20
	s_cbranch_vccnz .LBB23_515
; %bb.496:
	s_cmp_lt_i32 s0, 2
	s_cbranch_scc1 .LBB23_500
; %bb.497:
	s_cmp_lt_i32 s0, 3
	s_cbranch_scc1 .LBB23_501
; %bb.498:
	s_cmp_gt_i32 s0, 3
	s_cbranch_scc0 .LBB23_502
; %bb.499:
	global_load_dwordx2 v[3:4], v[0:1], off
	s_mov_b32 s20, 0
	s_waitcnt vmcnt(0)
	v_xor_b32_e32 v5, v3, v4
	v_ffbh_i32_e32 v6, v4
	v_ashrrev_i32_e32 v5, 31, v5
	v_add_nc_u32_e32 v6, -1, v6
	v_add_nc_u32_e32 v5, 32, v5
	v_min_u32_e32 v5, v6, v5
	v_lshlrev_b64 v[3:4], v5, v[3:4]
	v_min_u32_e32 v3, 1, v3
	v_or_b32_e32 v3, v4, v3
	v_sub_nc_u32_e32 v4, 32, v5
	v_cvt_f32_i32_e32 v3, v3
	v_ldexp_f32 v3, v3, v4
	v_cvt_f16_f32_e32 v3, v3
	s_branch .LBB23_503
.LBB23_500:
	s_mov_b32 s20, -1
                                        ; implicit-def: $vgpr3
	s_branch .LBB23_509
.LBB23_501:
	s_mov_b32 s20, -1
                                        ; implicit-def: $vgpr3
	s_branch .LBB23_506
.LBB23_502:
	s_mov_b32 s20, -1
                                        ; implicit-def: $vgpr3
.LBB23_503:
	s_andn2_b32 vcc_lo, exec_lo, s20
	s_cbranch_vccnz .LBB23_505
; %bb.504:
	global_load_dword v3, v[0:1], off
	s_waitcnt vmcnt(0)
	v_cvt_f32_i32_e32 v3, v3
	v_cvt_f16_f32_e32 v3, v3
.LBB23_505:
	s_mov_b32 s20, 0
.LBB23_506:
	s_andn2_b32 vcc_lo, exec_lo, s20
	s_cbranch_vccnz .LBB23_508
; %bb.507:
	global_load_ushort v3, v[0:1], off
	s_waitcnt vmcnt(0)
	v_cvt_f16_i16_e32 v3, v3
.LBB23_508:
	s_mov_b32 s20, 0
.LBB23_509:
	s_andn2_b32 vcc_lo, exec_lo, s20
	s_cbranch_vccnz .LBB23_515
; %bb.510:
	s_cmp_gt_i32 s0, 0
	s_mov_b32 s0, 0
	s_cbranch_scc0 .LBB23_512
; %bb.511:
	global_load_sbyte v3, v[0:1], off
	s_waitcnt vmcnt(0)
	v_cvt_f16_i16_e32 v3, v3
	s_branch .LBB23_513
.LBB23_512:
	s_mov_b32 s0, -1
                                        ; implicit-def: $vgpr3
.LBB23_513:
	s_andn2_b32 vcc_lo, exec_lo, s0
	s_cbranch_vccnz .LBB23_515
; %bb.514:
	global_load_ubyte v0, v[0:1], off
	s_waitcnt vmcnt(0)
	v_cvt_f16_u16_e32 v3, v0
.LBB23_515:
	s_branch .LBB23_268
.LBB23_516:
	s_mov_b32 s22, 0
	s_mov_b32 s0, s7
.LBB23_517:
                                        ; implicit-def: $vgpr2
.LBB23_518:
	s_andn2_b32 s20, s7, exec_lo
	s_and_b32 s0, s0, exec_lo
	s_andn2_b32 s23, s17, exec_lo
	s_and_b32 s19, s19, exec_lo
	s_or_b32 s20, s20, s0
	s_or_b32 s19, s23, s19
	s_orn2_b32 s0, s22, exec_lo
.LBB23_519:
	s_or_b32 exec_lo, exec_lo, s21
	s_mov_b32 s22, 0
	s_mov_b32 s23, 0
	;; [unrolled: 1-line block ×3, first 2 shown]
                                        ; implicit-def: $vgpr0_vgpr1
                                        ; implicit-def: $vgpr4
	s_and_saveexec_b32 s21, s0
	s_cbranch_execz .LBB23_868
; %bb.520:
	s_mov_b32 s24, -1
	s_mov_b32 s0, s19
	s_mov_b32 s23, s20
	s_mov_b32 s22, exec_lo
	v_cmpx_gt_i32_e64 s16, v2
	s_cbranch_execz .LBB23_782
; %bb.521:
	v_mul_lo_u32 v0, v2, s3
	s_and_b32 s0, 0xffff, s5
	s_cmp_lt_i32 s0, 11
	v_ashrrev_i32_e32 v1, 31, v0
	v_add_co_u32 v0, vcc_lo, s10, v0
	v_add_co_ci_u32_e64 v1, null, s11, v1, vcc_lo
	s_cbranch_scc1 .LBB23_528
; %bb.522:
	s_cmp_gt_i32 s0, 25
	s_cbranch_scc0 .LBB23_529
; %bb.523:
	s_cmp_gt_i32 s0, 28
	s_cbranch_scc0 .LBB23_530
	;; [unrolled: 3-line block ×4, first 2 shown]
; %bb.526:
	s_cmp_eq_u32 s0, 46
	s_mov_b32 s25, 0
	s_cbranch_scc0 .LBB23_537
; %bb.527:
	global_load_dword v3, v[0:1], off
	s_mov_b32 s23, 0
	s_waitcnt vmcnt(0)
	v_lshlrev_b32_e32 v3, 16, v3
	v_cvt_f16_f32_e32 v3, v3
	s_branch .LBB23_539
.LBB23_528:
	s_mov_b32 s25, -1
	s_mov_b32 s24, 0
	s_mov_b32 s23, s19
                                        ; implicit-def: $vgpr3
	s_branch .LBB23_604
.LBB23_529:
	s_mov_b32 s25, -1
	s_mov_b32 s24, 0
	s_mov_b32 s23, s19
                                        ; implicit-def: $vgpr3
	s_branch .LBB23_568
.LBB23_530:
	s_mov_b32 s25, -1
	s_mov_b32 s24, 0
	s_mov_b32 s23, s19
                                        ; implicit-def: $vgpr3
	s_branch .LBB23_549
.LBB23_531:
	s_mov_b32 s25, -1
	s_mov_b32 s24, 0
	s_mov_b32 s23, s19
                                        ; implicit-def: $vgpr3
	s_branch .LBB23_544
.LBB23_532:
	s_andn2_saveexec_b32 s25, s25
	s_cbranch_execz .LBB23_316
.LBB23_533:
	v_add_f32_e64 v5, 0x46000000, |v4|
	s_andn2_b32 s24, s24, exec_lo
	v_and_b32_e32 v5, 0xff, v5
	v_cmp_ne_u32_e32 vcc_lo, 0, v5
	s_and_b32 s26, vcc_lo, exec_lo
	s_or_b32 s24, s24, s26
	s_or_b32 exec_lo, exec_lo, s25
	v_mov_b32_e32 v6, 0
	s_and_saveexec_b32 s25, s24
	s_cbranch_execnz .LBB23_317
	s_branch .LBB23_318
.LBB23_534:
	s_mov_b32 s25, -1
	s_mov_b32 s24, 0
	s_mov_b32 s23, s19
	s_branch .LBB23_538
.LBB23_535:
	s_andn2_saveexec_b32 s25, s25
	s_cbranch_execz .LBB23_329
.LBB23_536:
	v_add_f32_e64 v5, 0x42800000, |v4|
	s_andn2_b32 s24, s24, exec_lo
	v_and_b32_e32 v5, 0xff, v5
	v_cmp_ne_u32_e32 vcc_lo, 0, v5
	s_and_b32 s26, vcc_lo, exec_lo
	s_or_b32 s24, s24, s26
	s_or_b32 exec_lo, exec_lo, s25
	v_mov_b32_e32 v6, 0
	s_and_saveexec_b32 s25, s24
	s_cbranch_execnz .LBB23_330
	s_branch .LBB23_331
.LBB23_537:
	s_mov_b32 s23, -1
	s_mov_b32 s24, 0
.LBB23_538:
                                        ; implicit-def: $vgpr3
.LBB23_539:
	s_and_b32 vcc_lo, exec_lo, s25
	s_cbranch_vccz .LBB23_543
; %bb.540:
	s_cmp_eq_u32 s0, 44
	s_cbranch_scc0 .LBB23_542
; %bb.541:
	global_load_ubyte v3, v[0:1], off
	s_mov_b32 s23, 0
	s_mov_b32 s24, -1
	s_waitcnt vmcnt(0)
	v_lshlrev_b32_e32 v4, 23, v3
	v_cmp_ne_u32_e32 vcc_lo, 0xff, v3
	v_cvt_f16_f32_e32 v4, v4
	v_cndmask_b32_e32 v4, 0x7e00, v4, vcc_lo
	v_cmp_ne_u32_e32 vcc_lo, 0, v3
	v_cndmask_b32_e32 v3, 0, v4, vcc_lo
	s_branch .LBB23_543
.LBB23_542:
	s_mov_b32 s23, -1
                                        ; implicit-def: $vgpr3
.LBB23_543:
	s_mov_b32 s25, 0
.LBB23_544:
	s_and_b32 vcc_lo, exec_lo, s25
	s_cbranch_vccz .LBB23_548
; %bb.545:
	s_cmp_eq_u32 s0, 29
	s_cbranch_scc0 .LBB23_547
; %bb.546:
	global_load_dwordx2 v[3:4], v[0:1], off
	s_mov_b32 s24, -1
	s_mov_b32 s23, 0
	s_mov_b32 s25, 0
	s_waitcnt vmcnt(0)
	v_ffbh_u32_e32 v5, v4
	v_min_u32_e32 v5, 32, v5
	v_lshlrev_b64 v[3:4], v5, v[3:4]
	v_min_u32_e32 v3, 1, v3
	v_or_b32_e32 v3, v4, v3
	v_sub_nc_u32_e32 v4, 32, v5
	v_cvt_f32_u32_e32 v3, v3
	v_ldexp_f32 v3, v3, v4
	v_cvt_f16_f32_e32 v3, v3
	s_branch .LBB23_549
.LBB23_547:
	s_mov_b32 s23, -1
                                        ; implicit-def: $vgpr3
.LBB23_548:
	s_mov_b32 s25, 0
.LBB23_549:
	s_and_b32 vcc_lo, exec_lo, s25
	s_cbranch_vccz .LBB23_567
; %bb.550:
	s_cmp_lt_i32 s0, 27
	s_cbranch_scc1 .LBB23_553
; %bb.551:
	s_cmp_gt_i32 s0, 27
	s_cbranch_scc0 .LBB23_554
; %bb.552:
	global_load_dword v3, v[0:1], off
	s_mov_b32 s24, 0
	s_waitcnt vmcnt(0)
	v_cvt_f32_u32_e32 v3, v3
	v_cvt_f16_f32_e32 v3, v3
	s_branch .LBB23_555
.LBB23_553:
	s_mov_b32 s24, -1
                                        ; implicit-def: $vgpr3
	s_branch .LBB23_558
.LBB23_554:
	s_mov_b32 s24, -1
                                        ; implicit-def: $vgpr3
.LBB23_555:
	s_andn2_b32 vcc_lo, exec_lo, s24
	s_cbranch_vccnz .LBB23_557
; %bb.556:
	global_load_ushort v3, v[0:1], off
	s_waitcnt vmcnt(0)
	v_cvt_f16_u16_e32 v3, v3
.LBB23_557:
	s_mov_b32 s24, 0
.LBB23_558:
	s_andn2_b32 vcc_lo, exec_lo, s24
	s_cbranch_vccnz .LBB23_566
; %bb.559:
	global_load_ubyte v4, v[0:1], off
	s_mov_b32 s24, 0
	s_mov_b32 s25, exec_lo
	s_waitcnt vmcnt(0)
	v_cmpx_lt_i16_e32 0x7f, v4
	s_xor_b32 s25, exec_lo, s25
	s_cbranch_execz .LBB23_580
; %bb.560:
	s_mov_b32 s24, -1
	s_mov_b32 s26, exec_lo
	v_cmpx_eq_u16_e32 0x80, v4
; %bb.561:
	s_xor_b32 s24, exec_lo, -1
; %bb.562:
	s_or_b32 exec_lo, exec_lo, s26
	s_and_b32 s24, s24, exec_lo
	s_or_saveexec_b32 s25, s25
	v_mov_b32_e32 v3, 0x7e00
	s_xor_b32 exec_lo, exec_lo, s25
	s_cbranch_execnz .LBB23_581
.LBB23_563:
	s_or_b32 exec_lo, exec_lo, s25
	s_and_saveexec_b32 s25, s24
	s_cbranch_execz .LBB23_565
.LBB23_564:
	v_and_b32_e32 v3, 0xffff, v4
	v_lshlrev_b32_e32 v4, 24, v4
	v_and_b32_e32 v5, 7, v3
	v_bfe_u32 v8, v3, 3, 4
	v_and_b32_e32 v4, 0x80000000, v4
	v_ffbh_u32_e32 v6, v5
	v_cmp_eq_u32_e32 vcc_lo, 0, v8
	v_min_u32_e32 v6, 32, v6
	v_subrev_nc_u32_e32 v7, 28, v6
	v_sub_nc_u32_e32 v6, 29, v6
	v_lshlrev_b32_e32 v3, v7, v3
	v_cndmask_b32_e32 v6, v8, v6, vcc_lo
	v_and_b32_e32 v3, 7, v3
	v_cndmask_b32_e32 v3, v5, v3, vcc_lo
	v_lshl_add_u32 v5, v6, 23, 0x3b800000
	v_lshlrev_b32_e32 v3, 20, v3
	v_or3_b32 v3, v4, v5, v3
	v_cvt_f16_f32_e32 v3, v3
.LBB23_565:
	s_or_b32 exec_lo, exec_lo, s25
.LBB23_566:
	s_mov_b32 s24, -1
.LBB23_567:
	s_mov_b32 s25, 0
.LBB23_568:
	s_and_b32 vcc_lo, exec_lo, s25
	s_cbranch_vccz .LBB23_603
; %bb.569:
	s_cmp_gt_i32 s0, 22
	s_cbranch_scc0 .LBB23_579
; %bb.570:
	s_cmp_lt_i32 s0, 24
	s_cbranch_scc1 .LBB23_582
; %bb.571:
	s_cmp_gt_i32 s0, 24
	s_cbranch_scc0 .LBB23_583
; %bb.572:
	global_load_ubyte v4, v[0:1], off
	s_mov_b32 s24, 0
	s_mov_b32 s25, exec_lo
	s_waitcnt vmcnt(0)
	v_cmpx_lt_i16_e32 0x7f, v4
	s_xor_b32 s25, exec_lo, s25
	s_cbranch_execz .LBB23_595
; %bb.573:
	s_mov_b32 s24, -1
	s_mov_b32 s26, exec_lo
	v_cmpx_eq_u16_e32 0x80, v4
; %bb.574:
	s_xor_b32 s24, exec_lo, -1
; %bb.575:
	s_or_b32 exec_lo, exec_lo, s26
	s_and_b32 s24, s24, exec_lo
	s_or_saveexec_b32 s25, s25
	v_mov_b32_e32 v3, 0x7e00
	s_xor_b32 exec_lo, exec_lo, s25
	s_cbranch_execnz .LBB23_596
.LBB23_576:
	s_or_b32 exec_lo, exec_lo, s25
	s_and_saveexec_b32 s25, s24
	s_cbranch_execz .LBB23_578
.LBB23_577:
	v_and_b32_e32 v3, 0xffff, v4
	v_lshlrev_b32_e32 v4, 24, v4
	v_and_b32_e32 v5, 3, v3
	v_bfe_u32 v8, v3, 2, 5
	v_and_b32_e32 v4, 0x80000000, v4
	v_ffbh_u32_e32 v6, v5
	v_cmp_eq_u32_e32 vcc_lo, 0, v8
	v_min_u32_e32 v6, 32, v6
	v_subrev_nc_u32_e32 v7, 29, v6
	v_sub_nc_u32_e32 v6, 30, v6
	v_lshlrev_b32_e32 v3, v7, v3
	v_cndmask_b32_e32 v6, v8, v6, vcc_lo
	v_and_b32_e32 v3, 3, v3
	v_cndmask_b32_e32 v3, v5, v3, vcc_lo
	v_lshl_add_u32 v5, v6, 23, 0x37800000
	v_lshlrev_b32_e32 v3, 21, v3
	v_or3_b32 v3, v4, v5, v3
	v_cvt_f16_f32_e32 v3, v3
.LBB23_578:
	s_or_b32 exec_lo, exec_lo, s25
	s_mov_b32 s24, 0
	s_branch .LBB23_584
.LBB23_579:
	s_mov_b32 s25, -1
                                        ; implicit-def: $vgpr3
	s_branch .LBB23_590
.LBB23_580:
	s_or_saveexec_b32 s25, s25
	v_mov_b32_e32 v3, 0x7e00
	s_xor_b32 exec_lo, exec_lo, s25
	s_cbranch_execz .LBB23_563
.LBB23_581:
	v_cmp_ne_u16_e32 vcc_lo, 0, v4
	v_mov_b32_e32 v3, v4
	s_andn2_b32 s24, s24, exec_lo
	s_and_b32 s26, vcc_lo, exec_lo
	s_or_b32 s24, s24, s26
	s_or_b32 exec_lo, exec_lo, s25
	s_and_saveexec_b32 s25, s24
	s_cbranch_execnz .LBB23_564
	s_branch .LBB23_565
.LBB23_582:
	s_mov_b32 s24, -1
                                        ; implicit-def: $vgpr3
	s_branch .LBB23_587
.LBB23_583:
	s_mov_b32 s24, -1
                                        ; implicit-def: $vgpr3
.LBB23_584:
	s_and_b32 vcc_lo, exec_lo, s24
	s_cbranch_vccz .LBB23_586
; %bb.585:
	global_load_ubyte v3, v[0:1], off
	s_waitcnt vmcnt(0)
	v_lshlrev_b32_e32 v3, 24, v3
	v_and_b32_e32 v4, 0x7f000000, v3
	v_ffbh_u32_e32 v5, v4
	v_add_nc_u32_e32 v7, 0x1000000, v4
	v_cmp_ne_u32_e32 vcc_lo, 0, v4
	v_min_u32_e32 v5, 32, v5
	v_sub_nc_u32_e64 v5, v5, 4 clamp
	v_lshlrev_b32_e32 v6, v5, v4
	v_lshlrev_b32_e32 v5, 23, v5
	v_lshrrev_b32_e32 v6, 4, v6
	v_sub_nc_u32_e32 v5, v6, v5
	v_ashrrev_i32_e32 v6, 8, v7
	v_add_nc_u32_e32 v5, 0x3c000000, v5
	v_and_or_b32 v5, 0x7f800000, v6, v5
	v_cndmask_b32_e32 v4, 0, v5, vcc_lo
	v_and_or_b32 v3, 0x80000000, v3, v4
	v_cvt_f16_f32_e32 v3, v3
.LBB23_586:
	s_mov_b32 s24, 0
.LBB23_587:
	s_andn2_b32 vcc_lo, exec_lo, s24
	s_cbranch_vccnz .LBB23_589
; %bb.588:
	global_load_ubyte v3, v[0:1], off
	s_waitcnt vmcnt(0)
	v_lshlrev_b32_e32 v4, 25, v3
	v_lshlrev_b16 v3, 8, v3
	v_lshrrev_b32_e32 v5, 4, v4
	v_and_or_b32 v6, 0x7f00, v3, 0.5
	v_cmp_gt_u32_e32 vcc_lo, 0x8000000, v4
	v_bfe_i32 v3, v3, 0, 16
	v_or_b32_e32 v5, 0x70000000, v5
	v_add_f32_e32 v6, -0.5, v6
	v_mul_f32_e32 v5, 0x7800000, v5
	v_cndmask_b32_e32 v4, v5, v6, vcc_lo
	v_and_or_b32 v3, 0x80000000, v3, v4
	v_cvt_f16_f32_e32 v3, v3
.LBB23_589:
	s_mov_b32 s25, 0
	s_mov_b32 s24, -1
.LBB23_590:
	s_andn2_b32 vcc_lo, exec_lo, s25
	s_cbranch_vccnz .LBB23_603
; %bb.591:
	s_cmp_gt_i32 s0, 14
	s_cbranch_scc0 .LBB23_594
; %bb.592:
	s_cmp_eq_u32 s0, 15
	s_cbranch_scc0 .LBB23_597
; %bb.593:
	global_load_ushort v3, v[0:1], off
	s_mov_b32 s24, -1
	s_mov_b32 s23, 0
	s_waitcnt vmcnt(0)
	v_lshlrev_b32_e32 v3, 16, v3
	v_cvt_f16_f32_e32 v3, v3
	s_branch .LBB23_598
.LBB23_594:
	s_mov_b32 s25, -1
                                        ; implicit-def: $vgpr3
	s_branch .LBB23_599
.LBB23_595:
	s_or_saveexec_b32 s25, s25
	v_mov_b32_e32 v3, 0x7e00
	s_xor_b32 exec_lo, exec_lo, s25
	s_cbranch_execz .LBB23_576
.LBB23_596:
	v_cmp_ne_u16_e32 vcc_lo, 0, v4
	v_mov_b32_e32 v3, v4
	s_andn2_b32 s24, s24, exec_lo
	s_and_b32 s26, vcc_lo, exec_lo
	s_or_b32 s24, s24, s26
	s_or_b32 exec_lo, exec_lo, s25
	s_and_saveexec_b32 s25, s24
	s_cbranch_execnz .LBB23_577
	s_branch .LBB23_578
.LBB23_597:
	s_mov_b32 s23, -1
                                        ; implicit-def: $vgpr3
.LBB23_598:
	s_mov_b32 s25, 0
.LBB23_599:
	s_and_b32 vcc_lo, exec_lo, s25
	s_cbranch_vccz .LBB23_603
; %bb.600:
	s_cmp_eq_u32 s0, 11
	s_cbranch_scc0 .LBB23_602
; %bb.601:
	global_load_ubyte v3, v[0:1], off
	s_mov_b32 s23, 0
	s_mov_b32 s24, -1
	s_waitcnt vmcnt(0)
	v_cmp_ne_u16_e32 vcc_lo, 0, v3
	v_cndmask_b32_e64 v3, 0, 0x3c00, vcc_lo
	s_branch .LBB23_603
.LBB23_602:
	s_mov_b32 s23, -1
                                        ; implicit-def: $vgpr3
.LBB23_603:
	s_mov_b32 s25, 0
.LBB23_604:
	s_and_b32 vcc_lo, exec_lo, s25
	s_cbranch_vccz .LBB23_653
; %bb.605:
	s_cmp_lt_i32 s0, 5
	s_cbranch_scc1 .LBB23_610
; %bb.606:
	s_cmp_lt_i32 s0, 8
	s_cbranch_scc1 .LBB23_611
	;; [unrolled: 3-line block ×3, first 2 shown]
; %bb.608:
	s_cmp_gt_i32 s0, 9
	s_cbranch_scc0 .LBB23_613
; %bb.609:
	global_load_dwordx2 v[3:4], v[0:1], off
	s_mov_b32 s24, 0
	s_waitcnt vmcnt(0)
	v_and_or_b32 v3, 0x1ff, v4, v3
	v_lshrrev_b32_e32 v5, 8, v4
	v_bfe_u32 v6, v4, 20, 11
	v_lshrrev_b32_e32 v4, 16, v4
	v_cmp_ne_u32_e32 vcc_lo, 0, v3
	v_sub_nc_u32_e32 v7, 0x3f1, v6
	v_add_nc_u32_e32 v6, 0xfffffc10, v6
	v_cndmask_b32_e64 v3, 0, 1, vcc_lo
	v_and_or_b32 v3, 0xffe, v5, v3
	v_med3_i32 v5, v7, 0, 13
	v_or_b32_e32 v7, 0x1000, v3
	v_lshrrev_b32_e32 v8, v5, v7
	v_lshlrev_b32_e32 v5, v5, v8
	v_cmp_ne_u32_e32 vcc_lo, v5, v7
	v_lshl_or_b32 v7, v6, 12, v3
	v_cndmask_b32_e64 v5, 0, 1, vcc_lo
	v_cmp_gt_i32_e32 vcc_lo, 1, v6
	v_or_b32_e32 v5, v8, v5
	v_cndmask_b32_e32 v5, v7, v5, vcc_lo
	v_and_b32_e32 v7, 7, v5
	v_lshrrev_b32_e32 v5, 2, v5
	v_cmp_lt_i32_e32 vcc_lo, 5, v7
	v_cndmask_b32_e64 v8, 0, 1, vcc_lo
	v_cmp_eq_u32_e32 vcc_lo, 3, v7
	v_cndmask_b32_e64 v7, 0, 1, vcc_lo
	v_cmp_ne_u32_e32 vcc_lo, 0, v3
	v_or_b32_e32 v7, v7, v8
	v_mov_b32_e32 v8, 0x7e00
	v_add_nc_u32_e32 v5, v5, v7
	v_cndmask_b32_e32 v3, 0x7c00, v8, vcc_lo
	v_cmp_gt_i32_e32 vcc_lo, 31, v6
	v_cndmask_b32_e32 v5, 0x7c00, v5, vcc_lo
	v_cmp_eq_u32_e32 vcc_lo, 0x40f, v6
	v_cndmask_b32_e32 v3, v5, v3, vcc_lo
	v_and_or_b32 v3, 0x8000, v4, v3
	s_branch .LBB23_614
.LBB23_610:
	s_mov_b32 s24, -1
                                        ; implicit-def: $vgpr3
	s_branch .LBB23_632
.LBB23_611:
	s_mov_b32 s24, -1
                                        ; implicit-def: $vgpr3
	s_branch .LBB23_620
.LBB23_612:
	s_mov_b32 s24, -1
                                        ; implicit-def: $vgpr3
	s_branch .LBB23_617
.LBB23_613:
	s_mov_b32 s24, -1
                                        ; implicit-def: $vgpr3
.LBB23_614:
	s_andn2_b32 vcc_lo, exec_lo, s24
	s_cbranch_vccnz .LBB23_616
; %bb.615:
	global_load_dword v3, v[0:1], off
	s_waitcnt vmcnt(0)
	v_cvt_f16_f32_e32 v3, v3
.LBB23_616:
	s_mov_b32 s24, 0
.LBB23_617:
	s_andn2_b32 vcc_lo, exec_lo, s24
	s_cbranch_vccnz .LBB23_619
; %bb.618:
	global_load_dword v3, v[0:1], off
.LBB23_619:
	s_mov_b32 s24, 0
.LBB23_620:
	s_andn2_b32 vcc_lo, exec_lo, s24
	s_cbranch_vccnz .LBB23_631
; %bb.621:
	s_cmp_lt_i32 s0, 6
	s_cbranch_scc1 .LBB23_624
; %bb.622:
	s_cmp_gt_i32 s0, 6
	s_cbranch_scc0 .LBB23_625
; %bb.623:
	global_load_dwordx2 v[3:4], v[0:1], off
	s_mov_b32 s24, 0
	s_waitcnt vmcnt(0)
	v_and_or_b32 v3, 0x1ff, v4, v3
	v_lshrrev_b32_e32 v5, 8, v4
	v_bfe_u32 v6, v4, 20, 11
	v_lshrrev_b32_e32 v4, 16, v4
	v_cmp_ne_u32_e32 vcc_lo, 0, v3
	v_sub_nc_u32_e32 v7, 0x3f1, v6
	v_add_nc_u32_e32 v6, 0xfffffc10, v6
	v_cndmask_b32_e64 v3, 0, 1, vcc_lo
	v_and_or_b32 v3, 0xffe, v5, v3
	v_med3_i32 v5, v7, 0, 13
	v_or_b32_e32 v7, 0x1000, v3
	v_lshrrev_b32_e32 v8, v5, v7
	v_lshlrev_b32_e32 v5, v5, v8
	v_cmp_ne_u32_e32 vcc_lo, v5, v7
	v_lshl_or_b32 v7, v6, 12, v3
	v_cndmask_b32_e64 v5, 0, 1, vcc_lo
	v_cmp_gt_i32_e32 vcc_lo, 1, v6
	v_or_b32_e32 v5, v8, v5
	v_cndmask_b32_e32 v5, v7, v5, vcc_lo
	v_and_b32_e32 v7, 7, v5
	v_lshrrev_b32_e32 v5, 2, v5
	v_cmp_lt_i32_e32 vcc_lo, 5, v7
	v_cndmask_b32_e64 v8, 0, 1, vcc_lo
	v_cmp_eq_u32_e32 vcc_lo, 3, v7
	v_cndmask_b32_e64 v7, 0, 1, vcc_lo
	v_cmp_ne_u32_e32 vcc_lo, 0, v3
	v_or_b32_e32 v7, v7, v8
	v_mov_b32_e32 v8, 0x7e00
	v_add_nc_u32_e32 v5, v5, v7
	v_cndmask_b32_e32 v3, 0x7c00, v8, vcc_lo
	v_cmp_gt_i32_e32 vcc_lo, 31, v6
	v_cndmask_b32_e32 v5, 0x7c00, v5, vcc_lo
	v_cmp_eq_u32_e32 vcc_lo, 0x40f, v6
	v_cndmask_b32_e32 v3, v5, v3, vcc_lo
	v_and_or_b32 v3, 0x8000, v4, v3
	s_branch .LBB23_626
.LBB23_624:
	s_mov_b32 s24, -1
                                        ; implicit-def: $vgpr3
	s_branch .LBB23_629
.LBB23_625:
	s_mov_b32 s24, -1
                                        ; implicit-def: $vgpr3
.LBB23_626:
	s_andn2_b32 vcc_lo, exec_lo, s24
	s_cbranch_vccnz .LBB23_628
; %bb.627:
	global_load_dword v3, v[0:1], off
	s_waitcnt vmcnt(0)
	v_cvt_f16_f32_e32 v3, v3
.LBB23_628:
	s_mov_b32 s24, 0
.LBB23_629:
	s_andn2_b32 vcc_lo, exec_lo, s24
	s_cbranch_vccnz .LBB23_631
; %bb.630:
	global_load_ushort v3, v[0:1], off
.LBB23_631:
	s_mov_b32 s24, 0
.LBB23_632:
	s_andn2_b32 vcc_lo, exec_lo, s24
	s_cbranch_vccnz .LBB23_652
; %bb.633:
	s_cmp_lt_i32 s0, 2
	s_cbranch_scc1 .LBB23_637
; %bb.634:
	s_cmp_lt_i32 s0, 3
	s_cbranch_scc1 .LBB23_638
; %bb.635:
	s_cmp_gt_i32 s0, 3
	s_cbranch_scc0 .LBB23_639
; %bb.636:
	global_load_dwordx2 v[3:4], v[0:1], off
	s_mov_b32 s24, 0
	s_waitcnt vmcnt(0)
	v_xor_b32_e32 v5, v3, v4
	v_ffbh_i32_e32 v6, v4
	v_ashrrev_i32_e32 v5, 31, v5
	v_add_nc_u32_e32 v6, -1, v6
	v_add_nc_u32_e32 v5, 32, v5
	v_min_u32_e32 v5, v6, v5
	v_lshlrev_b64 v[3:4], v5, v[3:4]
	v_min_u32_e32 v3, 1, v3
	v_or_b32_e32 v3, v4, v3
	v_sub_nc_u32_e32 v4, 32, v5
	v_cvt_f32_i32_e32 v3, v3
	v_ldexp_f32 v3, v3, v4
	v_cvt_f16_f32_e32 v3, v3
	s_branch .LBB23_640
.LBB23_637:
	s_mov_b32 s24, -1
                                        ; implicit-def: $vgpr3
	s_branch .LBB23_646
.LBB23_638:
	s_mov_b32 s24, -1
                                        ; implicit-def: $vgpr3
	s_branch .LBB23_643
.LBB23_639:
	s_mov_b32 s24, -1
                                        ; implicit-def: $vgpr3
.LBB23_640:
	s_andn2_b32 vcc_lo, exec_lo, s24
	s_cbranch_vccnz .LBB23_642
; %bb.641:
	global_load_dword v3, v[0:1], off
	s_waitcnt vmcnt(0)
	v_cvt_f32_i32_e32 v3, v3
	v_cvt_f16_f32_e32 v3, v3
.LBB23_642:
	s_mov_b32 s24, 0
.LBB23_643:
	s_andn2_b32 vcc_lo, exec_lo, s24
	s_cbranch_vccnz .LBB23_645
; %bb.644:
	global_load_ushort v3, v[0:1], off
	s_waitcnt vmcnt(0)
	v_cvt_f16_i16_e32 v3, v3
.LBB23_645:
	s_mov_b32 s24, 0
.LBB23_646:
	s_andn2_b32 vcc_lo, exec_lo, s24
	s_cbranch_vccnz .LBB23_652
; %bb.647:
	s_cmp_gt_i32 s0, 0
	s_mov_b32 s0, 0
	s_cbranch_scc0 .LBB23_649
; %bb.648:
	global_load_sbyte v3, v[0:1], off
	s_waitcnt vmcnt(0)
	v_cvt_f16_i16_e32 v3, v3
	s_branch .LBB23_650
.LBB23_649:
	s_mov_b32 s0, -1
                                        ; implicit-def: $vgpr3
.LBB23_650:
	s_andn2_b32 vcc_lo, exec_lo, s0
	s_cbranch_vccnz .LBB23_652
; %bb.651:
	global_load_ubyte v0, v[0:1], off
	s_waitcnt vmcnt(0)
	v_cvt_f16_u16_e32 v3, v0
.LBB23_652:
	s_mov_b32 s24, -1
.LBB23_653:
	s_andn2_b32 vcc_lo, exec_lo, s24
	s_cbranch_vccnz .LBB23_663
; %bb.654:
	s_waitcnt vmcnt(0)
	v_cvt_f32_f16_e32 v0, v3
	s_mov_b32 s0, exec_lo
	v_cmpx_nlg_f32_e64 0x7f800000, |v0|
	s_cbranch_execz .LBB23_656
; %bb.655:
	v_mov_b32_e32 v1, 0
	v_mov_b32_e32 v4, 1.0
	global_store_dword v1, v4, s[12:13]
.LBB23_656:
	s_or_b32 exec_lo, exec_lo, s0
	v_mov_b32_e32 v1, 0
	s_and_b32 s24, s1, 0xff
	s_cmp_lt_i32 s24, 11
	global_load_dword v4, v1, s[14:15]
	v_mul_lo_u32 v1, v2, s2
	v_ashrrev_i32_e32 v5, 31, v1
	s_waitcnt vmcnt(0)
	v_fma_mixlo_f16 v6, v4, v0, 0
	v_add_co_u32 v0, vcc_lo, s8, v1
	v_add_co_ci_u32_e64 v1, null, s9, v5, vcc_lo
	v_cmp_eq_f32_e32 vcc_lo, 1.0, v4
	v_cndmask_b32_e32 v3, v6, v3, vcc_lo
	s_cbranch_scc1 .LBB23_664
; %bb.657:
	s_and_b32 s25, 0xffff, s24
	s_cmp_gt_i32 s25, 25
	s_cbranch_scc0 .LBB23_665
; %bb.658:
	s_cmp_gt_i32 s25, 28
	s_cbranch_scc0 .LBB23_666
; %bb.659:
	;; [unrolled: 3-line block ×4, first 2 shown]
	s_mov_b32 s27, 0
	s_mov_b32 s0, -1
	s_cmp_eq_u32 s25, 46
	s_mov_b32 s26, 0
	s_cbranch_scc0 .LBB23_669
; %bb.662:
	v_cvt_f32_f16_e32 v4, v3
	v_cmp_o_f16_e32 vcc_lo, v3, v3
	s_mov_b32 s26, -1
	s_mov_b32 s0, 0
	v_bfe_u32 v5, v4, 16, 1
	v_add3_u32 v4, v4, v5, 0x7fff
	v_mov_b32_e32 v5, 0x7fc0
	v_cndmask_b32_sdwa v4, v5, v4, vcc_lo dst_sel:DWORD dst_unused:UNUSED_PAD src0_sel:DWORD src1_sel:WORD_1
	global_store_dword v[0:1], v4, off
	s_branch .LBB23_669
.LBB23_663:
	s_mov_b32 s24, 0
	s_mov_b32 s0, s20
	s_branch .LBB23_780
.LBB23_664:
	s_mov_b32 s25, -1
	s_mov_b32 s26, 0
	s_mov_b32 s0, s20
	s_branch .LBB23_738
.LBB23_665:
	s_mov_b32 s27, -1
	s_mov_b32 s26, 0
	s_mov_b32 s0, s20
	s_branch .LBB23_696
.LBB23_666:
	s_mov_b32 s27, -1
	s_mov_b32 s26, 0
	s_mov_b32 s0, s20
	s_branch .LBB23_679
.LBB23_667:
	s_mov_b32 s27, -1
	s_mov_b32 s26, 0
	s_mov_b32 s0, s20
	s_branch .LBB23_675
.LBB23_668:
	s_mov_b32 s27, -1
	s_mov_b32 s26, 0
	s_mov_b32 s0, s20
.LBB23_669:
	s_and_b32 vcc_lo, exec_lo, s27
	s_cbranch_vccz .LBB23_674
; %bb.670:
	s_cmp_eq_u32 s25, 44
	s_mov_b32 s0, -1
	s_cbranch_scc0 .LBB23_674
; %bb.671:
	v_cvt_f32_f16_e32 v4, v3
	v_mov_b32_e32 v5, 0xff
	s_mov_b32 s26, exec_lo
	v_bfe_u32 v6, v4, 23, 8
	v_cmpx_ne_u32_e32 0xff, v6
	s_cbranch_execz .LBB23_673
; %bb.672:
	v_and_b32_e32 v5, 0x400000, v4
	v_and_or_b32 v6, 0x3fffff, v4, v6
	v_lshrrev_b32_e32 v4, 23, v4
	v_cmp_ne_u32_e32 vcc_lo, 0, v5
	v_cmp_ne_u32_e64 s0, 0, v6
	s_and_b32 s0, vcc_lo, s0
	v_cndmask_b32_e64 v5, 0, 1, s0
	v_add_nc_u32_e32 v5, v4, v5
.LBB23_673:
	s_or_b32 exec_lo, exec_lo, s26
	s_mov_b32 s26, -1
	s_mov_b32 s0, 0
	global_store_byte v[0:1], v5, off
.LBB23_674:
	s_mov_b32 s27, 0
.LBB23_675:
	s_and_b32 vcc_lo, exec_lo, s27
	s_cbranch_vccz .LBB23_678
; %bb.676:
	s_cmp_eq_u32 s25, 29
	s_mov_b32 s0, -1
	s_cbranch_scc0 .LBB23_678
; %bb.677:
	v_cvt_f32_f16_e32 v4, v3
	v_mov_b32_e32 v5, 0
	s_mov_b32 s26, -1
	s_mov_b32 s0, 0
	s_mov_b32 s27, 0
	v_cvt_u32_f32_e32 v4, v4
	global_store_dwordx2 v[0:1], v[4:5], off
	s_branch .LBB23_679
.LBB23_678:
	s_mov_b32 s27, 0
.LBB23_679:
	s_and_b32 vcc_lo, exec_lo, s27
	s_cbranch_vccz .LBB23_695
; %bb.680:
	s_cmp_lt_i32 s25, 27
	s_mov_b32 s26, -1
	s_cbranch_scc1 .LBB23_686
; %bb.681:
	s_cmp_gt_i32 s25, 27
	s_cbranch_scc0 .LBB23_683
; %bb.682:
	v_cvt_f32_f16_e32 v4, v3
	s_mov_b32 s26, 0
	v_cvt_u32_f32_e32 v4, v4
	global_store_dword v[0:1], v4, off
.LBB23_683:
	s_andn2_b32 vcc_lo, exec_lo, s26
	s_cbranch_vccnz .LBB23_685
; %bb.684:
	v_cvt_u16_f16_e32 v4, v3
	global_store_short v[0:1], v4, off
.LBB23_685:
	s_mov_b32 s26, 0
.LBB23_686:
	s_andn2_b32 vcc_lo, exec_lo, s26
	s_cbranch_vccnz .LBB23_694
; %bb.687:
	v_cvt_f32_f16_e32 v4, v3
	v_mov_b32_e32 v6, 0x80
	s_mov_b32 s26, exec_lo
	v_and_b32_e32 v5, 0x7fffffff, v4
	v_cmpx_gt_u32_e32 0x43800000, v5
	s_cbranch_execz .LBB23_693
; %bb.688:
	v_cmp_lt_u32_e32 vcc_lo, 0x3bffffff, v5
	s_mov_b32 s27, 0
                                        ; implicit-def: $vgpr5
	s_and_saveexec_b32 s28, vcc_lo
	s_xor_b32 s28, exec_lo, s28
	s_cbranch_execz .LBB23_795
; %bb.689:
	v_bfe_u32 v5, v4, 20, 1
	s_mov_b32 s27, exec_lo
	v_add3_u32 v5, v4, v5, 0x487ffff
	v_lshrrev_b32_e32 v5, 20, v5
	s_andn2_saveexec_b32 s28, s28
	s_cbranch_execnz .LBB23_796
.LBB23_690:
	s_or_b32 exec_lo, exec_lo, s28
	v_mov_b32_e32 v6, 0
	s_and_saveexec_b32 s28, s27
.LBB23_691:
	v_lshrrev_b32_e32 v4, 24, v4
	v_and_or_b32 v6, 0x80, v4, v5
.LBB23_692:
	s_or_b32 exec_lo, exec_lo, s28
.LBB23_693:
	s_or_b32 exec_lo, exec_lo, s26
	global_store_byte v[0:1], v6, off
.LBB23_694:
	s_mov_b32 s26, -1
.LBB23_695:
	s_mov_b32 s27, 0
.LBB23_696:
	s_and_b32 vcc_lo, exec_lo, s27
	s_cbranch_vccz .LBB23_737
; %bb.697:
	s_cmp_gt_i32 s25, 22
	s_mov_b32 s27, -1
	s_cbranch_scc0 .LBB23_729
; %bb.698:
	s_cmp_lt_i32 s25, 24
	s_mov_b32 s26, -1
	s_cbranch_scc1 .LBB23_718
; %bb.699:
	s_cmp_gt_i32 s25, 24
	s_cbranch_scc0 .LBB23_707
; %bb.700:
	v_cvt_f32_f16_e32 v4, v3
	v_mov_b32_e32 v6, 0x80
	s_mov_b32 s26, exec_lo
	v_and_b32_e32 v5, 0x7fffffff, v4
	v_cmpx_gt_u32_e32 0x47800000, v5
	s_cbranch_execz .LBB23_706
; %bb.701:
	v_cmp_lt_u32_e32 vcc_lo, 0x37ffffff, v5
	s_mov_b32 s27, 0
                                        ; implicit-def: $vgpr5
	s_and_saveexec_b32 s28, vcc_lo
	s_xor_b32 s28, exec_lo, s28
	s_cbranch_execz .LBB23_798
; %bb.702:
	v_bfe_u32 v5, v4, 21, 1
	s_mov_b32 s27, exec_lo
	v_add3_u32 v5, v4, v5, 0x88fffff
	v_lshrrev_b32_e32 v5, 21, v5
	s_andn2_saveexec_b32 s28, s28
	s_cbranch_execnz .LBB23_799
.LBB23_703:
	s_or_b32 exec_lo, exec_lo, s28
	v_mov_b32_e32 v6, 0
	s_and_saveexec_b32 s28, s27
.LBB23_704:
	v_lshrrev_b32_e32 v4, 24, v4
	v_and_or_b32 v6, 0x80, v4, v5
.LBB23_705:
	s_or_b32 exec_lo, exec_lo, s28
.LBB23_706:
	s_or_b32 exec_lo, exec_lo, s26
	s_mov_b32 s26, 0
	global_store_byte v[0:1], v6, off
.LBB23_707:
	s_and_b32 vcc_lo, exec_lo, s26
	s_cbranch_vccz .LBB23_717
; %bb.708:
	v_cvt_f32_f16_e32 v4, v3
	s_mov_b32 s26, exec_lo
                                        ; implicit-def: $vgpr5
	v_and_b32_e32 v6, 0x7fffffff, v4
	v_cmpx_gt_u32_e32 0x43f00000, v6
	s_xor_b32 s26, exec_lo, s26
	s_cbranch_execz .LBB23_714
; %bb.709:
	s_mov_b32 s27, exec_lo
                                        ; implicit-def: $vgpr5
	v_cmpx_lt_u32_e32 0x3c7fffff, v6
	s_xor_b32 s27, exec_lo, s27
; %bb.710:
	v_bfe_u32 v5, v4, 20, 1
	v_add3_u32 v5, v4, v5, 0x407ffff
	v_and_b32_e32 v6, 0xff00000, v5
	v_lshrrev_b32_e32 v5, 20, v5
	v_cmp_ne_u32_e32 vcc_lo, 0x7f00000, v6
	v_cndmask_b32_e32 v5, 0x7e, v5, vcc_lo
; %bb.711:
	s_andn2_saveexec_b32 s27, s27
; %bb.712:
	v_add_f32_e64 v5, 0x46800000, |v4|
; %bb.713:
	s_or_b32 exec_lo, exec_lo, s27
                                        ; implicit-def: $vgpr6
.LBB23_714:
	s_andn2_saveexec_b32 s26, s26
; %bb.715:
	v_mov_b32_e32 v5, 0x7f
	v_cmp_lt_u32_e32 vcc_lo, 0x7f800000, v6
	v_cndmask_b32_e32 v5, 0x7e, v5, vcc_lo
; %bb.716:
	s_or_b32 exec_lo, exec_lo, s26
	v_lshrrev_b32_e32 v4, 24, v4
	v_and_or_b32 v4, 0x80, v4, v5
	global_store_byte v[0:1], v4, off
.LBB23_717:
	s_mov_b32 s26, 0
.LBB23_718:
	s_andn2_b32 vcc_lo, exec_lo, s26
	s_cbranch_vccnz .LBB23_728
; %bb.719:
	v_cvt_f32_f16_e32 v4, v3
	s_mov_b32 s26, exec_lo
                                        ; implicit-def: $vgpr5
	v_and_b32_e32 v6, 0x7fffffff, v4
	v_cmpx_gt_u32_e32 0x47800000, v6
	s_xor_b32 s26, exec_lo, s26
	s_cbranch_execz .LBB23_725
; %bb.720:
	s_mov_b32 s27, exec_lo
                                        ; implicit-def: $vgpr5
	v_cmpx_lt_u32_e32 0x387fffff, v6
	s_xor_b32 s27, exec_lo, s27
; %bb.721:
	v_bfe_u32 v5, v4, 21, 1
	v_add3_u32 v5, v4, v5, 0x80fffff
	v_lshrrev_b32_e32 v5, 21, v5
; %bb.722:
	s_andn2_saveexec_b32 s27, s27
; %bb.723:
	v_add_f32_e64 v5, 0x43000000, |v4|
; %bb.724:
	s_or_b32 exec_lo, exec_lo, s27
                                        ; implicit-def: $vgpr6
.LBB23_725:
	s_andn2_saveexec_b32 s26, s26
; %bb.726:
	v_mov_b32_e32 v5, 0x7f
	v_cmp_lt_u32_e32 vcc_lo, 0x7f800000, v6
	v_cndmask_b32_e32 v5, 0x7c, v5, vcc_lo
; %bb.727:
	s_or_b32 exec_lo, exec_lo, s26
	v_lshrrev_b32_e32 v4, 24, v4
	v_and_or_b32 v4, 0x80, v4, v5
	global_store_byte v[0:1], v4, off
.LBB23_728:
	s_mov_b32 s27, 0
	s_mov_b32 s26, -1
.LBB23_729:
	s_andn2_b32 vcc_lo, exec_lo, s27
	s_cbranch_vccnz .LBB23_737
; %bb.730:
	s_cmp_gt_i32 s25, 14
	s_mov_b32 s27, -1
	s_cbranch_scc0 .LBB23_734
; %bb.731:
	s_cmp_eq_u32 s25, 15
	s_mov_b32 s0, -1
	s_cbranch_scc0 .LBB23_733
; %bb.732:
	v_cvt_f32_f16_e32 v4, v3
	v_cmp_o_f16_e32 vcc_lo, v3, v3
	s_mov_b32 s26, -1
	s_mov_b32 s0, 0
	v_bfe_u32 v5, v4, 16, 1
	v_add3_u32 v4, v4, v5, 0x7fff
	v_mov_b32_e32 v5, 0x7fc0
	v_cndmask_b32_sdwa v4, v5, v4, vcc_lo dst_sel:DWORD dst_unused:UNUSED_PAD src0_sel:DWORD src1_sel:WORD_1
	global_store_short v[0:1], v4, off
.LBB23_733:
	s_mov_b32 s27, 0
.LBB23_734:
	s_and_b32 vcc_lo, exec_lo, s27
	s_cbranch_vccz .LBB23_737
; %bb.735:
	s_cmp_eq_u32 s25, 11
	s_mov_b32 s0, -1
	s_cbranch_scc0 .LBB23_737
; %bb.736:
	v_and_b32_e32 v4, 0x7fff, v3
	s_mov_b32 s0, 0
	s_mov_b32 s26, -1
	v_cmp_ne_u16_e32 vcc_lo, 0, v4
	v_cndmask_b32_e64 v4, 0, 1, vcc_lo
	global_store_byte v[0:1], v4, off
.LBB23_737:
	s_mov_b32 s25, 0
.LBB23_738:
	s_and_b32 vcc_lo, exec_lo, s25
	s_cbranch_vccz .LBB23_777
; %bb.739:
	s_and_b32 s24, 0xffff, s24
	s_mov_b32 s25, -1
	s_cmp_lt_i32 s24, 5
	s_cbranch_scc1 .LBB23_760
; %bb.740:
	s_cmp_lt_i32 s24, 8
	s_cbranch_scc1 .LBB23_750
; %bb.741:
	;; [unrolled: 3-line block ×3, first 2 shown]
	s_cmp_gt_i32 s24, 9
	s_cbranch_scc0 .LBB23_744
; %bb.743:
	v_cvt_f32_f16_e32 v4, v3
	v_mov_b32_e32 v6, 0
	s_mov_b32 s25, 0
	v_cvt_f64_f32_e32 v[4:5], v4
	v_mov_b32_e32 v7, v6
	global_store_dwordx4 v[0:1], v[4:7], off
.LBB23_744:
	s_andn2_b32 vcc_lo, exec_lo, s25
	s_cbranch_vccnz .LBB23_746
; %bb.745:
	v_cvt_f32_f16_e32 v4, v3
	v_mov_b32_e32 v5, 0
	global_store_dwordx2 v[0:1], v[4:5], off
.LBB23_746:
	s_mov_b32 s25, 0
.LBB23_747:
	s_andn2_b32 vcc_lo, exec_lo, s25
	s_cbranch_vccnz .LBB23_749
; %bb.748:
	v_and_b32_e32 v4, 0xffff, v3
	global_store_dword v[0:1], v4, off
.LBB23_749:
	s_mov_b32 s25, 0
.LBB23_750:
	s_andn2_b32 vcc_lo, exec_lo, s25
	s_cbranch_vccnz .LBB23_759
; %bb.751:
	s_cmp_lt_i32 s24, 6
	s_mov_b32 s25, -1
	s_cbranch_scc1 .LBB23_757
; %bb.752:
	s_cmp_gt_i32 s24, 6
	s_cbranch_scc0 .LBB23_754
; %bb.753:
	v_cvt_f32_f16_e32 v4, v3
	s_mov_b32 s25, 0
	v_cvt_f64_f32_e32 v[4:5], v4
	global_store_dwordx2 v[0:1], v[4:5], off
.LBB23_754:
	s_andn2_b32 vcc_lo, exec_lo, s25
	s_cbranch_vccnz .LBB23_756
; %bb.755:
	v_cvt_f32_f16_e32 v4, v3
	global_store_dword v[0:1], v4, off
.LBB23_756:
	s_mov_b32 s25, 0
.LBB23_757:
	s_andn2_b32 vcc_lo, exec_lo, s25
	s_cbranch_vccnz .LBB23_759
; %bb.758:
	global_store_short v[0:1], v3, off
.LBB23_759:
	s_mov_b32 s25, 0
.LBB23_760:
	s_andn2_b32 vcc_lo, exec_lo, s25
	s_cbranch_vccnz .LBB23_776
; %bb.761:
	s_cmp_lt_i32 s24, 2
	s_mov_b32 s25, -1
	s_cbranch_scc1 .LBB23_771
; %bb.762:
	s_cmp_lt_i32 s24, 3
	s_cbranch_scc1 .LBB23_768
; %bb.763:
	s_cmp_gt_i32 s24, 3
	s_cbranch_scc0 .LBB23_765
; %bb.764:
	v_cvt_f32_f16_e32 v4, v3
	s_mov_b32 s25, 0
	v_cvt_i32_f32_e32 v4, v4
	v_ashrrev_i32_e32 v5, 31, v4
	global_store_dwordx2 v[0:1], v[4:5], off
.LBB23_765:
	s_andn2_b32 vcc_lo, exec_lo, s25
	s_cbranch_vccnz .LBB23_767
; %bb.766:
	v_cvt_f32_f16_e32 v4, v3
	v_cvt_i32_f32_e32 v4, v4
	global_store_dword v[0:1], v4, off
.LBB23_767:
	s_mov_b32 s25, 0
.LBB23_768:
	s_andn2_b32 vcc_lo, exec_lo, s25
	s_cbranch_vccnz .LBB23_770
; %bb.769:
	v_cvt_i16_f16_e32 v4, v3
	global_store_short v[0:1], v4, off
.LBB23_770:
	s_mov_b32 s25, 0
.LBB23_771:
	s_andn2_b32 vcc_lo, exec_lo, s25
	s_cbranch_vccnz .LBB23_776
; %bb.772:
	s_cmp_gt_i32 s24, 0
	s_mov_b32 s24, -1
	s_cbranch_scc0 .LBB23_774
; %bb.773:
	v_cvt_i16_f16_e32 v4, v3
	s_mov_b32 s24, 0
	global_store_byte v[0:1], v4, off
.LBB23_774:
	s_andn2_b32 vcc_lo, exec_lo, s24
	s_cbranch_vccnz .LBB23_776
; %bb.775:
	v_cvt_f32_f16_e32 v3, v3
	v_cvt_i32_f32_e32 v3, v3
	global_store_byte v[0:1], v3, off
.LBB23_776:
	s_mov_b32 s26, -1
.LBB23_777:
	s_andn2_b32 vcc_lo, exec_lo, s26
	s_cbranch_vccnz .LBB23_779
; %bb.778:
	v_add_nc_u32_e32 v2, 0x80, v2
	s_mov_b32 s24, -1
	s_branch .LBB23_781
.LBB23_779:
	s_mov_b32 s24, 0
.LBB23_780:
                                        ; implicit-def: $vgpr2
.LBB23_781:
	s_andn2_b32 s25, s20, exec_lo
	s_and_b32 s0, s0, exec_lo
	s_andn2_b32 s26, s19, exec_lo
	s_and_b32 s27, s23, exec_lo
	s_or_b32 s23, s25, s0
	s_or_b32 s0, s26, s27
	s_orn2_b32 s24, s24, exec_lo
.LBB23_782:
	s_or_b32 exec_lo, exec_lo, s22
	s_mov_b32 s25, 0
	s_mov_b32 s26, 0
	;; [unrolled: 1-line block ×3, first 2 shown]
                                        ; implicit-def: $vgpr0_vgpr1
                                        ; implicit-def: $vgpr4
	s_and_saveexec_b32 s22, s24
	s_cbranch_execz .LBB23_867
; %bb.783:
	v_cmp_gt_i32_e32 vcc_lo, s16, v2
	s_mov_b32 s24, 0
	s_mov_b32 s25, s0
	;; [unrolled: 1-line block ×3, first 2 shown]
                                        ; implicit-def: $vgpr0_vgpr1
                                        ; implicit-def: $vgpr4
	s_and_saveexec_b32 s16, vcc_lo
	s_cbranch_execz .LBB23_866
; %bb.784:
	v_mul_lo_u32 v0, v2, s3
	s_and_b32 s24, 0xffff, s5
	s_cmp_lt_i32 s24, 11
	v_ashrrev_i32_e32 v1, 31, v0
	v_add_co_u32 v0, vcc_lo, s10, v0
	v_add_co_ci_u32_e64 v1, null, s11, v1, vcc_lo
	s_cbranch_scc1 .LBB23_791
; %bb.785:
	s_cmp_gt_i32 s24, 25
	s_cbranch_scc0 .LBB23_792
; %bb.786:
	s_cmp_gt_i32 s24, 28
	s_cbranch_scc0 .LBB23_793
	;; [unrolled: 3-line block ×4, first 2 shown]
; %bb.789:
	s_cmp_eq_u32 s24, 46
	s_cbranch_scc0 .LBB23_800
; %bb.790:
	global_load_dword v3, v[0:1], off
	s_mov_b32 s25, 0
	s_mov_b32 s27, -1
	s_waitcnt vmcnt(0)
	v_lshlrev_b32_e32 v3, 16, v3
	v_cvt_f16_f32_e32 v4, v3
	s_branch .LBB23_802
.LBB23_791:
	s_mov_b32 s24, -1
	s_mov_b32 s25, s0
                                        ; implicit-def: $vgpr4
	s_branch .LBB23_865
.LBB23_792:
	s_mov_b32 s28, -1
	s_mov_b32 s25, s0
                                        ; implicit-def: $vgpr4
	s_branch .LBB23_831
.LBB23_793:
	s_mov_b32 s28, -1
	s_mov_b32 s25, s0
                                        ; implicit-def: $vgpr4
	s_branch .LBB23_812
.LBB23_794:
	s_mov_b32 s28, -1
	s_mov_b32 s25, s0
                                        ; implicit-def: $vgpr4
	s_branch .LBB23_807
.LBB23_795:
	s_andn2_saveexec_b32 s28, s28
	s_cbranch_execz .LBB23_690
.LBB23_796:
	v_add_f32_e64 v5, 0x46000000, |v4|
	s_andn2_b32 s27, s27, exec_lo
	v_and_b32_e32 v5, 0xff, v5
	v_cmp_ne_u32_e32 vcc_lo, 0, v5
	s_and_b32 s29, vcc_lo, exec_lo
	s_or_b32 s27, s27, s29
	s_or_b32 exec_lo, exec_lo, s28
	v_mov_b32_e32 v6, 0
	s_and_saveexec_b32 s28, s27
	s_cbranch_execnz .LBB23_691
	s_branch .LBB23_692
.LBB23_797:
	s_mov_b32 s28, -1
	s_mov_b32 s25, s0
	s_branch .LBB23_801
.LBB23_798:
	s_andn2_saveexec_b32 s28, s28
	s_cbranch_execz .LBB23_703
.LBB23_799:
	v_add_f32_e64 v5, 0x42800000, |v4|
	s_andn2_b32 s27, s27, exec_lo
	v_and_b32_e32 v5, 0xff, v5
	v_cmp_ne_u32_e32 vcc_lo, 0, v5
	s_and_b32 s29, vcc_lo, exec_lo
	s_or_b32 s27, s27, s29
	s_or_b32 exec_lo, exec_lo, s28
	v_mov_b32_e32 v6, 0
	s_and_saveexec_b32 s28, s27
	s_cbranch_execnz .LBB23_704
	s_branch .LBB23_705
.LBB23_800:
	s_mov_b32 s25, -1
.LBB23_801:
                                        ; implicit-def: $vgpr4
.LBB23_802:
	s_and_b32 vcc_lo, exec_lo, s28
	s_cbranch_vccz .LBB23_806
; %bb.803:
	s_cmp_eq_u32 s24, 44
	s_cbranch_scc0 .LBB23_805
; %bb.804:
	global_load_ubyte v3, v[0:1], off
	s_mov_b32 s25, 0
	s_mov_b32 s27, -1
	s_waitcnt vmcnt(0)
	v_lshlrev_b32_e32 v4, 23, v3
	v_cmp_ne_u32_e32 vcc_lo, 0xff, v3
	v_cvt_f16_f32_e32 v4, v4
	v_cndmask_b32_e32 v4, 0x7e00, v4, vcc_lo
	v_cmp_ne_u32_e32 vcc_lo, 0, v3
	v_cndmask_b32_e32 v4, 0, v4, vcc_lo
	s_branch .LBB23_806
.LBB23_805:
	s_mov_b32 s25, -1
                                        ; implicit-def: $vgpr4
.LBB23_806:
	s_mov_b32 s28, 0
.LBB23_807:
	s_and_b32 vcc_lo, exec_lo, s28
	s_cbranch_vccz .LBB23_811
; %bb.808:
	s_cmp_eq_u32 s24, 29
	s_cbranch_scc0 .LBB23_810
; %bb.809:
	global_load_dwordx2 v[3:4], v[0:1], off
	s_mov_b32 s25, 0
	s_mov_b32 s27, -1
	s_mov_b32 s28, 0
	s_waitcnt vmcnt(0)
	v_ffbh_u32_e32 v5, v4
	v_min_u32_e32 v5, 32, v5
	v_lshlrev_b64 v[3:4], v5, v[3:4]
	v_min_u32_e32 v3, 1, v3
	v_or_b32_e32 v3, v4, v3
	v_sub_nc_u32_e32 v4, 32, v5
	v_cvt_f32_u32_e32 v3, v3
	v_ldexp_f32 v3, v3, v4
	v_cvt_f16_f32_e32 v4, v3
	s_branch .LBB23_812
.LBB23_810:
	s_mov_b32 s25, -1
                                        ; implicit-def: $vgpr4
.LBB23_811:
	s_mov_b32 s28, 0
.LBB23_812:
	s_and_b32 vcc_lo, exec_lo, s28
	s_cbranch_vccz .LBB23_830
; %bb.813:
	s_cmp_lt_i32 s24, 27
	s_cbranch_scc1 .LBB23_816
; %bb.814:
	s_cmp_gt_i32 s24, 27
	s_cbranch_scc0 .LBB23_817
; %bb.815:
	global_load_dword v3, v[0:1], off
	s_mov_b32 s27, 0
	s_waitcnt vmcnt(0)
	v_cvt_f32_u32_e32 v3, v3
	v_cvt_f16_f32_e32 v4, v3
	s_branch .LBB23_818
.LBB23_816:
	s_mov_b32 s27, -1
                                        ; implicit-def: $vgpr4
	s_branch .LBB23_821
.LBB23_817:
	s_mov_b32 s27, -1
                                        ; implicit-def: $vgpr4
.LBB23_818:
	s_andn2_b32 vcc_lo, exec_lo, s27
	s_cbranch_vccnz .LBB23_820
; %bb.819:
	global_load_ushort v3, v[0:1], off
	s_waitcnt vmcnt(0)
	v_cvt_f16_u16_e32 v4, v3
.LBB23_820:
	s_mov_b32 s27, 0
.LBB23_821:
	s_andn2_b32 vcc_lo, exec_lo, s27
	s_cbranch_vccnz .LBB23_829
; %bb.822:
	global_load_ubyte v3, v[0:1], off
	s_mov_b32 s27, 0
	s_mov_b32 s28, exec_lo
	s_waitcnt vmcnt(0)
	v_cmpx_lt_i16_e32 0x7f, v3
	s_xor_b32 s28, exec_lo, s28
	s_cbranch_execz .LBB23_843
; %bb.823:
	s_mov_b32 s27, -1
	s_mov_b32 s29, exec_lo
	v_cmpx_eq_u16_e32 0x80, v3
; %bb.824:
	s_xor_b32 s27, exec_lo, -1
; %bb.825:
	s_or_b32 exec_lo, exec_lo, s29
	s_and_b32 s27, s27, exec_lo
	s_or_saveexec_b32 s28, s28
	v_mov_b32_e32 v4, 0x7e00
	s_xor_b32 exec_lo, exec_lo, s28
	s_cbranch_execnz .LBB23_844
.LBB23_826:
	s_or_b32 exec_lo, exec_lo, s28
	s_and_saveexec_b32 s28, s27
	s_cbranch_execz .LBB23_828
.LBB23_827:
	v_and_b32_e32 v4, 0xffff, v3
	v_lshlrev_b32_e32 v3, 24, v3
	v_and_b32_e32 v5, 7, v4
	v_bfe_u32 v8, v4, 3, 4
	v_and_b32_e32 v3, 0x80000000, v3
	v_ffbh_u32_e32 v6, v5
	v_cmp_eq_u32_e32 vcc_lo, 0, v8
	v_min_u32_e32 v6, 32, v6
	v_subrev_nc_u32_e32 v7, 28, v6
	v_sub_nc_u32_e32 v6, 29, v6
	v_lshlrev_b32_e32 v4, v7, v4
	v_cndmask_b32_e32 v6, v8, v6, vcc_lo
	v_and_b32_e32 v4, 7, v4
	v_cndmask_b32_e32 v4, v5, v4, vcc_lo
	v_lshl_add_u32 v5, v6, 23, 0x3b800000
	v_lshlrev_b32_e32 v4, 20, v4
	v_or3_b32 v3, v3, v5, v4
	v_cvt_f16_f32_e32 v4, v3
.LBB23_828:
	s_or_b32 exec_lo, exec_lo, s28
.LBB23_829:
	s_mov_b32 s27, -1
.LBB23_830:
	s_mov_b32 s28, 0
.LBB23_831:
	s_and_b32 vcc_lo, exec_lo, s28
	s_cbranch_vccz .LBB23_864
; %bb.832:
	s_cmp_gt_i32 s24, 22
	s_cbranch_scc0 .LBB23_842
; %bb.833:
	s_cmp_lt_i32 s24, 24
	s_cbranch_scc1 .LBB23_845
; %bb.834:
	s_cmp_gt_i32 s24, 24
	s_cbranch_scc0 .LBB23_846
; %bb.835:
	global_load_ubyte v3, v[0:1], off
	s_mov_b32 s27, exec_lo
	s_waitcnt vmcnt(0)
	v_cmpx_lt_i16_e32 0x7f, v3
	s_xor_b32 s27, exec_lo, s27
	s_cbranch_execz .LBB23_858
; %bb.836:
	s_mov_b32 s26, -1
	s_mov_b32 s28, exec_lo
	v_cmpx_eq_u16_e32 0x80, v3
; %bb.837:
	s_xor_b32 s26, exec_lo, -1
; %bb.838:
	s_or_b32 exec_lo, exec_lo, s28
	s_and_b32 s26, s26, exec_lo
	s_or_saveexec_b32 s27, s27
	v_mov_b32_e32 v4, 0x7e00
	s_xor_b32 exec_lo, exec_lo, s27
	s_cbranch_execnz .LBB23_859
.LBB23_839:
	s_or_b32 exec_lo, exec_lo, s27
	s_and_saveexec_b32 s27, s26
	s_cbranch_execz .LBB23_841
.LBB23_840:
	v_and_b32_e32 v4, 0xffff, v3
	v_lshlrev_b32_e32 v3, 24, v3
	v_and_b32_e32 v5, 3, v4
	v_bfe_u32 v8, v4, 2, 5
	v_and_b32_e32 v3, 0x80000000, v3
	v_ffbh_u32_e32 v6, v5
	v_cmp_eq_u32_e32 vcc_lo, 0, v8
	v_min_u32_e32 v6, 32, v6
	v_subrev_nc_u32_e32 v7, 29, v6
	v_sub_nc_u32_e32 v6, 30, v6
	v_lshlrev_b32_e32 v4, v7, v4
	v_cndmask_b32_e32 v6, v8, v6, vcc_lo
	v_and_b32_e32 v4, 3, v4
	v_cndmask_b32_e32 v4, v5, v4, vcc_lo
	v_lshl_add_u32 v5, v6, 23, 0x37800000
	v_lshlrev_b32_e32 v4, 21, v4
	v_or3_b32 v3, v3, v5, v4
	v_cvt_f16_f32_e32 v4, v3
.LBB23_841:
	s_or_b32 exec_lo, exec_lo, s27
	s_mov_b32 s26, 0
	s_branch .LBB23_847
.LBB23_842:
	s_mov_b32 s26, -1
                                        ; implicit-def: $vgpr4
	s_branch .LBB23_853
.LBB23_843:
	s_or_saveexec_b32 s28, s28
	v_mov_b32_e32 v4, 0x7e00
	s_xor_b32 exec_lo, exec_lo, s28
	s_cbranch_execz .LBB23_826
.LBB23_844:
	v_cmp_ne_u16_e32 vcc_lo, 0, v3
	v_mov_b32_e32 v4, v3
	s_andn2_b32 s27, s27, exec_lo
	s_and_b32 s29, vcc_lo, exec_lo
	s_or_b32 s27, s27, s29
	s_or_b32 exec_lo, exec_lo, s28
	s_and_saveexec_b32 s28, s27
	s_cbranch_execnz .LBB23_827
	s_branch .LBB23_828
.LBB23_845:
	s_mov_b32 s26, -1
                                        ; implicit-def: $vgpr4
	s_branch .LBB23_850
.LBB23_846:
	s_mov_b32 s26, -1
                                        ; implicit-def: $vgpr4
.LBB23_847:
	s_and_b32 vcc_lo, exec_lo, s26
	s_cbranch_vccz .LBB23_849
; %bb.848:
	global_load_ubyte v3, v[0:1], off
	s_waitcnt vmcnt(0)
	v_lshlrev_b32_e32 v3, 24, v3
	v_and_b32_e32 v4, 0x7f000000, v3
	v_ffbh_u32_e32 v5, v4
	v_add_nc_u32_e32 v7, 0x1000000, v4
	v_cmp_ne_u32_e32 vcc_lo, 0, v4
	v_min_u32_e32 v5, 32, v5
	v_sub_nc_u32_e64 v5, v5, 4 clamp
	v_lshlrev_b32_e32 v6, v5, v4
	v_lshlrev_b32_e32 v5, 23, v5
	v_lshrrev_b32_e32 v6, 4, v6
	v_sub_nc_u32_e32 v5, v6, v5
	v_ashrrev_i32_e32 v6, 8, v7
	v_add_nc_u32_e32 v5, 0x3c000000, v5
	v_and_or_b32 v5, 0x7f800000, v6, v5
	v_cndmask_b32_e32 v4, 0, v5, vcc_lo
	v_and_or_b32 v3, 0x80000000, v3, v4
	v_cvt_f16_f32_e32 v4, v3
.LBB23_849:
	s_mov_b32 s26, 0
.LBB23_850:
	s_andn2_b32 vcc_lo, exec_lo, s26
	s_cbranch_vccnz .LBB23_852
; %bb.851:
	global_load_ubyte v3, v[0:1], off
	s_waitcnt vmcnt(0)
	v_lshlrev_b32_e32 v4, 25, v3
	v_lshlrev_b16 v3, 8, v3
	v_lshrrev_b32_e32 v5, 4, v4
	v_and_or_b32 v6, 0x7f00, v3, 0.5
	v_cmp_gt_u32_e32 vcc_lo, 0x8000000, v4
	v_bfe_i32 v3, v3, 0, 16
	v_or_b32_e32 v5, 0x70000000, v5
	v_add_f32_e32 v6, -0.5, v6
	v_mul_f32_e32 v5, 0x7800000, v5
	v_cndmask_b32_e32 v4, v5, v6, vcc_lo
	v_and_or_b32 v3, 0x80000000, v3, v4
	v_cvt_f16_f32_e32 v4, v3
.LBB23_852:
	s_mov_b32 s26, 0
	s_mov_b32 s27, -1
.LBB23_853:
	s_andn2_b32 vcc_lo, exec_lo, s26
	s_mov_b32 s26, 0
	s_cbranch_vccnz .LBB23_864
; %bb.854:
	s_cmp_gt_i32 s24, 14
	s_cbranch_scc0 .LBB23_857
; %bb.855:
	s_cmp_eq_u32 s24, 15
	s_cbranch_scc0 .LBB23_860
; %bb.856:
	global_load_ushort v3, v[0:1], off
	s_mov_b32 s25, 0
	s_mov_b32 s27, -1
	s_waitcnt vmcnt(0)
	v_lshlrev_b32_e32 v3, 16, v3
	v_cvt_f16_f32_e32 v4, v3
	s_branch .LBB23_862
.LBB23_857:
	s_mov_b32 s26, -1
	s_branch .LBB23_861
.LBB23_858:
	s_or_saveexec_b32 s27, s27
	v_mov_b32_e32 v4, 0x7e00
	s_xor_b32 exec_lo, exec_lo, s27
	s_cbranch_execz .LBB23_839
.LBB23_859:
	v_cmp_ne_u16_e32 vcc_lo, 0, v3
	v_mov_b32_e32 v4, v3
	s_andn2_b32 s26, s26, exec_lo
	s_and_b32 s28, vcc_lo, exec_lo
	s_or_b32 s26, s26, s28
	s_or_b32 exec_lo, exec_lo, s27
	s_and_saveexec_b32 s27, s26
	s_cbranch_execnz .LBB23_840
	s_branch .LBB23_841
.LBB23_860:
	s_mov_b32 s25, -1
.LBB23_861:
                                        ; implicit-def: $vgpr4
.LBB23_862:
	s_and_b32 vcc_lo, exec_lo, s26
	s_mov_b32 s26, 0
	s_cbranch_vccz .LBB23_864
; %bb.863:
	s_cmp_lg_u32 s24, 11
	s_mov_b32 s26, -1
	s_cselect_b32 s24, -1, 0
	s_andn2_b32 s25, s25, exec_lo
	s_and_b32 s24, s24, exec_lo
	s_or_b32 s25, s25, s24
.LBB23_864:
	s_mov_b32 s24, 0
.LBB23_865:
	s_andn2_b32 s29, s0, exec_lo
	s_and_b32 s25, s25, exec_lo
	s_and_b32 s27, s27, exec_lo
	;; [unrolled: 1-line block ×4, first 2 shown]
	s_or_b32 s25, s29, s25
.LBB23_866:
	s_or_b32 exec_lo, exec_lo, s16
	s_andn2_b32 s0, s0, exec_lo
	s_and_b32 s16, s25, exec_lo
	s_and_b32 s27, s27, exec_lo
	;; [unrolled: 1-line block ×4, first 2 shown]
	s_or_b32 s0, s0, s16
.LBB23_867:
	s_or_b32 exec_lo, exec_lo, s22
	s_andn2_b32 s16, s20, exec_lo
	s_and_b32 s20, s23, exec_lo
	s_and_b32 s0, s0, exec_lo
	s_or_b32 s20, s16, s20
	s_andn2_b32 s16, s19, exec_lo
	s_and_b32 s24, s27, exec_lo
	s_and_b32 s23, s26, exec_lo
	s_and_b32 s22, s25, exec_lo
	s_or_b32 s19, s16, s0
.LBB23_868:
	s_or_b32 exec_lo, exec_lo, s21
	s_andn2_b32 s0, s7, exec_lo
	s_and_b32 s7, s20, exec_lo
	s_andn2_b32 s16, s17, exec_lo
	s_and_b32 s17, s19, exec_lo
	s_or_b32 s7, s0, s7
	s_and_b32 s0, s24, exec_lo
	s_and_b32 s20, s23, exec_lo
	;; [unrolled: 1-line block ×3, first 2 shown]
	s_or_b32 s17, s16, s17
	s_or_b32 exec_lo, exec_lo, s18
	s_mov_b32 s16, 0
	s_and_saveexec_b32 s18, s17
	s_cbranch_execz .LBB23_264
.LBB23_869:
	s_mov_b32 s16, exec_lo
	s_andn2_b32 s19, s19, exec_lo
	s_trap 2
	s_or_b32 exec_lo, exec_lo, s18
	s_and_saveexec_b32 s17, s19
	s_xor_b32 s17, exec_lo, s17
	s_cbranch_execnz .LBB23_265
.LBB23_870:
	s_or_b32 exec_lo, exec_lo, s17
	s_and_saveexec_b32 s17, s20
	s_cbranch_execz .LBB23_916
.LBB23_871:
	s_sext_i32_i16 s18, s5
	s_cmp_lt_i32 s18, 5
	s_cbranch_scc1 .LBB23_876
; %bb.872:
	s_cmp_lt_i32 s18, 8
	s_cbranch_scc1 .LBB23_877
; %bb.873:
	;; [unrolled: 3-line block ×3, first 2 shown]
	s_cmp_gt_i32 s18, 9
	s_cbranch_scc0 .LBB23_879
; %bb.875:
	global_load_dwordx2 v[3:4], v[0:1], off
	s_mov_b32 s18, 0
	s_waitcnt vmcnt(0)
	v_and_or_b32 v3, 0x1ff, v4, v3
	v_lshrrev_b32_e32 v5, 8, v4
	v_bfe_u32 v6, v4, 20, 11
	v_lshrrev_b32_e32 v4, 16, v4
	v_cmp_ne_u32_e32 vcc_lo, 0, v3
	v_sub_nc_u32_e32 v7, 0x3f1, v6
	v_add_nc_u32_e32 v6, 0xfffffc10, v6
	v_cndmask_b32_e64 v3, 0, 1, vcc_lo
	v_and_or_b32 v3, 0xffe, v5, v3
	v_med3_i32 v5, v7, 0, 13
	v_or_b32_e32 v7, 0x1000, v3
	v_lshrrev_b32_e32 v8, v5, v7
	v_lshlrev_b32_e32 v5, v5, v8
	v_cmp_ne_u32_e32 vcc_lo, v5, v7
	v_lshl_or_b32 v7, v6, 12, v3
	v_cndmask_b32_e64 v5, 0, 1, vcc_lo
	v_cmp_gt_i32_e32 vcc_lo, 1, v6
	v_or_b32_e32 v5, v8, v5
	v_cndmask_b32_e32 v5, v7, v5, vcc_lo
	v_and_b32_e32 v7, 7, v5
	v_lshrrev_b32_e32 v5, 2, v5
	v_cmp_lt_i32_e32 vcc_lo, 5, v7
	v_cndmask_b32_e64 v8, 0, 1, vcc_lo
	v_cmp_eq_u32_e32 vcc_lo, 3, v7
	v_cndmask_b32_e64 v7, 0, 1, vcc_lo
	v_cmp_ne_u32_e32 vcc_lo, 0, v3
	v_or_b32_e32 v7, v7, v8
	v_mov_b32_e32 v8, 0x7e00
	v_add_nc_u32_e32 v5, v5, v7
	v_cndmask_b32_e32 v3, 0x7c00, v8, vcc_lo
	v_cmp_gt_i32_e32 vcc_lo, 31, v6
	v_cndmask_b32_e32 v5, 0x7c00, v5, vcc_lo
	v_cmp_eq_u32_e32 vcc_lo, 0x40f, v6
	v_cndmask_b32_e32 v3, v5, v3, vcc_lo
	v_and_or_b32 v4, 0x8000, v4, v3
	s_branch .LBB23_880
.LBB23_876:
                                        ; implicit-def: $vgpr4
	s_branch .LBB23_897
.LBB23_877:
                                        ; implicit-def: $vgpr4
	s_branch .LBB23_886
.LBB23_878:
	s_mov_b32 s18, -1
                                        ; implicit-def: $vgpr4
	s_branch .LBB23_883
.LBB23_879:
	s_mov_b32 s18, -1
                                        ; implicit-def: $vgpr4
.LBB23_880:
	s_andn2_b32 vcc_lo, exec_lo, s18
	s_cbranch_vccnz .LBB23_882
; %bb.881:
	global_load_dword v3, v[0:1], off
	s_waitcnt vmcnt(0)
	v_cvt_f16_f32_e32 v4, v3
.LBB23_882:
	s_mov_b32 s18, 0
.LBB23_883:
	s_andn2_b32 vcc_lo, exec_lo, s18
	s_cbranch_vccnz .LBB23_885
; %bb.884:
	global_load_dword v4, v[0:1], off
.LBB23_885:
	s_cbranch_execnz .LBB23_896
.LBB23_886:
	s_sext_i32_i16 s18, s5
	s_cmp_lt_i32 s18, 6
	s_cbranch_scc1 .LBB23_889
; %bb.887:
	s_cmp_gt_i32 s18, 6
	s_cbranch_scc0 .LBB23_890
; %bb.888:
	global_load_dwordx2 v[3:4], v[0:1], off
	s_mov_b32 s18, 0
	s_waitcnt vmcnt(0)
	v_and_or_b32 v3, 0x1ff, v4, v3
	v_lshrrev_b32_e32 v5, 8, v4
	v_bfe_u32 v6, v4, 20, 11
	v_lshrrev_b32_e32 v4, 16, v4
	v_cmp_ne_u32_e32 vcc_lo, 0, v3
	v_sub_nc_u32_e32 v7, 0x3f1, v6
	v_add_nc_u32_e32 v6, 0xfffffc10, v6
	v_cndmask_b32_e64 v3, 0, 1, vcc_lo
	v_and_or_b32 v3, 0xffe, v5, v3
	v_med3_i32 v5, v7, 0, 13
	v_or_b32_e32 v7, 0x1000, v3
	v_lshrrev_b32_e32 v8, v5, v7
	v_lshlrev_b32_e32 v5, v5, v8
	v_cmp_ne_u32_e32 vcc_lo, v5, v7
	v_lshl_or_b32 v7, v6, 12, v3
	v_cndmask_b32_e64 v5, 0, 1, vcc_lo
	v_cmp_gt_i32_e32 vcc_lo, 1, v6
	v_or_b32_e32 v5, v8, v5
	v_cndmask_b32_e32 v5, v7, v5, vcc_lo
	v_and_b32_e32 v7, 7, v5
	v_lshrrev_b32_e32 v5, 2, v5
	v_cmp_lt_i32_e32 vcc_lo, 5, v7
	v_cndmask_b32_e64 v8, 0, 1, vcc_lo
	v_cmp_eq_u32_e32 vcc_lo, 3, v7
	v_cndmask_b32_e64 v7, 0, 1, vcc_lo
	v_cmp_ne_u32_e32 vcc_lo, 0, v3
	v_or_b32_e32 v7, v7, v8
	v_mov_b32_e32 v8, 0x7e00
	v_add_nc_u32_e32 v5, v5, v7
	v_cndmask_b32_e32 v3, 0x7c00, v8, vcc_lo
	v_cmp_gt_i32_e32 vcc_lo, 31, v6
	v_cndmask_b32_e32 v5, 0x7c00, v5, vcc_lo
	v_cmp_eq_u32_e32 vcc_lo, 0x40f, v6
	v_cndmask_b32_e32 v3, v5, v3, vcc_lo
	v_and_or_b32 v4, 0x8000, v4, v3
	s_branch .LBB23_891
.LBB23_889:
	s_mov_b32 s18, -1
                                        ; implicit-def: $vgpr4
	s_branch .LBB23_894
.LBB23_890:
	s_mov_b32 s18, -1
                                        ; implicit-def: $vgpr4
.LBB23_891:
	s_andn2_b32 vcc_lo, exec_lo, s18
	s_cbranch_vccnz .LBB23_893
; %bb.892:
	global_load_dword v3, v[0:1], off
	s_waitcnt vmcnt(0)
	v_cvt_f16_f32_e32 v4, v3
.LBB23_893:
	s_mov_b32 s18, 0
.LBB23_894:
	s_andn2_b32 vcc_lo, exec_lo, s18
	s_cbranch_vccnz .LBB23_896
; %bb.895:
	global_load_ushort v4, v[0:1], off
.LBB23_896:
	s_cbranch_execnz .LBB23_915
.LBB23_897:
	s_sext_i32_i16 s18, s5
	s_cmp_lt_i32 s18, 2
	s_cbranch_scc1 .LBB23_901
; %bb.898:
	s_cmp_lt_i32 s18, 3
	s_cbranch_scc1 .LBB23_902
; %bb.899:
	s_cmp_gt_i32 s18, 3
	s_cbranch_scc0 .LBB23_903
; %bb.900:
	global_load_dwordx2 v[3:4], v[0:1], off
	s_mov_b32 s18, 0
	s_waitcnt vmcnt(0)
	v_xor_b32_e32 v5, v3, v4
	v_ffbh_i32_e32 v6, v4
	v_ashrrev_i32_e32 v5, 31, v5
	v_add_nc_u32_e32 v6, -1, v6
	v_add_nc_u32_e32 v5, 32, v5
	v_min_u32_e32 v5, v6, v5
	v_lshlrev_b64 v[3:4], v5, v[3:4]
	v_min_u32_e32 v3, 1, v3
	v_or_b32_e32 v3, v4, v3
	v_sub_nc_u32_e32 v4, 32, v5
	v_cvt_f32_i32_e32 v3, v3
	v_ldexp_f32 v3, v3, v4
	v_cvt_f16_f32_e32 v4, v3
	s_branch .LBB23_904
.LBB23_901:
                                        ; implicit-def: $vgpr4
	s_branch .LBB23_910
.LBB23_902:
	s_mov_b32 s18, -1
                                        ; implicit-def: $vgpr4
	s_branch .LBB23_907
.LBB23_903:
	s_mov_b32 s18, -1
                                        ; implicit-def: $vgpr4
.LBB23_904:
	s_andn2_b32 vcc_lo, exec_lo, s18
	s_cbranch_vccnz .LBB23_906
; %bb.905:
	global_load_dword v3, v[0:1], off
	s_waitcnt vmcnt(0)
	v_cvt_f32_i32_e32 v3, v3
	v_cvt_f16_f32_e32 v4, v3
.LBB23_906:
	s_mov_b32 s18, 0
.LBB23_907:
	s_andn2_b32 vcc_lo, exec_lo, s18
	s_cbranch_vccnz .LBB23_909
; %bb.908:
	global_load_ushort v3, v[0:1], off
	s_waitcnt vmcnt(0)
	v_cvt_f16_i16_e32 v4, v3
.LBB23_909:
	s_cbranch_execnz .LBB23_915
.LBB23_910:
	s_sext_i32_i16 s18, s5
	s_cmp_gt_i32 s18, 0
	s_mov_b32 s18, 0
	s_cbranch_scc0 .LBB23_912
; %bb.911:
	global_load_sbyte v3, v[0:1], off
	s_waitcnt vmcnt(0)
	v_cvt_f16_i16_e32 v4, v3
	s_branch .LBB23_913
.LBB23_912:
	s_mov_b32 s18, -1
                                        ; implicit-def: $vgpr4
.LBB23_913:
	s_andn2_b32 vcc_lo, exec_lo, s18
	s_cbranch_vccnz .LBB23_915
; %bb.914:
	global_load_ubyte v0, v[0:1], off
	s_waitcnt vmcnt(0)
	v_cvt_f16_u16_e32 v4, v0
.LBB23_915:
	s_or_b32 s0, s0, exec_lo
.LBB23_916:
	s_or_b32 exec_lo, exec_lo, s17
	s_mov_b32 s20, 0
	s_mov_b32 s19, 0
                                        ; implicit-def: $sgpr17
                                        ; implicit-def: $vgpr0_vgpr1
                                        ; implicit-def: $vgpr3
	s_and_saveexec_b32 s18, s0
	s_cbranch_execz .LBB23_926
; %bb.917:
	s_waitcnt vmcnt(0)
	v_cvt_f32_f16_e32 v0, v4
	s_mov_b32 s0, exec_lo
	v_cmpx_nlg_f32_e64 0x7f800000, |v0|
	s_cbranch_execz .LBB23_919
; %bb.918:
	v_mov_b32_e32 v1, 0
	v_mov_b32_e32 v3, 1.0
	global_store_dword v1, v3, s[12:13]
.LBB23_919:
	s_or_b32 exec_lo, exec_lo, s0
	v_mov_b32_e32 v1, 0
	s_and_b32 s17, s1, 0xff
	s_cmp_lt_i32 s17, 11
	global_load_dword v3, v1, s[14:15]
	v_mul_lo_u32 v1, v2, s2
	v_ashrrev_i32_e32 v2, 31, v1
	s_waitcnt vmcnt(0)
	v_fma_mixlo_f16 v5, v3, v0, 0
	v_add_co_u32 v0, vcc_lo, s8, v1
	v_add_co_ci_u32_e64 v1, null, s9, v2, vcc_lo
	v_cmp_eq_f32_e32 vcc_lo, 1.0, v3
	v_cndmask_b32_e32 v3, v5, v4, vcc_lo
	s_cbranch_scc1 .LBB23_929
; %bb.920:
	s_and_b32 s19, 0xffff, s17
	s_mov_b32 s20, -1
	s_cmp_gt_i32 s19, 25
	s_mov_b32 s0, s7
	s_cbranch_scc0 .LBB23_957
; %bb.921:
	s_cmp_gt_i32 s19, 28
	s_mov_b32 s0, s7
	s_cbranch_scc0 .LBB23_941
; %bb.922:
	;; [unrolled: 4-line block ×4, first 2 shown]
	s_cmp_eq_u32 s19, 46
	s_mov_b32 s0, -1
	s_cbranch_scc0 .LBB23_930
; %bb.925:
	v_cvt_f32_f16_e32 v2, v3
	v_cmp_o_f16_e32 vcc_lo, v3, v3
	s_mov_b32 s0, 0
	s_mov_b32 s20, 0
	v_bfe_u32 v4, v2, 16, 1
	v_add3_u32 v2, v2, v4, 0x7fff
	v_mov_b32_e32 v4, 0x7fc0
	v_cndmask_b32_sdwa v2, v4, v2, vcc_lo dst_sel:DWORD dst_unused:UNUSED_PAD src0_sel:DWORD src1_sel:WORD_1
	global_store_dword v[0:1], v2, off
	s_branch .LBB23_931
.LBB23_926:
	s_or_b32 exec_lo, exec_lo, s18
	s_and_saveexec_b32 s0, s7
	s_cbranch_execnz .LBB23_999
.LBB23_927:
	s_or_b32 exec_lo, exec_lo, s0
	s_and_saveexec_b32 s0, s20
	s_xor_b32 s0, exec_lo, s0
	s_cbranch_execz .LBB23_1000
.LBB23_928:
	s_waitcnt vmcnt(0)
	v_and_b32_e32 v2, 0x7fff, v3
	v_cmp_ne_u16_e32 vcc_lo, 0, v2
	v_cndmask_b32_e64 v2, 0, 1, vcc_lo
	global_store_byte v[0:1], v2, off
	s_or_b32 exec_lo, exec_lo, s0
	s_and_saveexec_b32 s0, s19
	s_xor_b32 s0, exec_lo, s0
	s_cbranch_execz .LBB23_1038
	s_branch .LBB23_1001
.LBB23_929:
	s_mov_b32 s21, 0
	s_mov_b32 s20, -1
	s_mov_b32 s0, s7
	s_branch .LBB23_998
.LBB23_930:
	s_mov_b32 s20, 0
.LBB23_931:
	s_and_b32 vcc_lo, exec_lo, s20
	s_cbranch_vccz .LBB23_936
; %bb.932:
	s_cmp_eq_u32 s19, 44
	s_mov_b32 s0, -1
	s_cbranch_scc0 .LBB23_936
; %bb.933:
	v_cvt_f32_f16_e32 v2, v3
	v_mov_b32_e32 v4, 0xff
	s_mov_b32 s20, exec_lo
	v_bfe_u32 v5, v2, 23, 8
	v_cmpx_ne_u32_e32 0xff, v5
	s_cbranch_execz .LBB23_935
; %bb.934:
	v_and_b32_e32 v4, 0x400000, v2
	v_and_or_b32 v5, 0x3fffff, v2, v5
	v_lshrrev_b32_e32 v2, 23, v2
	v_cmp_ne_u32_e32 vcc_lo, 0, v4
	v_cmp_ne_u32_e64 s0, 0, v5
	s_and_b32 s0, vcc_lo, s0
	v_cndmask_b32_e64 v4, 0, 1, s0
	v_add_nc_u32_e32 v4, v2, v4
.LBB23_935:
	s_or_b32 exec_lo, exec_lo, s20
	s_mov_b32 s0, 0
	global_store_byte v[0:1], v4, off
.LBB23_936:
	s_mov_b32 s20, 0
.LBB23_937:
	s_and_b32 vcc_lo, exec_lo, s20
	s_cbranch_vccz .LBB23_940
; %bb.938:
	s_cmp_eq_u32 s19, 29
	s_mov_b32 s0, -1
	s_cbranch_scc0 .LBB23_940
; %bb.939:
	v_cvt_f32_f16_e32 v2, v3
	v_mov_b32_e32 v5, 0
	s_mov_b32 s0, 0
	s_mov_b32 s20, 0
	v_cvt_u32_f32_e32 v4, v2
	global_store_dwordx2 v[0:1], v[4:5], off
	s_branch .LBB23_941
.LBB23_940:
	s_mov_b32 s20, 0
.LBB23_941:
	s_and_b32 vcc_lo, exec_lo, s20
	s_cbranch_vccz .LBB23_956
; %bb.942:
	s_cmp_lt_i32 s19, 27
	s_mov_b32 s20, -1
	s_cbranch_scc1 .LBB23_948
; %bb.943:
	s_cmp_gt_i32 s19, 27
	s_cbranch_scc0 .LBB23_945
; %bb.944:
	v_cvt_f32_f16_e32 v2, v3
	s_mov_b32 s20, 0
	v_cvt_u32_f32_e32 v2, v2
	global_store_dword v[0:1], v2, off
.LBB23_945:
	s_andn2_b32 vcc_lo, exec_lo, s20
	s_cbranch_vccnz .LBB23_947
; %bb.946:
	v_cvt_u16_f16_e32 v2, v3
	global_store_short v[0:1], v2, off
.LBB23_947:
	s_mov_b32 s20, 0
.LBB23_948:
	s_andn2_b32 vcc_lo, exec_lo, s20
	s_cbranch_vccnz .LBB23_956
; %bb.949:
	v_cvt_f32_f16_e32 v2, v3
	v_mov_b32_e32 v5, 0x80
	s_mov_b32 s20, exec_lo
	v_and_b32_e32 v4, 0x7fffffff, v2
	v_cmpx_gt_u32_e32 0x43800000, v4
	s_cbranch_execz .LBB23_955
; %bb.950:
	v_cmp_lt_u32_e32 vcc_lo, 0x3bffffff, v4
	s_mov_b32 s21, 0
                                        ; implicit-def: $vgpr4
	s_and_saveexec_b32 s22, vcc_lo
	s_xor_b32 s22, exec_lo, s22
	s_cbranch_execz .LBB23_1053
; %bb.951:
	v_bfe_u32 v4, v2, 20, 1
	s_mov_b32 s21, exec_lo
	v_add3_u32 v4, v2, v4, 0x487ffff
	v_lshrrev_b32_e32 v4, 20, v4
	s_andn2_saveexec_b32 s22, s22
	s_cbranch_execnz .LBB23_1054
.LBB23_952:
	s_or_b32 exec_lo, exec_lo, s22
	v_mov_b32_e32 v5, 0
	s_and_saveexec_b32 s22, s21
.LBB23_953:
	v_lshrrev_b32_e32 v2, 24, v2
	v_and_or_b32 v5, 0x80, v2, v4
.LBB23_954:
	s_or_b32 exec_lo, exec_lo, s22
.LBB23_955:
	s_or_b32 exec_lo, exec_lo, s20
	global_store_byte v[0:1], v5, off
.LBB23_956:
	s_mov_b32 s20, 0
.LBB23_957:
	s_and_b32 vcc_lo, exec_lo, s20
	s_mov_b32 s20, 0
	s_cbranch_vccz .LBB23_997
; %bb.958:
	s_cmp_gt_i32 s19, 22
	s_mov_b32 s21, -1
	s_cbranch_scc0 .LBB23_990
; %bb.959:
	s_cmp_lt_i32 s19, 24
	s_cbranch_scc1 .LBB23_979
; %bb.960:
	s_cmp_gt_i32 s19, 24
	s_cbranch_scc0 .LBB23_968
; %bb.961:
	v_cvt_f32_f16_e32 v2, v3
	v_mov_b32_e32 v5, 0x80
	s_mov_b32 s21, exec_lo
	v_and_b32_e32 v4, 0x7fffffff, v2
	v_cmpx_gt_u32_e32 0x47800000, v4
	s_cbranch_execz .LBB23_967
; %bb.962:
	v_cmp_lt_u32_e32 vcc_lo, 0x37ffffff, v4
	s_mov_b32 s22, 0
                                        ; implicit-def: $vgpr4
	s_and_saveexec_b32 s23, vcc_lo
	s_xor_b32 s23, exec_lo, s23
	s_cbranch_execz .LBB23_1181
; %bb.963:
	v_bfe_u32 v4, v2, 21, 1
	s_mov_b32 s22, exec_lo
	v_add3_u32 v4, v2, v4, 0x88fffff
	v_lshrrev_b32_e32 v4, 21, v4
	s_andn2_saveexec_b32 s23, s23
	s_cbranch_execnz .LBB23_1182
.LBB23_964:
	s_or_b32 exec_lo, exec_lo, s23
	v_mov_b32_e32 v5, 0
	s_and_saveexec_b32 s23, s22
.LBB23_965:
	v_lshrrev_b32_e32 v2, 24, v2
	v_and_or_b32 v5, 0x80, v2, v4
.LBB23_966:
	s_or_b32 exec_lo, exec_lo, s23
.LBB23_967:
	s_or_b32 exec_lo, exec_lo, s21
	s_mov_b32 s21, 0
	global_store_byte v[0:1], v5, off
.LBB23_968:
	s_and_b32 vcc_lo, exec_lo, s21
	s_cbranch_vccz .LBB23_978
; %bb.969:
	v_cvt_f32_f16_e32 v2, v3
	s_mov_b32 s21, exec_lo
                                        ; implicit-def: $vgpr4
	v_and_b32_e32 v5, 0x7fffffff, v2
	v_cmpx_gt_u32_e32 0x43f00000, v5
	s_xor_b32 s21, exec_lo, s21
	s_cbranch_execz .LBB23_975
; %bb.970:
	s_mov_b32 s22, exec_lo
                                        ; implicit-def: $vgpr4
	v_cmpx_lt_u32_e32 0x3c7fffff, v5
	s_xor_b32 s22, exec_lo, s22
; %bb.971:
	v_bfe_u32 v4, v2, 20, 1
	v_add3_u32 v4, v2, v4, 0x407ffff
	v_and_b32_e32 v5, 0xff00000, v4
	v_lshrrev_b32_e32 v4, 20, v4
	v_cmp_ne_u32_e32 vcc_lo, 0x7f00000, v5
	v_cndmask_b32_e32 v4, 0x7e, v4, vcc_lo
; %bb.972:
	s_andn2_saveexec_b32 s22, s22
; %bb.973:
	v_add_f32_e64 v4, 0x46800000, |v2|
; %bb.974:
	s_or_b32 exec_lo, exec_lo, s22
                                        ; implicit-def: $vgpr5
.LBB23_975:
	s_andn2_saveexec_b32 s21, s21
; %bb.976:
	v_mov_b32_e32 v4, 0x7f
	v_cmp_lt_u32_e32 vcc_lo, 0x7f800000, v5
	v_cndmask_b32_e32 v4, 0x7e, v4, vcc_lo
; %bb.977:
	s_or_b32 exec_lo, exec_lo, s21
	v_lshrrev_b32_e32 v2, 24, v2
	v_and_or_b32 v2, 0x80, v2, v4
	global_store_byte v[0:1], v2, off
.LBB23_978:
	s_mov_b32 s21, 0
.LBB23_979:
	s_andn2_b32 vcc_lo, exec_lo, s21
	s_cbranch_vccnz .LBB23_989
; %bb.980:
	v_cvt_f32_f16_e32 v2, v3
	s_mov_b32 s21, exec_lo
                                        ; implicit-def: $vgpr4
	v_and_b32_e32 v5, 0x7fffffff, v2
	v_cmpx_gt_u32_e32 0x47800000, v5
	s_xor_b32 s21, exec_lo, s21
	s_cbranch_execz .LBB23_986
; %bb.981:
	s_mov_b32 s22, exec_lo
                                        ; implicit-def: $vgpr4
	v_cmpx_lt_u32_e32 0x387fffff, v5
	s_xor_b32 s22, exec_lo, s22
; %bb.982:
	v_bfe_u32 v4, v2, 21, 1
	v_add3_u32 v4, v2, v4, 0x80fffff
	v_lshrrev_b32_e32 v4, 21, v4
; %bb.983:
	s_andn2_saveexec_b32 s22, s22
; %bb.984:
	v_add_f32_e64 v4, 0x43000000, |v2|
; %bb.985:
	s_or_b32 exec_lo, exec_lo, s22
                                        ; implicit-def: $vgpr5
.LBB23_986:
	s_andn2_saveexec_b32 s21, s21
; %bb.987:
	v_mov_b32_e32 v4, 0x7f
	v_cmp_lt_u32_e32 vcc_lo, 0x7f800000, v5
	v_cndmask_b32_e32 v4, 0x7c, v4, vcc_lo
; %bb.988:
	s_or_b32 exec_lo, exec_lo, s21
	v_lshrrev_b32_e32 v2, 24, v2
	v_and_or_b32 v2, 0x80, v2, v4
	global_store_byte v[0:1], v2, off
.LBB23_989:
	s_mov_b32 s21, 0
.LBB23_990:
	s_andn2_b32 vcc_lo, exec_lo, s21
	s_mov_b32 s21, 0
	s_cbranch_vccnz .LBB23_998
; %bb.991:
	s_cmp_gt_i32 s19, 14
	s_mov_b32 s21, -1
	s_cbranch_scc0 .LBB23_995
; %bb.992:
	s_cmp_eq_u32 s19, 15
	s_mov_b32 s0, -1
	s_cbranch_scc0 .LBB23_994
; %bb.993:
	v_cvt_f32_f16_e32 v2, v3
	v_cmp_o_f16_e32 vcc_lo, v3, v3
	s_mov_b32 s0, 0
	v_bfe_u32 v4, v2, 16, 1
	v_add3_u32 v2, v2, v4, 0x7fff
	v_mov_b32_e32 v4, 0x7fc0
	v_cndmask_b32_sdwa v2, v4, v2, vcc_lo dst_sel:DWORD dst_unused:UNUSED_PAD src0_sel:DWORD src1_sel:WORD_1
	global_store_short v[0:1], v2, off
.LBB23_994:
	s_mov_b32 s21, 0
.LBB23_995:
	s_and_b32 vcc_lo, exec_lo, s21
	s_mov_b32 s21, 0
	s_cbranch_vccz .LBB23_998
; %bb.996:
	s_cmp_lg_u32 s19, 11
	s_mov_b32 s21, -1
	s_cselect_b32 s19, -1, 0
	s_andn2_b32 s0, s0, exec_lo
	s_and_b32 s19, s19, exec_lo
	s_or_b32 s0, s0, s19
	s_branch .LBB23_998
.LBB23_997:
	s_mov_b32 s21, 0
.LBB23_998:
	s_andn2_b32 s7, s7, exec_lo
	s_and_b32 s0, s0, exec_lo
	s_and_b32 s19, s20, exec_lo
	;; [unrolled: 1-line block ×3, first 2 shown]
	s_or_b32 s7, s7, s0
	s_or_b32 exec_lo, exec_lo, s18
	s_and_saveexec_b32 s0, s7
	s_cbranch_execz .LBB23_927
.LBB23_999:
	s_or_b32 s16, s16, exec_lo
	s_andn2_b32 s20, s20, exec_lo
	s_trap 2
	s_or_b32 exec_lo, exec_lo, s0
	s_and_saveexec_b32 s0, s20
	s_xor_b32 s0, exec_lo, s0
	s_cbranch_execnz .LBB23_928
.LBB23_1000:
	s_or_b32 exec_lo, exec_lo, s0
	s_and_saveexec_b32 s0, s19
	s_xor_b32 s0, exec_lo, s0
	s_cbranch_execz .LBB23_1038
.LBB23_1001:
	s_sext_i32_i16 s18, s17
	s_mov_b32 s7, -1
	s_cmp_lt_i32 s18, 5
	s_cbranch_scc1 .LBB23_1022
; %bb.1002:
	s_cmp_lt_i32 s18, 8
	s_cbranch_scc1 .LBB23_1012
; %bb.1003:
	s_cmp_lt_i32 s18, 9
	s_cbranch_scc1 .LBB23_1009
; %bb.1004:
	s_cmp_gt_i32 s18, 9
	s_cbranch_scc0 .LBB23_1006
; %bb.1005:
	s_waitcnt vmcnt(0)
	v_cvt_f32_f16_e32 v2, v3
	v_mov_b32_e32 v6, 0
	s_mov_b32 s7, 0
	v_cvt_f64_f32_e32 v[4:5], v2
	v_mov_b32_e32 v7, v6
	global_store_dwordx4 v[0:1], v[4:7], off
.LBB23_1006:
	s_andn2_b32 vcc_lo, exec_lo, s7
	s_cbranch_vccnz .LBB23_1008
; %bb.1007:
	s_waitcnt vmcnt(0)
	v_cvt_f32_f16_e32 v4, v3
	v_mov_b32_e32 v5, 0
	global_store_dwordx2 v[0:1], v[4:5], off
.LBB23_1008:
	s_mov_b32 s7, 0
.LBB23_1009:
	s_andn2_b32 vcc_lo, exec_lo, s7
	s_cbranch_vccnz .LBB23_1011
; %bb.1010:
	s_waitcnt vmcnt(0)
	v_and_b32_e32 v2, 0xffff, v3
	global_store_dword v[0:1], v2, off
.LBB23_1011:
	s_mov_b32 s7, 0
.LBB23_1012:
	s_andn2_b32 vcc_lo, exec_lo, s7
	s_cbranch_vccnz .LBB23_1021
; %bb.1013:
	s_sext_i32_i16 s18, s17
	s_mov_b32 s7, -1
	s_cmp_lt_i32 s18, 6
	s_cbranch_scc1 .LBB23_1019
; %bb.1014:
	s_cmp_gt_i32 s18, 6
	s_cbranch_scc0 .LBB23_1016
; %bb.1015:
	s_waitcnt vmcnt(0)
	v_cvt_f32_f16_e32 v2, v3
	s_mov_b32 s7, 0
	v_cvt_f64_f32_e32 v[4:5], v2
	global_store_dwordx2 v[0:1], v[4:5], off
.LBB23_1016:
	s_andn2_b32 vcc_lo, exec_lo, s7
	s_cbranch_vccnz .LBB23_1018
; %bb.1017:
	s_waitcnt vmcnt(0)
	v_cvt_f32_f16_e32 v2, v3
	global_store_dword v[0:1], v2, off
.LBB23_1018:
	s_mov_b32 s7, 0
.LBB23_1019:
	s_andn2_b32 vcc_lo, exec_lo, s7
	s_cbranch_vccnz .LBB23_1021
; %bb.1020:
	s_waitcnt vmcnt(0)
	global_store_short v[0:1], v3, off
.LBB23_1021:
	s_mov_b32 s7, 0
.LBB23_1022:
	s_andn2_b32 vcc_lo, exec_lo, s7
	s_cbranch_vccnz .LBB23_1038
; %bb.1023:
	s_sext_i32_i16 s18, s17
	s_mov_b32 s7, -1
	s_cmp_lt_i32 s18, 2
	s_cbranch_scc1 .LBB23_1033
; %bb.1024:
	s_cmp_lt_i32 s18, 3
	s_cbranch_scc1 .LBB23_1030
; %bb.1025:
	s_cmp_gt_i32 s18, 3
	s_cbranch_scc0 .LBB23_1027
; %bb.1026:
	s_waitcnt vmcnt(0)
	v_cvt_f32_f16_e32 v2, v3
	s_mov_b32 s7, 0
	v_cvt_i32_f32_e32 v4, v2
	v_ashrrev_i32_e32 v5, 31, v4
	global_store_dwordx2 v[0:1], v[4:5], off
.LBB23_1027:
	s_andn2_b32 vcc_lo, exec_lo, s7
	s_cbranch_vccnz .LBB23_1029
; %bb.1028:
	s_waitcnt vmcnt(0)
	v_cvt_f32_f16_e32 v2, v3
	v_cvt_i32_f32_e32 v2, v2
	global_store_dword v[0:1], v2, off
.LBB23_1029:
	s_mov_b32 s7, 0
.LBB23_1030:
	s_andn2_b32 vcc_lo, exec_lo, s7
	s_cbranch_vccnz .LBB23_1032
; %bb.1031:
	s_waitcnt vmcnt(0)
	v_cvt_i16_f16_e32 v2, v3
	global_store_short v[0:1], v2, off
.LBB23_1032:
	s_mov_b32 s7, 0
.LBB23_1033:
	s_andn2_b32 vcc_lo, exec_lo, s7
	s_cbranch_vccnz .LBB23_1038
; %bb.1034:
	s_sext_i32_i16 s7, s17
	s_cmp_gt_i32 s7, 0
	s_mov_b32 s7, -1
	s_cbranch_scc0 .LBB23_1036
; %bb.1035:
	s_waitcnt vmcnt(0)
	v_cvt_i16_f16_e32 v2, v3
	s_mov_b32 s7, 0
	global_store_byte v[0:1], v2, off
.LBB23_1036:
	s_andn2_b32 vcc_lo, exec_lo, s7
	s_cbranch_vccnz .LBB23_1038
; %bb.1037:
	s_waitcnt vmcnt(0)
	v_cvt_f32_f16_e32 v2, v3
	v_cvt_i32_f32_e32 v2, v2
	global_store_byte v[0:1], v2, off
.LBB23_1038:
	s_or_b32 exec_lo, exec_lo, s0
	s_and_b32 s7, s16, exec_lo
                                        ; implicit-def: $vgpr2
.LBB23_1039:
	s_or_saveexec_b32 s6, s6
	s_mov_b32 s0, 0
                                        ; implicit-def: $sgpr16
                                        ; implicit-def: $vgpr0_vgpr1
                                        ; implicit-def: $vgpr3
	s_xor_b32 exec_lo, exec_lo, s6
	s_cbranch_execz .LBB23_1999
; %bb.1040:
	s_waitcnt vmcnt(0)
	v_mul_lo_u32 v4, s3, v2
	s_and_b32 s0, 0xffff, s5
	s_cmp_lt_i32 s0, 11
	v_ashrrev_i32_e32 v1, 31, v4
	v_add_co_u32 v0, vcc_lo, s10, v4
	v_add_co_ci_u32_e64 v1, null, s11, v1, vcc_lo
	s_cbranch_scc1 .LBB23_1047
; %bb.1041:
	s_cmp_gt_i32 s0, 25
	s_mov_b32 s5, 0
	s_cbranch_scc0 .LBB23_1049
; %bb.1042:
	s_cmp_gt_i32 s0, 28
	s_cbranch_scc0 .LBB23_1050
; %bb.1043:
	s_cmp_gt_i32 s0, 43
	;; [unrolled: 3-line block ×3, first 2 shown]
	s_cbranch_scc0 .LBB23_1052
; %bb.1045:
	s_cmp_eq_u32 s0, 46
	s_mov_b32 s17, 0
	s_cbranch_scc0 .LBB23_1055
; %bb.1046:
	global_load_dword v3, v[0:1], off
	s_mov_b32 s16, -1
	s_waitcnt vmcnt(0)
	v_lshlrev_b32_e32 v3, 16, v3
	v_cvt_f16_f32_e32 v3, v3
	s_branch .LBB23_1057
.LBB23_1047:
	s_mov_b32 s16, 0
	s_mov_b32 s4, s7
                                        ; implicit-def: $vgpr3
	s_cbranch_execnz .LBB23_1120
.LBB23_1048:
	s_andn2_b32 vcc_lo, exec_lo, s16
	s_cbranch_vccz .LBB23_1165
	s_branch .LBB23_1997
.LBB23_1049:
	s_mov_b32 s16, 0
                                        ; implicit-def: $vgpr3
	s_cbranch_execnz .LBB23_1085
	s_branch .LBB23_1116
.LBB23_1050:
	s_mov_b32 s17, -1
	s_mov_b32 s16, 0
                                        ; implicit-def: $vgpr3
	s_branch .LBB23_1066
.LBB23_1051:
	s_mov_b32 s16, 0
                                        ; implicit-def: $vgpr3
	s_cbranch_execnz .LBB23_1062
	s_branch .LBB23_1065
.LBB23_1052:
	s_mov_b32 s17, -1
	s_branch .LBB23_1056
.LBB23_1053:
	s_andn2_saveexec_b32 s22, s22
	s_cbranch_execz .LBB23_952
.LBB23_1054:
	v_add_f32_e64 v4, 0x46000000, |v2|
	s_andn2_b32 s21, s21, exec_lo
	v_and_b32_e32 v4, 0xff, v4
	v_cmp_ne_u32_e32 vcc_lo, 0, v4
	s_and_b32 s23, vcc_lo, exec_lo
	s_or_b32 s21, s21, s23
	s_or_b32 exec_lo, exec_lo, s22
	v_mov_b32_e32 v5, 0
	s_and_saveexec_b32 s22, s21
	s_cbranch_execnz .LBB23_953
	s_branch .LBB23_954
.LBB23_1055:
	s_mov_b32 s4, -1
.LBB23_1056:
	s_mov_b32 s16, 0
                                        ; implicit-def: $vgpr3
.LBB23_1057:
	s_and_b32 vcc_lo, exec_lo, s17
	s_cbranch_vccz .LBB23_1060
; %bb.1058:
	s_cmp_eq_u32 s0, 44
	s_cbranch_scc0 .LBB23_1061
; %bb.1059:
	global_load_ubyte v3, v[0:1], off
	s_mov_b32 s4, 0
	s_mov_b32 s16, -1
	s_waitcnt vmcnt(0)
	v_lshlrev_b32_e32 v5, 23, v3
	v_cmp_ne_u32_e32 vcc_lo, 0xff, v3
	v_cvt_f16_f32_e32 v5, v5
	v_cndmask_b32_e32 v5, 0x7e00, v5, vcc_lo
	v_cmp_ne_u32_e32 vcc_lo, 0, v3
	v_cndmask_b32_e32 v3, 0, v5, vcc_lo
.LBB23_1060:
	s_branch .LBB23_1065
.LBB23_1061:
	s_mov_b32 s4, -1
                                        ; implicit-def: $vgpr3
	s_branch .LBB23_1065
.LBB23_1062:
	s_cmp_eq_u32 s0, 29
	s_cbranch_scc0 .LBB23_1064
; %bb.1063:
	global_load_dwordx2 v[5:6], v[0:1], off
	s_mov_b32 s4, 0
	s_mov_b32 s16, -1
	s_mov_b32 s17, 0
	s_waitcnt vmcnt(0)
	v_ffbh_u32_e32 v3, v6
	v_min_u32_e32 v3, 32, v3
	v_lshlrev_b64 v[5:6], v3, v[5:6]
	v_sub_nc_u32_e32 v3, 32, v3
	v_min_u32_e32 v5, 1, v5
	v_or_b32_e32 v5, v6, v5
	v_cvt_f32_u32_e32 v5, v5
	v_ldexp_f32 v3, v5, v3
	v_cvt_f16_f32_e32 v3, v3
	s_branch .LBB23_1066
.LBB23_1064:
	s_mov_b32 s4, -1
                                        ; implicit-def: $vgpr3
.LBB23_1065:
	s_mov_b32 s17, 0
.LBB23_1066:
	s_and_b32 vcc_lo, exec_lo, s17
	s_cbranch_vccz .LBB23_1084
; %bb.1067:
	s_cmp_lt_i32 s0, 27
	s_cbranch_scc1 .LBB23_1070
; %bb.1068:
	s_cmp_gt_i32 s0, 27
	s_cbranch_scc0 .LBB23_1071
; %bb.1069:
	global_load_dword v3, v[0:1], off
	s_mov_b32 s16, 0
	s_waitcnt vmcnt(0)
	v_cvt_f32_u32_e32 v3, v3
	v_cvt_f16_f32_e32 v3, v3
	s_branch .LBB23_1072
.LBB23_1070:
	s_mov_b32 s16, -1
                                        ; implicit-def: $vgpr3
	s_branch .LBB23_1075
.LBB23_1071:
	s_mov_b32 s16, -1
                                        ; implicit-def: $vgpr3
.LBB23_1072:
	s_andn2_b32 vcc_lo, exec_lo, s16
	s_cbranch_vccnz .LBB23_1074
; %bb.1073:
	global_load_ushort v3, v[0:1], off
	s_waitcnt vmcnt(0)
	v_cvt_f16_u16_e32 v3, v3
.LBB23_1074:
	s_mov_b32 s16, 0
.LBB23_1075:
	s_andn2_b32 vcc_lo, exec_lo, s16
	s_cbranch_vccnz .LBB23_1083
; %bb.1076:
	global_load_ubyte v5, v[0:1], off
	s_mov_b32 s16, 0
	s_mov_b32 s17, exec_lo
	s_waitcnt vmcnt(0)
	v_cmpx_lt_i16_e32 0x7f, v5
	s_xor_b32 s17, exec_lo, s17
	s_cbranch_execz .LBB23_1096
; %bb.1077:
	s_mov_b32 s16, -1
	s_mov_b32 s18, exec_lo
	v_cmpx_eq_u16_e32 0x80, v5
; %bb.1078:
	s_xor_b32 s16, exec_lo, -1
; %bb.1079:
	s_or_b32 exec_lo, exec_lo, s18
	s_and_b32 s16, s16, exec_lo
	s_or_saveexec_b32 s17, s17
	v_mov_b32_e32 v3, 0x7e00
	s_xor_b32 exec_lo, exec_lo, s17
	s_cbranch_execnz .LBB23_1097
.LBB23_1080:
	s_or_b32 exec_lo, exec_lo, s17
	s_and_saveexec_b32 s17, s16
	s_cbranch_execz .LBB23_1082
.LBB23_1081:
	v_and_b32_e32 v3, 0xffff, v5
	v_lshlrev_b32_e32 v5, 24, v5
	v_and_b32_e32 v6, 7, v3
	v_bfe_u32 v9, v3, 3, 4
	v_and_b32_e32 v5, 0x80000000, v5
	v_ffbh_u32_e32 v7, v6
	v_cmp_eq_u32_e32 vcc_lo, 0, v9
	v_min_u32_e32 v7, 32, v7
	v_subrev_nc_u32_e32 v8, 28, v7
	v_sub_nc_u32_e32 v7, 29, v7
	v_lshlrev_b32_e32 v3, v8, v3
	v_cndmask_b32_e32 v7, v9, v7, vcc_lo
	v_and_b32_e32 v3, 7, v3
	v_cndmask_b32_e32 v3, v6, v3, vcc_lo
	v_lshl_add_u32 v6, v7, 23, 0x3b800000
	v_lshlrev_b32_e32 v3, 20, v3
	v_or3_b32 v3, v5, v6, v3
	v_cvt_f16_f32_e32 v3, v3
.LBB23_1082:
	s_or_b32 exec_lo, exec_lo, s17
.LBB23_1083:
	s_mov_b32 s16, -1
.LBB23_1084:
	s_branch .LBB23_1116
.LBB23_1085:
	s_cmp_gt_i32 s0, 22
	s_cbranch_scc0 .LBB23_1095
; %bb.1086:
	s_cmp_lt_i32 s0, 24
	s_cbranch_scc1 .LBB23_1098
; %bb.1087:
	s_cmp_gt_i32 s0, 24
	s_cbranch_scc0 .LBB23_1099
; %bb.1088:
	global_load_ubyte v5, v[0:1], off
	s_mov_b32 s16, exec_lo
	s_waitcnt vmcnt(0)
	v_cmpx_lt_i16_e32 0x7f, v5
	s_xor_b32 s16, exec_lo, s16
	s_cbranch_execz .LBB23_1110
; %bb.1089:
	s_mov_b32 s5, -1
	s_mov_b32 s17, exec_lo
	v_cmpx_eq_u16_e32 0x80, v5
; %bb.1090:
	s_xor_b32 s5, exec_lo, -1
; %bb.1091:
	s_or_b32 exec_lo, exec_lo, s17
	s_and_b32 s5, s5, exec_lo
	s_or_saveexec_b32 s16, s16
	v_mov_b32_e32 v3, 0x7e00
	s_xor_b32 exec_lo, exec_lo, s16
	s_cbranch_execnz .LBB23_1111
.LBB23_1092:
	s_or_b32 exec_lo, exec_lo, s16
	s_and_saveexec_b32 s16, s5
	s_cbranch_execz .LBB23_1094
.LBB23_1093:
	v_and_b32_e32 v3, 0xffff, v5
	v_lshlrev_b32_e32 v5, 24, v5
	v_and_b32_e32 v6, 3, v3
	v_bfe_u32 v9, v3, 2, 5
	v_and_b32_e32 v5, 0x80000000, v5
	v_ffbh_u32_e32 v7, v6
	v_cmp_eq_u32_e32 vcc_lo, 0, v9
	v_min_u32_e32 v7, 32, v7
	v_subrev_nc_u32_e32 v8, 29, v7
	v_sub_nc_u32_e32 v7, 30, v7
	v_lshlrev_b32_e32 v3, v8, v3
	v_cndmask_b32_e32 v7, v9, v7, vcc_lo
	v_and_b32_e32 v3, 3, v3
	v_cndmask_b32_e32 v3, v6, v3, vcc_lo
	v_lshl_add_u32 v6, v7, 23, 0x37800000
	v_lshlrev_b32_e32 v3, 21, v3
	v_or3_b32 v3, v5, v6, v3
	v_cvt_f16_f32_e32 v3, v3
.LBB23_1094:
	s_or_b32 exec_lo, exec_lo, s16
	s_mov_b32 s5, 0
	s_branch .LBB23_1100
.LBB23_1095:
                                        ; implicit-def: $vgpr3
	s_mov_b32 s5, 0
	s_branch .LBB23_1106
.LBB23_1096:
	s_or_saveexec_b32 s17, s17
	v_mov_b32_e32 v3, 0x7e00
	s_xor_b32 exec_lo, exec_lo, s17
	s_cbranch_execz .LBB23_1080
.LBB23_1097:
	v_cmp_ne_u16_e32 vcc_lo, 0, v5
	v_mov_b32_e32 v3, v5
	s_andn2_b32 s16, s16, exec_lo
	s_and_b32 s18, vcc_lo, exec_lo
	s_or_b32 s16, s16, s18
	s_or_b32 exec_lo, exec_lo, s17
	s_and_saveexec_b32 s17, s16
	s_cbranch_execnz .LBB23_1081
	s_branch .LBB23_1082
.LBB23_1098:
	s_mov_b32 s5, -1
                                        ; implicit-def: $vgpr3
	s_branch .LBB23_1103
.LBB23_1099:
	s_mov_b32 s5, -1
                                        ; implicit-def: $vgpr3
.LBB23_1100:
	s_and_b32 vcc_lo, exec_lo, s5
	s_cbranch_vccz .LBB23_1102
; %bb.1101:
	global_load_ubyte v3, v[0:1], off
	s_waitcnt vmcnt(0)
	v_lshlrev_b32_e32 v3, 24, v3
	v_and_b32_e32 v5, 0x7f000000, v3
	v_ffbh_u32_e32 v6, v5
	v_add_nc_u32_e32 v8, 0x1000000, v5
	v_cmp_ne_u32_e32 vcc_lo, 0, v5
	v_min_u32_e32 v6, 32, v6
	v_sub_nc_u32_e64 v6, v6, 4 clamp
	v_lshlrev_b32_e32 v7, v6, v5
	v_lshlrev_b32_e32 v6, 23, v6
	v_lshrrev_b32_e32 v7, 4, v7
	v_sub_nc_u32_e32 v6, v7, v6
	v_ashrrev_i32_e32 v7, 8, v8
	v_add_nc_u32_e32 v6, 0x3c000000, v6
	v_and_or_b32 v6, 0x7f800000, v7, v6
	v_cndmask_b32_e32 v5, 0, v6, vcc_lo
	v_and_or_b32 v3, 0x80000000, v3, v5
	v_cvt_f16_f32_e32 v3, v3
.LBB23_1102:
	s_mov_b32 s5, 0
.LBB23_1103:
	s_andn2_b32 vcc_lo, exec_lo, s5
	s_cbranch_vccnz .LBB23_1105
; %bb.1104:
	global_load_ubyte v3, v[0:1], off
	s_waitcnt vmcnt(0)
	v_lshlrev_b32_e32 v5, 25, v3
	v_lshlrev_b16 v3, 8, v3
	v_lshrrev_b32_e32 v6, 4, v5
	v_and_or_b32 v7, 0x7f00, v3, 0.5
	v_cmp_gt_u32_e32 vcc_lo, 0x8000000, v5
	v_bfe_i32 v3, v3, 0, 16
	v_or_b32_e32 v6, 0x70000000, v6
	v_add_f32_e32 v7, -0.5, v7
	v_mul_f32_e32 v6, 0x7800000, v6
	v_cndmask_b32_e32 v5, v6, v7, vcc_lo
	v_and_or_b32 v3, 0x80000000, v3, v5
	v_cvt_f16_f32_e32 v3, v3
.LBB23_1105:
	s_mov_b32 s16, -1
	s_mov_b32 s5, 0
	s_cbranch_execnz .LBB23_1116
.LBB23_1106:
	s_cmp_gt_i32 s0, 14
	s_cbranch_scc0 .LBB23_1109
; %bb.1107:
	s_cmp_eq_u32 s0, 15
	s_cbranch_scc0 .LBB23_1112
; %bb.1108:
	global_load_ushort v3, v[0:1], off
	s_mov_b32 s4, 0
	s_mov_b32 s16, -1
	s_waitcnt vmcnt(0)
	v_lshlrev_b32_e32 v3, 16, v3
	v_cvt_f16_f32_e32 v3, v3
	s_branch .LBB23_1114
.LBB23_1109:
	s_mov_b32 s5, -1
	s_branch .LBB23_1113
.LBB23_1110:
	s_or_saveexec_b32 s16, s16
	v_mov_b32_e32 v3, 0x7e00
	s_xor_b32 exec_lo, exec_lo, s16
	s_cbranch_execz .LBB23_1092
.LBB23_1111:
	v_cmp_ne_u16_e32 vcc_lo, 0, v5
	v_mov_b32_e32 v3, v5
	s_andn2_b32 s5, s5, exec_lo
	s_and_b32 s17, vcc_lo, exec_lo
	s_or_b32 s5, s5, s17
	s_or_b32 exec_lo, exec_lo, s16
	s_and_saveexec_b32 s16, s5
	s_cbranch_execnz .LBB23_1093
	s_branch .LBB23_1094
.LBB23_1112:
	s_mov_b32 s4, -1
.LBB23_1113:
                                        ; implicit-def: $vgpr3
.LBB23_1114:
	s_and_b32 vcc_lo, exec_lo, s5
	s_mov_b32 s5, 0
	s_cbranch_vccz .LBB23_1116
; %bb.1115:
	s_cmp_lg_u32 s0, 11
	s_mov_b32 s5, -1
	s_cselect_b32 s4, -1, 0
.LBB23_1116:
	s_and_b32 vcc_lo, exec_lo, s4
	s_mov_b32 s4, s7
	s_cbranch_vccnz .LBB23_1179
; %bb.1117:
	s_andn2_b32 vcc_lo, exec_lo, s5
	s_cbranch_vccnz .LBB23_1119
.LBB23_1118:
	global_load_ubyte v3, v[0:1], off
	s_mov_b32 s16, -1
	s_waitcnt vmcnt(0)
	v_cmp_ne_u16_e32 vcc_lo, 0, v3
	v_cndmask_b32_e64 v3, 0, 0x3c00, vcc_lo
.LBB23_1119:
	s_branch .LBB23_1048
.LBB23_1120:
	s_cmp_lt_i32 s0, 5
	s_cbranch_scc1 .LBB23_1125
; %bb.1121:
	s_cmp_lt_i32 s0, 8
	s_cbranch_scc1 .LBB23_1126
; %bb.1122:
	;; [unrolled: 3-line block ×3, first 2 shown]
	s_cmp_gt_i32 s0, 9
	s_cbranch_scc0 .LBB23_1128
; %bb.1124:
	global_load_dwordx2 v[5:6], v[0:1], off
	s_mov_b32 s5, 0
	s_waitcnt vmcnt(0)
	v_and_or_b32 v3, 0x1ff, v6, v5
	v_lshrrev_b32_e32 v5, 8, v6
	v_bfe_u32 v7, v6, 20, 11
	v_cmp_ne_u32_e32 vcc_lo, 0, v3
	v_sub_nc_u32_e32 v8, 0x3f1, v7
	v_add_nc_u32_e32 v7, 0xfffffc10, v7
	v_cndmask_b32_e64 v3, 0, 1, vcc_lo
	v_and_or_b32 v3, 0xffe, v5, v3
	v_med3_i32 v5, v8, 0, 13
	v_or_b32_e32 v8, 0x1000, v3
	v_lshrrev_b32_e32 v9, v5, v8
	v_lshlrev_b32_e32 v5, v5, v9
	v_cmp_ne_u32_e32 vcc_lo, v5, v8
	v_lshl_or_b32 v8, v7, 12, v3
	v_cndmask_b32_e64 v5, 0, 1, vcc_lo
	v_cmp_gt_i32_e32 vcc_lo, 1, v7
	v_or_b32_e32 v5, v9, v5
	v_cndmask_b32_e32 v5, v8, v5, vcc_lo
	v_and_b32_e32 v8, 7, v5
	v_lshrrev_b32_e32 v5, 2, v5
	v_cmp_lt_i32_e32 vcc_lo, 5, v8
	v_cndmask_b32_e64 v9, 0, 1, vcc_lo
	v_cmp_eq_u32_e32 vcc_lo, 3, v8
	v_cndmask_b32_e64 v8, 0, 1, vcc_lo
	v_cmp_ne_u32_e32 vcc_lo, 0, v3
	v_or_b32_e32 v8, v8, v9
	v_mov_b32_e32 v9, 0x7e00
	v_add_nc_u32_e32 v5, v5, v8
	v_cndmask_b32_e32 v3, 0x7c00, v9, vcc_lo
	v_cmp_gt_i32_e32 vcc_lo, 31, v7
	v_cndmask_b32_e32 v5, 0x7c00, v5, vcc_lo
	v_cmp_eq_u32_e32 vcc_lo, 0x40f, v7
	v_cndmask_b32_e32 v3, v5, v3, vcc_lo
	v_lshrrev_b32_e32 v5, 16, v6
	v_and_or_b32 v3, 0x8000, v5, v3
	s_branch .LBB23_1129
.LBB23_1125:
                                        ; implicit-def: $vgpr3
	s_branch .LBB23_1146
.LBB23_1126:
                                        ; implicit-def: $vgpr3
	s_branch .LBB23_1135
.LBB23_1127:
	s_mov_b32 s5, -1
                                        ; implicit-def: $vgpr3
	s_branch .LBB23_1132
.LBB23_1128:
	s_mov_b32 s5, -1
                                        ; implicit-def: $vgpr3
.LBB23_1129:
	s_andn2_b32 vcc_lo, exec_lo, s5
	s_cbranch_vccnz .LBB23_1131
; %bb.1130:
	global_load_dword v3, v[0:1], off
	s_waitcnt vmcnt(0)
	v_cvt_f16_f32_e32 v3, v3
.LBB23_1131:
	s_mov_b32 s5, 0
.LBB23_1132:
	s_andn2_b32 vcc_lo, exec_lo, s5
	s_cbranch_vccnz .LBB23_1134
; %bb.1133:
	global_load_dword v3, v[0:1], off
.LBB23_1134:
	s_cbranch_execnz .LBB23_1145
.LBB23_1135:
	s_cmp_lt_i32 s0, 6
	s_cbranch_scc1 .LBB23_1138
; %bb.1136:
	s_cmp_gt_i32 s0, 6
	s_cbranch_scc0 .LBB23_1139
; %bb.1137:
	global_load_dwordx2 v[5:6], v[0:1], off
	s_mov_b32 s5, 0
	s_waitcnt vmcnt(0)
	v_and_or_b32 v3, 0x1ff, v6, v5
	v_lshrrev_b32_e32 v5, 8, v6
	v_bfe_u32 v7, v6, 20, 11
	v_cmp_ne_u32_e32 vcc_lo, 0, v3
	v_sub_nc_u32_e32 v8, 0x3f1, v7
	v_add_nc_u32_e32 v7, 0xfffffc10, v7
	v_cndmask_b32_e64 v3, 0, 1, vcc_lo
	v_and_or_b32 v3, 0xffe, v5, v3
	v_med3_i32 v5, v8, 0, 13
	v_or_b32_e32 v8, 0x1000, v3
	v_lshrrev_b32_e32 v9, v5, v8
	v_lshlrev_b32_e32 v5, v5, v9
	v_cmp_ne_u32_e32 vcc_lo, v5, v8
	v_lshl_or_b32 v8, v7, 12, v3
	v_cndmask_b32_e64 v5, 0, 1, vcc_lo
	v_cmp_gt_i32_e32 vcc_lo, 1, v7
	v_or_b32_e32 v5, v9, v5
	v_cndmask_b32_e32 v5, v8, v5, vcc_lo
	v_and_b32_e32 v8, 7, v5
	v_lshrrev_b32_e32 v5, 2, v5
	v_cmp_lt_i32_e32 vcc_lo, 5, v8
	v_cndmask_b32_e64 v9, 0, 1, vcc_lo
	v_cmp_eq_u32_e32 vcc_lo, 3, v8
	v_cndmask_b32_e64 v8, 0, 1, vcc_lo
	v_cmp_ne_u32_e32 vcc_lo, 0, v3
	v_or_b32_e32 v8, v8, v9
	v_mov_b32_e32 v9, 0x7e00
	v_add_nc_u32_e32 v5, v5, v8
	v_cndmask_b32_e32 v3, 0x7c00, v9, vcc_lo
	v_cmp_gt_i32_e32 vcc_lo, 31, v7
	v_cndmask_b32_e32 v5, 0x7c00, v5, vcc_lo
	v_cmp_eq_u32_e32 vcc_lo, 0x40f, v7
	v_cndmask_b32_e32 v3, v5, v3, vcc_lo
	v_lshrrev_b32_e32 v5, 16, v6
	v_and_or_b32 v3, 0x8000, v5, v3
	s_branch .LBB23_1140
.LBB23_1138:
	s_mov_b32 s5, -1
                                        ; implicit-def: $vgpr3
	s_branch .LBB23_1143
.LBB23_1139:
	s_mov_b32 s5, -1
                                        ; implicit-def: $vgpr3
.LBB23_1140:
	s_andn2_b32 vcc_lo, exec_lo, s5
	s_cbranch_vccnz .LBB23_1142
; %bb.1141:
	global_load_dword v3, v[0:1], off
	s_waitcnt vmcnt(0)
	v_cvt_f16_f32_e32 v3, v3
.LBB23_1142:
	s_mov_b32 s5, 0
.LBB23_1143:
	s_andn2_b32 vcc_lo, exec_lo, s5
	s_cbranch_vccnz .LBB23_1145
; %bb.1144:
	global_load_ushort v3, v[0:1], off
.LBB23_1145:
	s_cbranch_execnz .LBB23_1164
.LBB23_1146:
	s_cmp_lt_i32 s0, 2
	s_cbranch_scc1 .LBB23_1150
; %bb.1147:
	s_cmp_lt_i32 s0, 3
	s_cbranch_scc1 .LBB23_1151
; %bb.1148:
	s_cmp_gt_i32 s0, 3
	s_cbranch_scc0 .LBB23_1152
; %bb.1149:
	global_load_dwordx2 v[5:6], v[0:1], off
	s_mov_b32 s5, 0
	s_waitcnt vmcnt(0)
	v_xor_b32_e32 v3, v5, v6
	v_ffbh_i32_e32 v7, v6
	v_ashrrev_i32_e32 v3, 31, v3
	v_add_nc_u32_e32 v7, -1, v7
	v_add_nc_u32_e32 v3, 32, v3
	v_min_u32_e32 v3, v7, v3
	v_lshlrev_b64 v[5:6], v3, v[5:6]
	v_sub_nc_u32_e32 v3, 32, v3
	v_min_u32_e32 v5, 1, v5
	v_or_b32_e32 v5, v6, v5
	v_cvt_f32_i32_e32 v5, v5
	v_ldexp_f32 v3, v5, v3
	v_cvt_f16_f32_e32 v3, v3
	s_branch .LBB23_1153
.LBB23_1150:
                                        ; implicit-def: $vgpr3
	s_branch .LBB23_1159
.LBB23_1151:
	s_mov_b32 s5, -1
                                        ; implicit-def: $vgpr3
	s_branch .LBB23_1156
.LBB23_1152:
	s_mov_b32 s5, -1
                                        ; implicit-def: $vgpr3
.LBB23_1153:
	s_andn2_b32 vcc_lo, exec_lo, s5
	s_cbranch_vccnz .LBB23_1155
; %bb.1154:
	global_load_dword v3, v[0:1], off
	s_waitcnt vmcnt(0)
	v_cvt_f32_i32_e32 v3, v3
	v_cvt_f16_f32_e32 v3, v3
.LBB23_1155:
	s_mov_b32 s5, 0
.LBB23_1156:
	s_andn2_b32 vcc_lo, exec_lo, s5
	s_cbranch_vccnz .LBB23_1158
; %bb.1157:
	global_load_ushort v3, v[0:1], off
	s_waitcnt vmcnt(0)
	v_cvt_f16_i16_e32 v3, v3
.LBB23_1158:
	s_cbranch_execnz .LBB23_1164
.LBB23_1159:
	s_cmp_gt_i32 s0, 0
	s_mov_b32 s5, 0
	s_cbranch_scc0 .LBB23_1161
; %bb.1160:
	global_load_sbyte v3, v[0:1], off
	s_waitcnt vmcnt(0)
	v_cvt_f16_i16_e32 v3, v3
	s_branch .LBB23_1162
.LBB23_1161:
	s_mov_b32 s5, -1
                                        ; implicit-def: $vgpr3
.LBB23_1162:
	s_andn2_b32 vcc_lo, exec_lo, s5
	s_cbranch_vccnz .LBB23_1164
; %bb.1163:
	global_load_ubyte v0, v[0:1], off
	s_waitcnt vmcnt(0)
	v_cvt_f16_u16_e32 v3, v0
.LBB23_1164:
.LBB23_1165:
	s_waitcnt vmcnt(0)
	v_cvt_f32_f16_e32 v7, v3
	s_mov_b32 s5, exec_lo
	v_cmpx_nlg_f32_e64 0x7f800000, |v7|
	s_cbranch_execz .LBB23_1167
; %bb.1166:
	v_mov_b32_e32 v0, 0
	v_mov_b32_e32 v1, 1.0
	global_store_dword v0, v1, s[12:13]
.LBB23_1167:
	s_or_b32 exec_lo, exec_lo, s5
	v_mov_b32_e32 v0, 0
	s_lshl_b32 s3, s3, 7
	s_cmp_lt_i32 s0, 11
	v_add_nc_u32_e32 v5, s3, v4
	global_load_dword v8, v0, s[14:15]
	v_ashrrev_i32_e32 v1, 31, v5
	v_add_co_u32 v0, vcc_lo, s10, v5
	v_add_co_ci_u32_e64 v1, null, s11, v1, vcc_lo
	s_cbranch_scc1 .LBB23_1174
; %bb.1168:
	s_cmp_gt_i32 s0, 25
	s_mov_b32 s16, 0
	s_cbranch_scc0 .LBB23_1176
; %bb.1169:
	s_cmp_gt_i32 s0, 28
	s_cbranch_scc0 .LBB23_1177
; %bb.1170:
	s_cmp_gt_i32 s0, 43
	;; [unrolled: 3-line block ×3, first 2 shown]
	s_cbranch_scc0 .LBB23_1180
; %bb.1172:
	s_cmp_eq_u32 s0, 46
	s_mov_b32 s18, 0
	s_cbranch_scc0 .LBB23_1183
; %bb.1173:
	global_load_dword v4, v[0:1], off
	s_mov_b32 s5, 0
	s_mov_b32 s17, -1
	s_waitcnt vmcnt(0)
	v_lshlrev_b32_e32 v4, 16, v4
	v_cvt_f16_f32_e32 v4, v4
	s_branch .LBB23_1185
.LBB23_1174:
	s_mov_b32 s17, 0
                                        ; implicit-def: $vgpr4
	s_cbranch_execnz .LBB23_1250
.LBB23_1175:
	s_andn2_b32 vcc_lo, exec_lo, s17
	s_cbranch_vccnz .LBB23_1997
	s_branch .LBB23_1297
.LBB23_1176:
	s_mov_b32 s17, 0
	s_mov_b32 s5, 0
                                        ; implicit-def: $vgpr4
	s_cbranch_execnz .LBB23_1214
	s_branch .LBB23_1246
.LBB23_1177:
	s_mov_b32 s18, -1
	s_mov_b32 s17, 0
	s_mov_b32 s5, 0
                                        ; implicit-def: $vgpr4
	s_branch .LBB23_1195
.LBB23_1178:
	s_mov_b32 s18, -1
	s_mov_b32 s17, 0
	s_mov_b32 s5, 0
                                        ; implicit-def: $vgpr4
	s_branch .LBB23_1190
.LBB23_1179:
	s_or_b32 s4, s7, exec_lo
	s_trap 2
	s_cbranch_execz .LBB23_1118
	s_branch .LBB23_1119
.LBB23_1180:
	s_mov_b32 s18, -1
	s_mov_b32 s17, 0
	s_mov_b32 s5, 0
	s_branch .LBB23_1184
.LBB23_1181:
	s_andn2_saveexec_b32 s23, s23
	s_cbranch_execz .LBB23_964
.LBB23_1182:
	v_add_f32_e64 v4, 0x42800000, |v2|
	s_andn2_b32 s22, s22, exec_lo
	v_and_b32_e32 v4, 0xff, v4
	v_cmp_ne_u32_e32 vcc_lo, 0, v4
	s_and_b32 s24, vcc_lo, exec_lo
	s_or_b32 s22, s22, s24
	s_or_b32 exec_lo, exec_lo, s23
	v_mov_b32_e32 v5, 0
	s_and_saveexec_b32 s23, s22
	s_cbranch_execnz .LBB23_965
	s_branch .LBB23_966
.LBB23_1183:
	s_mov_b32 s5, -1
	s_mov_b32 s17, 0
.LBB23_1184:
                                        ; implicit-def: $vgpr4
.LBB23_1185:
	s_and_b32 vcc_lo, exec_lo, s18
	s_cbranch_vccz .LBB23_1189
; %bb.1186:
	s_cmp_eq_u32 s0, 44
	s_cbranch_scc0 .LBB23_1188
; %bb.1187:
	global_load_ubyte v4, v[0:1], off
	s_mov_b32 s5, 0
	s_mov_b32 s17, -1
	s_waitcnt vmcnt(0)
	v_lshlrev_b32_e32 v6, 23, v4
	v_cmp_ne_u32_e32 vcc_lo, 0xff, v4
	v_cvt_f16_f32_e32 v6, v6
	v_cndmask_b32_e32 v6, 0x7e00, v6, vcc_lo
	v_cmp_ne_u32_e32 vcc_lo, 0, v4
	v_cndmask_b32_e32 v4, 0, v6, vcc_lo
	s_branch .LBB23_1189
.LBB23_1188:
	s_mov_b32 s5, -1
                                        ; implicit-def: $vgpr4
.LBB23_1189:
	s_mov_b32 s18, 0
.LBB23_1190:
	s_and_b32 vcc_lo, exec_lo, s18
	s_cbranch_vccz .LBB23_1194
; %bb.1191:
	s_cmp_eq_u32 s0, 29
	s_cbranch_scc0 .LBB23_1193
; %bb.1192:
	global_load_dwordx2 v[9:10], v[0:1], off
	s_mov_b32 s5, 0
	s_mov_b32 s17, -1
	s_mov_b32 s18, 0
	s_waitcnt vmcnt(0)
	v_ffbh_u32_e32 v4, v10
	v_min_u32_e32 v4, 32, v4
	v_lshlrev_b64 v[9:10], v4, v[9:10]
	v_sub_nc_u32_e32 v4, 32, v4
	v_min_u32_e32 v6, 1, v9
	v_or_b32_e32 v6, v10, v6
	v_cvt_f32_u32_e32 v6, v6
	v_ldexp_f32 v4, v6, v4
	v_cvt_f16_f32_e32 v4, v4
	s_branch .LBB23_1195
.LBB23_1193:
	s_mov_b32 s5, -1
                                        ; implicit-def: $vgpr4
.LBB23_1194:
	s_mov_b32 s18, 0
.LBB23_1195:
	s_and_b32 vcc_lo, exec_lo, s18
	s_cbranch_vccz .LBB23_1213
; %bb.1196:
	s_cmp_lt_i32 s0, 27
	s_cbranch_scc1 .LBB23_1199
; %bb.1197:
	s_cmp_gt_i32 s0, 27
	s_cbranch_scc0 .LBB23_1200
; %bb.1198:
	global_load_dword v4, v[0:1], off
	s_mov_b32 s17, 0
	s_waitcnt vmcnt(0)
	v_cvt_f32_u32_e32 v4, v4
	v_cvt_f16_f32_e32 v4, v4
	s_branch .LBB23_1201
.LBB23_1199:
	s_mov_b32 s17, -1
                                        ; implicit-def: $vgpr4
	s_branch .LBB23_1204
.LBB23_1200:
	s_mov_b32 s17, -1
                                        ; implicit-def: $vgpr4
.LBB23_1201:
	s_andn2_b32 vcc_lo, exec_lo, s17
	s_cbranch_vccnz .LBB23_1203
; %bb.1202:
	global_load_ushort v4, v[0:1], off
	s_waitcnt vmcnt(0)
	v_cvt_f16_u16_e32 v4, v4
.LBB23_1203:
	s_mov_b32 s17, 0
.LBB23_1204:
	s_andn2_b32 vcc_lo, exec_lo, s17
	s_cbranch_vccnz .LBB23_1212
; %bb.1205:
	global_load_ubyte v6, v[0:1], off
	s_mov_b32 s17, 0
	s_mov_b32 s18, exec_lo
	s_waitcnt vmcnt(0)
	v_cmpx_lt_i16_e32 0x7f, v6
	s_xor_b32 s18, exec_lo, s18
	s_cbranch_execz .LBB23_1225
; %bb.1206:
	s_mov_b32 s17, -1
	s_mov_b32 s19, exec_lo
	v_cmpx_eq_u16_e32 0x80, v6
; %bb.1207:
	s_xor_b32 s17, exec_lo, -1
; %bb.1208:
	s_or_b32 exec_lo, exec_lo, s19
	s_and_b32 s17, s17, exec_lo
	s_or_saveexec_b32 s18, s18
	v_mov_b32_e32 v4, 0x7e00
	s_xor_b32 exec_lo, exec_lo, s18
	s_cbranch_execnz .LBB23_1226
.LBB23_1209:
	s_or_b32 exec_lo, exec_lo, s18
	s_and_saveexec_b32 s18, s17
	s_cbranch_execz .LBB23_1211
.LBB23_1210:
	v_and_b32_e32 v4, 0xffff, v6
	v_lshlrev_b32_e32 v6, 24, v6
	v_and_b32_e32 v9, 7, v4
	v_bfe_u32 v12, v4, 3, 4
	v_and_b32_e32 v6, 0x80000000, v6
	v_ffbh_u32_e32 v10, v9
	v_cmp_eq_u32_e32 vcc_lo, 0, v12
	v_min_u32_e32 v10, 32, v10
	v_subrev_nc_u32_e32 v11, 28, v10
	v_sub_nc_u32_e32 v10, 29, v10
	v_lshlrev_b32_e32 v4, v11, v4
	v_cndmask_b32_e32 v10, v12, v10, vcc_lo
	v_and_b32_e32 v4, 7, v4
	v_cndmask_b32_e32 v4, v9, v4, vcc_lo
	v_lshl_add_u32 v9, v10, 23, 0x3b800000
	v_lshlrev_b32_e32 v4, 20, v4
	v_or3_b32 v4, v6, v9, v4
	v_cvt_f16_f32_e32 v4, v4
.LBB23_1211:
	s_or_b32 exec_lo, exec_lo, s18
.LBB23_1212:
	s_mov_b32 s17, -1
.LBB23_1213:
	s_branch .LBB23_1246
.LBB23_1214:
	s_cmp_gt_i32 s0, 22
	s_cbranch_scc0 .LBB23_1224
; %bb.1215:
	s_cmp_lt_i32 s0, 24
	s_cbranch_scc1 .LBB23_1227
; %bb.1216:
	s_cmp_gt_i32 s0, 24
	s_cbranch_scc0 .LBB23_1228
; %bb.1217:
	global_load_ubyte v6, v[0:1], off
	s_mov_b32 s17, exec_lo
	s_waitcnt vmcnt(0)
	v_cmpx_lt_i16_e32 0x7f, v6
	s_xor_b32 s17, exec_lo, s17
	s_cbranch_execz .LBB23_1240
; %bb.1218:
	s_mov_b32 s16, -1
	s_mov_b32 s18, exec_lo
	v_cmpx_eq_u16_e32 0x80, v6
; %bb.1219:
	s_xor_b32 s16, exec_lo, -1
; %bb.1220:
	s_or_b32 exec_lo, exec_lo, s18
	s_and_b32 s16, s16, exec_lo
	s_or_saveexec_b32 s17, s17
	v_mov_b32_e32 v4, 0x7e00
	s_xor_b32 exec_lo, exec_lo, s17
	s_cbranch_execnz .LBB23_1241
.LBB23_1221:
	s_or_b32 exec_lo, exec_lo, s17
	s_and_saveexec_b32 s17, s16
	s_cbranch_execz .LBB23_1223
.LBB23_1222:
	v_and_b32_e32 v4, 0xffff, v6
	v_lshlrev_b32_e32 v6, 24, v6
	v_and_b32_e32 v9, 3, v4
	v_bfe_u32 v12, v4, 2, 5
	v_and_b32_e32 v6, 0x80000000, v6
	v_ffbh_u32_e32 v10, v9
	v_cmp_eq_u32_e32 vcc_lo, 0, v12
	v_min_u32_e32 v10, 32, v10
	v_subrev_nc_u32_e32 v11, 29, v10
	v_sub_nc_u32_e32 v10, 30, v10
	v_lshlrev_b32_e32 v4, v11, v4
	v_cndmask_b32_e32 v10, v12, v10, vcc_lo
	v_and_b32_e32 v4, 3, v4
	v_cndmask_b32_e32 v4, v9, v4, vcc_lo
	v_lshl_add_u32 v9, v10, 23, 0x37800000
	v_lshlrev_b32_e32 v4, 21, v4
	v_or3_b32 v4, v6, v9, v4
	v_cvt_f16_f32_e32 v4, v4
.LBB23_1223:
	s_or_b32 exec_lo, exec_lo, s17
	s_mov_b32 s16, 0
	s_branch .LBB23_1229
.LBB23_1224:
	s_mov_b32 s16, -1
                                        ; implicit-def: $vgpr4
	s_branch .LBB23_1235
.LBB23_1225:
	s_or_saveexec_b32 s18, s18
	v_mov_b32_e32 v4, 0x7e00
	s_xor_b32 exec_lo, exec_lo, s18
	s_cbranch_execz .LBB23_1209
.LBB23_1226:
	v_cmp_ne_u16_e32 vcc_lo, 0, v6
	v_mov_b32_e32 v4, v6
	s_andn2_b32 s17, s17, exec_lo
	s_and_b32 s19, vcc_lo, exec_lo
	s_or_b32 s17, s17, s19
	s_or_b32 exec_lo, exec_lo, s18
	s_and_saveexec_b32 s18, s17
	s_cbranch_execnz .LBB23_1210
	s_branch .LBB23_1211
.LBB23_1227:
	s_mov_b32 s16, -1
                                        ; implicit-def: $vgpr4
	s_branch .LBB23_1232
.LBB23_1228:
	s_mov_b32 s16, -1
                                        ; implicit-def: $vgpr4
.LBB23_1229:
	s_and_b32 vcc_lo, exec_lo, s16
	s_cbranch_vccz .LBB23_1231
; %bb.1230:
	global_load_ubyte v4, v[0:1], off
	s_waitcnt vmcnt(0)
	v_lshlrev_b32_e32 v4, 24, v4
	v_and_b32_e32 v6, 0x7f000000, v4
	v_ffbh_u32_e32 v9, v6
	v_add_nc_u32_e32 v11, 0x1000000, v6
	v_cmp_ne_u32_e32 vcc_lo, 0, v6
	v_min_u32_e32 v9, 32, v9
	v_sub_nc_u32_e64 v9, v9, 4 clamp
	v_lshlrev_b32_e32 v10, v9, v6
	v_lshlrev_b32_e32 v9, 23, v9
	v_lshrrev_b32_e32 v10, 4, v10
	v_sub_nc_u32_e32 v9, v10, v9
	v_ashrrev_i32_e32 v10, 8, v11
	v_add_nc_u32_e32 v9, 0x3c000000, v9
	v_and_or_b32 v9, 0x7f800000, v10, v9
	v_cndmask_b32_e32 v6, 0, v9, vcc_lo
	v_and_or_b32 v4, 0x80000000, v4, v6
	v_cvt_f16_f32_e32 v4, v4
.LBB23_1231:
	s_mov_b32 s16, 0
.LBB23_1232:
	s_andn2_b32 vcc_lo, exec_lo, s16
	s_cbranch_vccnz .LBB23_1234
; %bb.1233:
	global_load_ubyte v4, v[0:1], off
	s_waitcnt vmcnt(0)
	v_lshlrev_b32_e32 v6, 25, v4
	v_lshlrev_b16 v4, 8, v4
	v_lshrrev_b32_e32 v9, 4, v6
	v_and_or_b32 v10, 0x7f00, v4, 0.5
	v_cmp_gt_u32_e32 vcc_lo, 0x8000000, v6
	v_bfe_i32 v4, v4, 0, 16
	v_or_b32_e32 v9, 0x70000000, v9
	v_add_f32_e32 v10, -0.5, v10
	v_mul_f32_e32 v9, 0x7800000, v9
	v_cndmask_b32_e32 v6, v9, v10, vcc_lo
	v_and_or_b32 v4, 0x80000000, v4, v6
	v_cvt_f16_f32_e32 v4, v4
.LBB23_1234:
	s_mov_b32 s16, 0
	s_mov_b32 s17, -1
.LBB23_1235:
	s_andn2_b32 vcc_lo, exec_lo, s16
	s_mov_b32 s16, 0
	s_cbranch_vccnz .LBB23_1246
; %bb.1236:
	s_cmp_gt_i32 s0, 14
	s_cbranch_scc0 .LBB23_1239
; %bb.1237:
	s_cmp_eq_u32 s0, 15
	s_cbranch_scc0 .LBB23_1242
; %bb.1238:
	global_load_ushort v4, v[0:1], off
	s_mov_b32 s5, 0
	s_mov_b32 s17, -1
	s_waitcnt vmcnt(0)
	v_lshlrev_b32_e32 v4, 16, v4
	v_cvt_f16_f32_e32 v4, v4
	s_branch .LBB23_1244
.LBB23_1239:
	s_mov_b32 s16, -1
	s_branch .LBB23_1243
.LBB23_1240:
	s_or_saveexec_b32 s17, s17
	v_mov_b32_e32 v4, 0x7e00
	s_xor_b32 exec_lo, exec_lo, s17
	s_cbranch_execz .LBB23_1221
.LBB23_1241:
	v_cmp_ne_u16_e32 vcc_lo, 0, v6
	v_mov_b32_e32 v4, v6
	s_andn2_b32 s16, s16, exec_lo
	s_and_b32 s18, vcc_lo, exec_lo
	s_or_b32 s16, s16, s18
	s_or_b32 exec_lo, exec_lo, s17
	s_and_saveexec_b32 s17, s16
	s_cbranch_execnz .LBB23_1222
	s_branch .LBB23_1223
.LBB23_1242:
	s_mov_b32 s5, -1
.LBB23_1243:
                                        ; implicit-def: $vgpr4
.LBB23_1244:
	s_and_b32 vcc_lo, exec_lo, s16
	s_mov_b32 s16, 0
	s_cbranch_vccz .LBB23_1246
; %bb.1245:
	s_cmp_lg_u32 s0, 11
	s_mov_b32 s16, -1
	s_cselect_b32 s5, -1, 0
.LBB23_1246:
	s_and_b32 vcc_lo, exec_lo, s5
	s_cbranch_vccnz .LBB23_1311
; %bb.1247:
	s_andn2_b32 vcc_lo, exec_lo, s16
	s_cbranch_vccnz .LBB23_1249
.LBB23_1248:
	global_load_ubyte v4, v[0:1], off
	s_mov_b32 s17, -1
	s_waitcnt vmcnt(0)
	v_cmp_ne_u16_e32 vcc_lo, 0, v4
	v_cndmask_b32_e64 v4, 0, 0x3c00, vcc_lo
.LBB23_1249:
	s_branch .LBB23_1175
.LBB23_1250:
	s_cmp_lt_i32 s0, 5
	s_cbranch_scc1 .LBB23_1255
; %bb.1251:
	s_cmp_lt_i32 s0, 8
	s_cbranch_scc1 .LBB23_1256
; %bb.1252:
	;; [unrolled: 3-line block ×3, first 2 shown]
	s_cmp_gt_i32 s0, 9
	s_cbranch_scc0 .LBB23_1258
; %bb.1254:
	global_load_dwordx2 v[9:10], v[0:1], off
	s_mov_b32 s5, 0
	s_waitcnt vmcnt(0)
	v_and_or_b32 v4, 0x1ff, v10, v9
	v_lshrrev_b32_e32 v6, 8, v10
	v_bfe_u32 v9, v10, 20, 11
	v_cmp_ne_u32_e32 vcc_lo, 0, v4
	v_sub_nc_u32_e32 v11, 0x3f1, v9
	v_add_nc_u32_e32 v9, 0xfffffc10, v9
	v_cndmask_b32_e64 v4, 0, 1, vcc_lo
	v_and_or_b32 v4, 0xffe, v6, v4
	v_med3_i32 v6, v11, 0, 13
	v_or_b32_e32 v11, 0x1000, v4
	v_lshrrev_b32_e32 v12, v6, v11
	v_lshlrev_b32_e32 v6, v6, v12
	v_cmp_ne_u32_e32 vcc_lo, v6, v11
	v_lshl_or_b32 v11, v9, 12, v4
	v_cndmask_b32_e64 v6, 0, 1, vcc_lo
	v_cmp_gt_i32_e32 vcc_lo, 1, v9
	v_or_b32_e32 v6, v12, v6
	v_cndmask_b32_e32 v6, v11, v6, vcc_lo
	v_and_b32_e32 v11, 7, v6
	v_lshrrev_b32_e32 v6, 2, v6
	v_cmp_lt_i32_e32 vcc_lo, 5, v11
	v_cndmask_b32_e64 v12, 0, 1, vcc_lo
	v_cmp_eq_u32_e32 vcc_lo, 3, v11
	v_cndmask_b32_e64 v11, 0, 1, vcc_lo
	v_cmp_ne_u32_e32 vcc_lo, 0, v4
	v_or_b32_e32 v11, v11, v12
	v_mov_b32_e32 v12, 0x7e00
	v_add_nc_u32_e32 v6, v6, v11
	v_cndmask_b32_e32 v4, 0x7c00, v12, vcc_lo
	v_cmp_gt_i32_e32 vcc_lo, 31, v9
	v_cndmask_b32_e32 v6, 0x7c00, v6, vcc_lo
	v_cmp_eq_u32_e32 vcc_lo, 0x40f, v9
	v_cndmask_b32_e32 v4, v6, v4, vcc_lo
	v_lshrrev_b32_e32 v6, 16, v10
	v_and_or_b32 v4, 0x8000, v6, v4
	s_branch .LBB23_1259
.LBB23_1255:
                                        ; implicit-def: $vgpr4
	s_branch .LBB23_1277
.LBB23_1256:
	s_mov_b32 s5, -1
                                        ; implicit-def: $vgpr4
	s_branch .LBB23_1265
.LBB23_1257:
	s_mov_b32 s5, -1
                                        ; implicit-def: $vgpr4
	s_branch .LBB23_1262
.LBB23_1258:
	s_mov_b32 s5, -1
                                        ; implicit-def: $vgpr4
.LBB23_1259:
	s_andn2_b32 vcc_lo, exec_lo, s5
	s_cbranch_vccnz .LBB23_1261
; %bb.1260:
	global_load_dword v4, v[0:1], off
	s_waitcnt vmcnt(0)
	v_cvt_f16_f32_e32 v4, v4
.LBB23_1261:
	s_mov_b32 s5, 0
.LBB23_1262:
	s_andn2_b32 vcc_lo, exec_lo, s5
	s_cbranch_vccnz .LBB23_1264
; %bb.1263:
	global_load_dword v4, v[0:1], off
.LBB23_1264:
	s_mov_b32 s5, 0
.LBB23_1265:
	s_andn2_b32 vcc_lo, exec_lo, s5
	s_cbranch_vccnz .LBB23_1276
; %bb.1266:
	s_cmp_lt_i32 s0, 6
	s_cbranch_scc1 .LBB23_1269
; %bb.1267:
	s_cmp_gt_i32 s0, 6
	s_cbranch_scc0 .LBB23_1270
; %bb.1268:
	global_load_dwordx2 v[9:10], v[0:1], off
	s_mov_b32 s5, 0
	s_waitcnt vmcnt(0)
	v_and_or_b32 v4, 0x1ff, v10, v9
	v_lshrrev_b32_e32 v6, 8, v10
	v_bfe_u32 v9, v10, 20, 11
	v_cmp_ne_u32_e32 vcc_lo, 0, v4
	v_sub_nc_u32_e32 v11, 0x3f1, v9
	v_add_nc_u32_e32 v9, 0xfffffc10, v9
	v_cndmask_b32_e64 v4, 0, 1, vcc_lo
	v_and_or_b32 v4, 0xffe, v6, v4
	v_med3_i32 v6, v11, 0, 13
	v_or_b32_e32 v11, 0x1000, v4
	v_lshrrev_b32_e32 v12, v6, v11
	v_lshlrev_b32_e32 v6, v6, v12
	v_cmp_ne_u32_e32 vcc_lo, v6, v11
	v_lshl_or_b32 v11, v9, 12, v4
	v_cndmask_b32_e64 v6, 0, 1, vcc_lo
	v_cmp_gt_i32_e32 vcc_lo, 1, v9
	v_or_b32_e32 v6, v12, v6
	v_cndmask_b32_e32 v6, v11, v6, vcc_lo
	v_and_b32_e32 v11, 7, v6
	v_lshrrev_b32_e32 v6, 2, v6
	v_cmp_lt_i32_e32 vcc_lo, 5, v11
	v_cndmask_b32_e64 v12, 0, 1, vcc_lo
	v_cmp_eq_u32_e32 vcc_lo, 3, v11
	v_cndmask_b32_e64 v11, 0, 1, vcc_lo
	v_cmp_ne_u32_e32 vcc_lo, 0, v4
	v_or_b32_e32 v11, v11, v12
	v_mov_b32_e32 v12, 0x7e00
	v_add_nc_u32_e32 v6, v6, v11
	v_cndmask_b32_e32 v4, 0x7c00, v12, vcc_lo
	v_cmp_gt_i32_e32 vcc_lo, 31, v9
	v_cndmask_b32_e32 v6, 0x7c00, v6, vcc_lo
	v_cmp_eq_u32_e32 vcc_lo, 0x40f, v9
	v_cndmask_b32_e32 v4, v6, v4, vcc_lo
	v_lshrrev_b32_e32 v6, 16, v10
	v_and_or_b32 v4, 0x8000, v6, v4
	s_branch .LBB23_1271
.LBB23_1269:
	s_mov_b32 s5, -1
                                        ; implicit-def: $vgpr4
	s_branch .LBB23_1274
.LBB23_1270:
	s_mov_b32 s5, -1
                                        ; implicit-def: $vgpr4
.LBB23_1271:
	s_andn2_b32 vcc_lo, exec_lo, s5
	s_cbranch_vccnz .LBB23_1273
; %bb.1272:
	global_load_dword v4, v[0:1], off
	s_waitcnt vmcnt(0)
	v_cvt_f16_f32_e32 v4, v4
.LBB23_1273:
	s_mov_b32 s5, 0
.LBB23_1274:
	s_andn2_b32 vcc_lo, exec_lo, s5
	s_cbranch_vccnz .LBB23_1276
; %bb.1275:
	global_load_ushort v4, v[0:1], off
.LBB23_1276:
	s_cbranch_execnz .LBB23_1296
.LBB23_1277:
	s_cmp_lt_i32 s0, 2
	s_cbranch_scc1 .LBB23_1281
; %bb.1278:
	s_cmp_lt_i32 s0, 3
	s_cbranch_scc1 .LBB23_1282
; %bb.1279:
	s_cmp_gt_i32 s0, 3
	s_cbranch_scc0 .LBB23_1283
; %bb.1280:
	global_load_dwordx2 v[9:10], v[0:1], off
	s_mov_b32 s5, 0
	s_waitcnt vmcnt(0)
	v_xor_b32_e32 v4, v9, v10
	v_ffbh_i32_e32 v6, v10
	v_ashrrev_i32_e32 v4, 31, v4
	v_add_nc_u32_e32 v6, -1, v6
	v_add_nc_u32_e32 v4, 32, v4
	v_min_u32_e32 v4, v6, v4
	v_lshlrev_b64 v[9:10], v4, v[9:10]
	v_sub_nc_u32_e32 v4, 32, v4
	v_min_u32_e32 v6, 1, v9
	v_or_b32_e32 v6, v10, v6
	v_cvt_f32_i32_e32 v6, v6
	v_ldexp_f32 v4, v6, v4
	v_cvt_f16_f32_e32 v4, v4
	s_branch .LBB23_1284
.LBB23_1281:
	s_mov_b32 s5, -1
                                        ; implicit-def: $vgpr4
	s_branch .LBB23_1290
.LBB23_1282:
	s_mov_b32 s5, -1
                                        ; implicit-def: $vgpr4
	s_branch .LBB23_1287
.LBB23_1283:
	s_mov_b32 s5, -1
                                        ; implicit-def: $vgpr4
.LBB23_1284:
	s_andn2_b32 vcc_lo, exec_lo, s5
	s_cbranch_vccnz .LBB23_1286
; %bb.1285:
	global_load_dword v4, v[0:1], off
	s_waitcnt vmcnt(0)
	v_cvt_f32_i32_e32 v4, v4
	v_cvt_f16_f32_e32 v4, v4
.LBB23_1286:
	s_mov_b32 s5, 0
.LBB23_1287:
	s_andn2_b32 vcc_lo, exec_lo, s5
	s_cbranch_vccnz .LBB23_1289
; %bb.1288:
	global_load_ushort v4, v[0:1], off
	s_waitcnt vmcnt(0)
	v_cvt_f16_i16_e32 v4, v4
.LBB23_1289:
	s_mov_b32 s5, 0
.LBB23_1290:
	s_andn2_b32 vcc_lo, exec_lo, s5
	s_cbranch_vccnz .LBB23_1296
; %bb.1291:
	s_cmp_gt_i32 s0, 0
	s_mov_b32 s5, 0
	s_cbranch_scc0 .LBB23_1293
; %bb.1292:
	global_load_sbyte v4, v[0:1], off
	s_waitcnt vmcnt(0)
	v_cvt_f16_i16_e32 v4, v4
	s_branch .LBB23_1294
.LBB23_1293:
	s_mov_b32 s5, -1
                                        ; implicit-def: $vgpr4
.LBB23_1294:
	s_andn2_b32 vcc_lo, exec_lo, s5
	s_cbranch_vccnz .LBB23_1296
; %bb.1295:
	global_load_ubyte v0, v[0:1], off
	s_waitcnt vmcnt(0)
	v_cvt_f16_u16_e32 v4, v0
.LBB23_1296:
.LBB23_1297:
	s_waitcnt vmcnt(0)
	v_cvt_f32_f16_e32 v9, v4
	v_mov_b32_e32 v10, v8
	s_mov_b32 s5, exec_lo
	v_cmpx_nlg_f32_e64 0x7f800000, |v9|
	s_cbranch_execz .LBB23_1299
; %bb.1298:
	v_mov_b32_e32 v0, 0
	v_mov_b32_e32 v1, 1.0
	global_store_dword v0, v1, s[12:13]
	global_load_dword v10, v0, s[14:15]
.LBB23_1299:
	s_or_b32 exec_lo, exec_lo, s5
	v_add_nc_u32_e32 v6, s3, v5
	s_cmp_lt_i32 s0, 11
	v_ashrrev_i32_e32 v1, 31, v6
	v_add_co_u32 v0, vcc_lo, s10, v6
	v_add_co_ci_u32_e64 v1, null, s11, v1, vcc_lo
	s_cbranch_scc1 .LBB23_1306
; %bb.1300:
	s_cmp_gt_i32 s0, 25
	s_mov_b32 s16, 0
	s_cbranch_scc0 .LBB23_1308
; %bb.1301:
	s_cmp_gt_i32 s0, 28
	s_cbranch_scc0 .LBB23_1309
; %bb.1302:
	s_cmp_gt_i32 s0, 43
	;; [unrolled: 3-line block ×3, first 2 shown]
	s_cbranch_scc0 .LBB23_1312
; %bb.1304:
	s_cmp_eq_u32 s0, 46
	s_mov_b32 s18, 0
	s_cbranch_scc0 .LBB23_1313
; %bb.1305:
	global_load_dword v5, v[0:1], off
	s_mov_b32 s5, 0
	s_mov_b32 s17, -1
	s_waitcnt vmcnt(0)
	v_lshlrev_b32_e32 v5, 16, v5
	v_cvt_f16_f32_e32 v5, v5
	s_branch .LBB23_1315
.LBB23_1306:
	s_mov_b32 s17, 0
                                        ; implicit-def: $vgpr5
	s_cbranch_execnz .LBB23_1381
.LBB23_1307:
	s_andn2_b32 vcc_lo, exec_lo, s17
	s_cbranch_vccnz .LBB23_1997
	s_branch .LBB23_1429
.LBB23_1308:
	s_mov_b32 s18, -1
	s_mov_b32 s17, 0
	s_mov_b32 s5, 0
                                        ; implicit-def: $vgpr5
	s_branch .LBB23_1344
.LBB23_1309:
	s_mov_b32 s18, -1
	s_mov_b32 s17, 0
	s_mov_b32 s5, 0
                                        ; implicit-def: $vgpr5
	s_branch .LBB23_1325
.LBB23_1310:
	s_mov_b32 s18, -1
	s_mov_b32 s17, 0
	s_mov_b32 s5, 0
                                        ; implicit-def: $vgpr5
	s_branch .LBB23_1320
.LBB23_1311:
	s_or_b32 s4, s4, exec_lo
	s_trap 2
	s_cbranch_execz .LBB23_1248
	s_branch .LBB23_1249
.LBB23_1312:
	s_mov_b32 s18, -1
	s_mov_b32 s17, 0
	s_mov_b32 s5, 0
	s_branch .LBB23_1314
.LBB23_1313:
	s_mov_b32 s5, -1
	s_mov_b32 s17, 0
.LBB23_1314:
                                        ; implicit-def: $vgpr5
.LBB23_1315:
	s_and_b32 vcc_lo, exec_lo, s18
	s_cbranch_vccz .LBB23_1319
; %bb.1316:
	s_cmp_eq_u32 s0, 44
	s_cbranch_scc0 .LBB23_1318
; %bb.1317:
	global_load_ubyte v5, v[0:1], off
	s_mov_b32 s5, 0
	s_mov_b32 s17, -1
	s_waitcnt vmcnt(0)
	v_lshlrev_b32_e32 v11, 23, v5
	v_cmp_ne_u32_e32 vcc_lo, 0xff, v5
	v_cvt_f16_f32_e32 v11, v11
	v_cndmask_b32_e32 v11, 0x7e00, v11, vcc_lo
	v_cmp_ne_u32_e32 vcc_lo, 0, v5
	v_cndmask_b32_e32 v5, 0, v11, vcc_lo
	s_branch .LBB23_1319
.LBB23_1318:
	s_mov_b32 s5, -1
                                        ; implicit-def: $vgpr5
.LBB23_1319:
	s_mov_b32 s18, 0
.LBB23_1320:
	s_and_b32 vcc_lo, exec_lo, s18
	s_cbranch_vccz .LBB23_1324
; %bb.1321:
	s_cmp_eq_u32 s0, 29
	s_cbranch_scc0 .LBB23_1323
; %bb.1322:
	global_load_dwordx2 v[11:12], v[0:1], off
	s_mov_b32 s5, 0
	s_mov_b32 s17, -1
	s_mov_b32 s18, 0
	s_waitcnt vmcnt(0)
	v_ffbh_u32_e32 v5, v12
	v_min_u32_e32 v5, 32, v5
	v_lshlrev_b64 v[11:12], v5, v[11:12]
	v_sub_nc_u32_e32 v5, 32, v5
	v_min_u32_e32 v11, 1, v11
	v_or_b32_e32 v11, v12, v11
	v_cvt_f32_u32_e32 v11, v11
	v_ldexp_f32 v5, v11, v5
	v_cvt_f16_f32_e32 v5, v5
	s_branch .LBB23_1325
.LBB23_1323:
	s_mov_b32 s5, -1
                                        ; implicit-def: $vgpr5
.LBB23_1324:
	s_mov_b32 s18, 0
.LBB23_1325:
	s_and_b32 vcc_lo, exec_lo, s18
	s_cbranch_vccz .LBB23_1343
; %bb.1326:
	s_cmp_lt_i32 s0, 27
	s_cbranch_scc1 .LBB23_1329
; %bb.1327:
	s_cmp_gt_i32 s0, 27
	s_cbranch_scc0 .LBB23_1330
; %bb.1328:
	global_load_dword v5, v[0:1], off
	s_mov_b32 s17, 0
	s_waitcnt vmcnt(0)
	v_cvt_f32_u32_e32 v5, v5
	v_cvt_f16_f32_e32 v5, v5
	s_branch .LBB23_1331
.LBB23_1329:
	s_mov_b32 s17, -1
                                        ; implicit-def: $vgpr5
	s_branch .LBB23_1334
.LBB23_1330:
	s_mov_b32 s17, -1
                                        ; implicit-def: $vgpr5
.LBB23_1331:
	s_andn2_b32 vcc_lo, exec_lo, s17
	s_cbranch_vccnz .LBB23_1333
; %bb.1332:
	global_load_ushort v5, v[0:1], off
	s_waitcnt vmcnt(0)
	v_cvt_f16_u16_e32 v5, v5
.LBB23_1333:
	s_mov_b32 s17, 0
.LBB23_1334:
	s_andn2_b32 vcc_lo, exec_lo, s17
	s_cbranch_vccnz .LBB23_1342
; %bb.1335:
	global_load_ubyte v11, v[0:1], off
	s_mov_b32 s17, 0
	s_mov_b32 s18, exec_lo
	s_waitcnt vmcnt(0)
	v_cmpx_lt_i16_e32 0x7f, v11
	s_xor_b32 s18, exec_lo, s18
	s_cbranch_execz .LBB23_1356
; %bb.1336:
	s_mov_b32 s17, -1
	s_mov_b32 s19, exec_lo
	v_cmpx_eq_u16_e32 0x80, v11
; %bb.1337:
	s_xor_b32 s17, exec_lo, -1
; %bb.1338:
	s_or_b32 exec_lo, exec_lo, s19
	s_and_b32 s17, s17, exec_lo
	s_or_saveexec_b32 s18, s18
	v_mov_b32_e32 v5, 0x7e00
	s_xor_b32 exec_lo, exec_lo, s18
	s_cbranch_execnz .LBB23_1357
.LBB23_1339:
	s_or_b32 exec_lo, exec_lo, s18
	s_and_saveexec_b32 s18, s17
	s_cbranch_execz .LBB23_1341
.LBB23_1340:
	v_and_b32_e32 v5, 0xffff, v11
	v_lshlrev_b32_e32 v11, 24, v11
	v_and_b32_e32 v12, 7, v5
	v_bfe_u32 v15, v5, 3, 4
	v_and_b32_e32 v11, 0x80000000, v11
	v_ffbh_u32_e32 v13, v12
	v_cmp_eq_u32_e32 vcc_lo, 0, v15
	v_min_u32_e32 v13, 32, v13
	v_subrev_nc_u32_e32 v14, 28, v13
	v_sub_nc_u32_e32 v13, 29, v13
	v_lshlrev_b32_e32 v5, v14, v5
	v_cndmask_b32_e32 v13, v15, v13, vcc_lo
	v_and_b32_e32 v5, 7, v5
	v_cndmask_b32_e32 v5, v12, v5, vcc_lo
	v_lshl_add_u32 v12, v13, 23, 0x3b800000
	v_lshlrev_b32_e32 v5, 20, v5
	v_or3_b32 v5, v11, v12, v5
	v_cvt_f16_f32_e32 v5, v5
.LBB23_1341:
	s_or_b32 exec_lo, exec_lo, s18
.LBB23_1342:
	s_mov_b32 s17, -1
.LBB23_1343:
	s_mov_b32 s18, 0
.LBB23_1344:
	s_and_b32 vcc_lo, exec_lo, s18
	s_cbranch_vccz .LBB23_1377
; %bb.1345:
	s_cmp_gt_i32 s0, 22
	s_cbranch_scc0 .LBB23_1355
; %bb.1346:
	s_cmp_lt_i32 s0, 24
	s_cbranch_scc1 .LBB23_1358
; %bb.1347:
	s_cmp_gt_i32 s0, 24
	s_cbranch_scc0 .LBB23_1359
; %bb.1348:
	global_load_ubyte v11, v[0:1], off
	s_mov_b32 s17, exec_lo
	s_waitcnt vmcnt(0)
	v_cmpx_lt_i16_e32 0x7f, v11
	s_xor_b32 s17, exec_lo, s17
	s_cbranch_execz .LBB23_1371
; %bb.1349:
	s_mov_b32 s16, -1
	s_mov_b32 s18, exec_lo
	v_cmpx_eq_u16_e32 0x80, v11
; %bb.1350:
	s_xor_b32 s16, exec_lo, -1
; %bb.1351:
	s_or_b32 exec_lo, exec_lo, s18
	s_and_b32 s16, s16, exec_lo
	s_or_saveexec_b32 s17, s17
	v_mov_b32_e32 v5, 0x7e00
	s_xor_b32 exec_lo, exec_lo, s17
	s_cbranch_execnz .LBB23_1372
.LBB23_1352:
	s_or_b32 exec_lo, exec_lo, s17
	s_and_saveexec_b32 s17, s16
	s_cbranch_execz .LBB23_1354
.LBB23_1353:
	v_and_b32_e32 v5, 0xffff, v11
	v_lshlrev_b32_e32 v11, 24, v11
	v_and_b32_e32 v12, 3, v5
	v_bfe_u32 v15, v5, 2, 5
	v_and_b32_e32 v11, 0x80000000, v11
	v_ffbh_u32_e32 v13, v12
	v_cmp_eq_u32_e32 vcc_lo, 0, v15
	v_min_u32_e32 v13, 32, v13
	v_subrev_nc_u32_e32 v14, 29, v13
	v_sub_nc_u32_e32 v13, 30, v13
	v_lshlrev_b32_e32 v5, v14, v5
	v_cndmask_b32_e32 v13, v15, v13, vcc_lo
	v_and_b32_e32 v5, 3, v5
	v_cndmask_b32_e32 v5, v12, v5, vcc_lo
	v_lshl_add_u32 v12, v13, 23, 0x37800000
	v_lshlrev_b32_e32 v5, 21, v5
	v_or3_b32 v5, v11, v12, v5
	v_cvt_f16_f32_e32 v5, v5
.LBB23_1354:
	s_or_b32 exec_lo, exec_lo, s17
	s_mov_b32 s16, 0
	s_branch .LBB23_1360
.LBB23_1355:
	s_mov_b32 s16, -1
                                        ; implicit-def: $vgpr5
	s_branch .LBB23_1366
.LBB23_1356:
	s_or_saveexec_b32 s18, s18
	v_mov_b32_e32 v5, 0x7e00
	s_xor_b32 exec_lo, exec_lo, s18
	s_cbranch_execz .LBB23_1339
.LBB23_1357:
	v_cmp_ne_u16_e32 vcc_lo, 0, v11
	v_mov_b32_e32 v5, v11
	s_andn2_b32 s17, s17, exec_lo
	s_and_b32 s19, vcc_lo, exec_lo
	s_or_b32 s17, s17, s19
	s_or_b32 exec_lo, exec_lo, s18
	s_and_saveexec_b32 s18, s17
	s_cbranch_execnz .LBB23_1340
	s_branch .LBB23_1341
.LBB23_1358:
	s_mov_b32 s16, -1
                                        ; implicit-def: $vgpr5
	s_branch .LBB23_1363
.LBB23_1359:
	s_mov_b32 s16, -1
                                        ; implicit-def: $vgpr5
.LBB23_1360:
	s_and_b32 vcc_lo, exec_lo, s16
	s_cbranch_vccz .LBB23_1362
; %bb.1361:
	global_load_ubyte v5, v[0:1], off
	s_waitcnt vmcnt(0)
	v_lshlrev_b32_e32 v5, 24, v5
	v_and_b32_e32 v11, 0x7f000000, v5
	v_ffbh_u32_e32 v12, v11
	v_add_nc_u32_e32 v14, 0x1000000, v11
	v_cmp_ne_u32_e32 vcc_lo, 0, v11
	v_min_u32_e32 v12, 32, v12
	v_sub_nc_u32_e64 v12, v12, 4 clamp
	v_lshlrev_b32_e32 v13, v12, v11
	v_lshlrev_b32_e32 v12, 23, v12
	v_lshrrev_b32_e32 v13, 4, v13
	v_sub_nc_u32_e32 v12, v13, v12
	v_ashrrev_i32_e32 v13, 8, v14
	v_add_nc_u32_e32 v12, 0x3c000000, v12
	v_and_or_b32 v12, 0x7f800000, v13, v12
	v_cndmask_b32_e32 v11, 0, v12, vcc_lo
	v_and_or_b32 v5, 0x80000000, v5, v11
	v_cvt_f16_f32_e32 v5, v5
.LBB23_1362:
	s_mov_b32 s16, 0
.LBB23_1363:
	s_andn2_b32 vcc_lo, exec_lo, s16
	s_cbranch_vccnz .LBB23_1365
; %bb.1364:
	global_load_ubyte v5, v[0:1], off
	s_waitcnt vmcnt(0)
	v_lshlrev_b32_e32 v11, 25, v5
	v_lshlrev_b16 v5, 8, v5
	v_lshrrev_b32_e32 v12, 4, v11
	v_and_or_b32 v13, 0x7f00, v5, 0.5
	v_cmp_gt_u32_e32 vcc_lo, 0x8000000, v11
	v_bfe_i32 v5, v5, 0, 16
	v_or_b32_e32 v12, 0x70000000, v12
	v_add_f32_e32 v13, -0.5, v13
	v_mul_f32_e32 v12, 0x7800000, v12
	v_cndmask_b32_e32 v11, v12, v13, vcc_lo
	v_and_or_b32 v5, 0x80000000, v5, v11
	v_cvt_f16_f32_e32 v5, v5
.LBB23_1365:
	s_mov_b32 s16, 0
	s_mov_b32 s17, -1
.LBB23_1366:
	s_andn2_b32 vcc_lo, exec_lo, s16
	s_mov_b32 s16, 0
	s_cbranch_vccnz .LBB23_1377
; %bb.1367:
	s_cmp_gt_i32 s0, 14
	s_cbranch_scc0 .LBB23_1370
; %bb.1368:
	s_cmp_eq_u32 s0, 15
	s_cbranch_scc0 .LBB23_1373
; %bb.1369:
	global_load_ushort v5, v[0:1], off
	s_mov_b32 s5, 0
	s_mov_b32 s17, -1
	s_waitcnt vmcnt(0)
	v_lshlrev_b32_e32 v5, 16, v5
	v_cvt_f16_f32_e32 v5, v5
	s_branch .LBB23_1375
.LBB23_1370:
	s_mov_b32 s16, -1
	s_branch .LBB23_1374
.LBB23_1371:
	s_or_saveexec_b32 s17, s17
	v_mov_b32_e32 v5, 0x7e00
	s_xor_b32 exec_lo, exec_lo, s17
	s_cbranch_execz .LBB23_1352
.LBB23_1372:
	v_cmp_ne_u16_e32 vcc_lo, 0, v11
	v_mov_b32_e32 v5, v11
	s_andn2_b32 s16, s16, exec_lo
	s_and_b32 s18, vcc_lo, exec_lo
	s_or_b32 s16, s16, s18
	s_or_b32 exec_lo, exec_lo, s17
	s_and_saveexec_b32 s17, s16
	s_cbranch_execnz .LBB23_1353
	s_branch .LBB23_1354
.LBB23_1373:
	s_mov_b32 s5, -1
.LBB23_1374:
                                        ; implicit-def: $vgpr5
.LBB23_1375:
	s_and_b32 vcc_lo, exec_lo, s16
	s_mov_b32 s16, 0
	s_cbranch_vccz .LBB23_1377
; %bb.1376:
	s_cmp_lg_u32 s0, 11
	s_mov_b32 s16, -1
	s_cselect_b32 s5, -1, 0
.LBB23_1377:
	s_and_b32 vcc_lo, exec_lo, s5
	s_cbranch_vccnz .LBB23_1442
; %bb.1378:
	s_andn2_b32 vcc_lo, exec_lo, s16
	s_cbranch_vccnz .LBB23_1380
.LBB23_1379:
	global_load_ubyte v5, v[0:1], off
	s_mov_b32 s17, -1
	s_waitcnt vmcnt(0)
	v_cmp_ne_u16_e32 vcc_lo, 0, v5
	v_cndmask_b32_e64 v5, 0, 0x3c00, vcc_lo
.LBB23_1380:
	s_branch .LBB23_1307
.LBB23_1381:
	s_cmp_lt_i32 s0, 5
	s_cbranch_scc1 .LBB23_1386
; %bb.1382:
	s_cmp_lt_i32 s0, 8
	s_cbranch_scc1 .LBB23_1387
; %bb.1383:
	;; [unrolled: 3-line block ×3, first 2 shown]
	s_cmp_gt_i32 s0, 9
	s_cbranch_scc0 .LBB23_1389
; %bb.1385:
	global_load_dwordx2 v[11:12], v[0:1], off
	s_mov_b32 s5, 0
	s_waitcnt vmcnt(0)
	v_and_or_b32 v5, 0x1ff, v12, v11
	v_lshrrev_b32_e32 v11, 8, v12
	v_bfe_u32 v13, v12, 20, 11
	v_cmp_ne_u32_e32 vcc_lo, 0, v5
	v_sub_nc_u32_e32 v14, 0x3f1, v13
	v_add_nc_u32_e32 v13, 0xfffffc10, v13
	v_cndmask_b32_e64 v5, 0, 1, vcc_lo
	v_and_or_b32 v5, 0xffe, v11, v5
	v_med3_i32 v11, v14, 0, 13
	v_or_b32_e32 v14, 0x1000, v5
	v_lshrrev_b32_e32 v15, v11, v14
	v_lshlrev_b32_e32 v11, v11, v15
	v_cmp_ne_u32_e32 vcc_lo, v11, v14
	v_lshl_or_b32 v14, v13, 12, v5
	v_cndmask_b32_e64 v11, 0, 1, vcc_lo
	v_cmp_gt_i32_e32 vcc_lo, 1, v13
	v_or_b32_e32 v11, v15, v11
	v_cndmask_b32_e32 v11, v14, v11, vcc_lo
	v_and_b32_e32 v14, 7, v11
	v_lshrrev_b32_e32 v11, 2, v11
	v_cmp_lt_i32_e32 vcc_lo, 5, v14
	v_cndmask_b32_e64 v15, 0, 1, vcc_lo
	v_cmp_eq_u32_e32 vcc_lo, 3, v14
	v_cndmask_b32_e64 v14, 0, 1, vcc_lo
	v_cmp_ne_u32_e32 vcc_lo, 0, v5
	v_or_b32_e32 v14, v14, v15
	v_mov_b32_e32 v15, 0x7e00
	v_add_nc_u32_e32 v11, v11, v14
	v_cndmask_b32_e32 v5, 0x7c00, v15, vcc_lo
	v_cmp_gt_i32_e32 vcc_lo, 31, v13
	v_cndmask_b32_e32 v11, 0x7c00, v11, vcc_lo
	v_cmp_eq_u32_e32 vcc_lo, 0x40f, v13
	v_cndmask_b32_e32 v5, v11, v5, vcc_lo
	v_lshrrev_b32_e32 v11, 16, v12
	v_and_or_b32 v5, 0x8000, v11, v5
	s_branch .LBB23_1390
.LBB23_1386:
	s_mov_b32 s5, -1
                                        ; implicit-def: $vgpr5
	s_branch .LBB23_1408
.LBB23_1387:
	s_mov_b32 s5, -1
                                        ; implicit-def: $vgpr5
	s_branch .LBB23_1396
.LBB23_1388:
	s_mov_b32 s5, -1
                                        ; implicit-def: $vgpr5
	s_branch .LBB23_1393
.LBB23_1389:
	s_mov_b32 s5, -1
                                        ; implicit-def: $vgpr5
.LBB23_1390:
	s_andn2_b32 vcc_lo, exec_lo, s5
	s_cbranch_vccnz .LBB23_1392
; %bb.1391:
	global_load_dword v5, v[0:1], off
	s_waitcnt vmcnt(0)
	v_cvt_f16_f32_e32 v5, v5
.LBB23_1392:
	s_mov_b32 s5, 0
.LBB23_1393:
	s_andn2_b32 vcc_lo, exec_lo, s5
	s_cbranch_vccnz .LBB23_1395
; %bb.1394:
	global_load_dword v5, v[0:1], off
.LBB23_1395:
	s_mov_b32 s5, 0
.LBB23_1396:
	s_andn2_b32 vcc_lo, exec_lo, s5
	s_cbranch_vccnz .LBB23_1407
; %bb.1397:
	s_cmp_lt_i32 s0, 6
	s_cbranch_scc1 .LBB23_1400
; %bb.1398:
	s_cmp_gt_i32 s0, 6
	s_cbranch_scc0 .LBB23_1401
; %bb.1399:
	global_load_dwordx2 v[11:12], v[0:1], off
	s_mov_b32 s5, 0
	s_waitcnt vmcnt(0)
	v_and_or_b32 v5, 0x1ff, v12, v11
	v_lshrrev_b32_e32 v11, 8, v12
	v_bfe_u32 v13, v12, 20, 11
	v_cmp_ne_u32_e32 vcc_lo, 0, v5
	v_sub_nc_u32_e32 v14, 0x3f1, v13
	v_add_nc_u32_e32 v13, 0xfffffc10, v13
	v_cndmask_b32_e64 v5, 0, 1, vcc_lo
	v_and_or_b32 v5, 0xffe, v11, v5
	v_med3_i32 v11, v14, 0, 13
	v_or_b32_e32 v14, 0x1000, v5
	v_lshrrev_b32_e32 v15, v11, v14
	v_lshlrev_b32_e32 v11, v11, v15
	v_cmp_ne_u32_e32 vcc_lo, v11, v14
	v_lshl_or_b32 v14, v13, 12, v5
	v_cndmask_b32_e64 v11, 0, 1, vcc_lo
	v_cmp_gt_i32_e32 vcc_lo, 1, v13
	v_or_b32_e32 v11, v15, v11
	v_cndmask_b32_e32 v11, v14, v11, vcc_lo
	v_and_b32_e32 v14, 7, v11
	v_lshrrev_b32_e32 v11, 2, v11
	v_cmp_lt_i32_e32 vcc_lo, 5, v14
	v_cndmask_b32_e64 v15, 0, 1, vcc_lo
	v_cmp_eq_u32_e32 vcc_lo, 3, v14
	v_cndmask_b32_e64 v14, 0, 1, vcc_lo
	v_cmp_ne_u32_e32 vcc_lo, 0, v5
	v_or_b32_e32 v14, v14, v15
	v_mov_b32_e32 v15, 0x7e00
	v_add_nc_u32_e32 v11, v11, v14
	v_cndmask_b32_e32 v5, 0x7c00, v15, vcc_lo
	v_cmp_gt_i32_e32 vcc_lo, 31, v13
	v_cndmask_b32_e32 v11, 0x7c00, v11, vcc_lo
	v_cmp_eq_u32_e32 vcc_lo, 0x40f, v13
	v_cndmask_b32_e32 v5, v11, v5, vcc_lo
	v_lshrrev_b32_e32 v11, 16, v12
	v_and_or_b32 v5, 0x8000, v11, v5
	s_branch .LBB23_1402
.LBB23_1400:
	s_mov_b32 s5, -1
                                        ; implicit-def: $vgpr5
	s_branch .LBB23_1405
.LBB23_1401:
	s_mov_b32 s5, -1
                                        ; implicit-def: $vgpr5
.LBB23_1402:
	s_andn2_b32 vcc_lo, exec_lo, s5
	s_cbranch_vccnz .LBB23_1404
; %bb.1403:
	global_load_dword v5, v[0:1], off
	s_waitcnt vmcnt(0)
	v_cvt_f16_f32_e32 v5, v5
.LBB23_1404:
	s_mov_b32 s5, 0
.LBB23_1405:
	s_andn2_b32 vcc_lo, exec_lo, s5
	s_cbranch_vccnz .LBB23_1407
; %bb.1406:
	global_load_ushort v5, v[0:1], off
.LBB23_1407:
	s_mov_b32 s5, 0
.LBB23_1408:
	s_andn2_b32 vcc_lo, exec_lo, s5
	s_cbranch_vccnz .LBB23_1428
; %bb.1409:
	s_cmp_lt_i32 s0, 2
	s_cbranch_scc1 .LBB23_1413
; %bb.1410:
	s_cmp_lt_i32 s0, 3
	s_cbranch_scc1 .LBB23_1414
; %bb.1411:
	s_cmp_gt_i32 s0, 3
	s_cbranch_scc0 .LBB23_1415
; %bb.1412:
	global_load_dwordx2 v[11:12], v[0:1], off
	s_mov_b32 s5, 0
	s_waitcnt vmcnt(0)
	v_xor_b32_e32 v5, v11, v12
	v_ffbh_i32_e32 v13, v12
	v_ashrrev_i32_e32 v5, 31, v5
	v_add_nc_u32_e32 v13, -1, v13
	v_add_nc_u32_e32 v5, 32, v5
	v_min_u32_e32 v5, v13, v5
	v_lshlrev_b64 v[11:12], v5, v[11:12]
	v_sub_nc_u32_e32 v5, 32, v5
	v_min_u32_e32 v11, 1, v11
	v_or_b32_e32 v11, v12, v11
	v_cvt_f32_i32_e32 v11, v11
	v_ldexp_f32 v5, v11, v5
	v_cvt_f16_f32_e32 v5, v5
	s_branch .LBB23_1416
.LBB23_1413:
	s_mov_b32 s5, -1
                                        ; implicit-def: $vgpr5
	s_branch .LBB23_1422
.LBB23_1414:
	s_mov_b32 s5, -1
                                        ; implicit-def: $vgpr5
	s_branch .LBB23_1419
.LBB23_1415:
	s_mov_b32 s5, -1
                                        ; implicit-def: $vgpr5
.LBB23_1416:
	s_andn2_b32 vcc_lo, exec_lo, s5
	s_cbranch_vccnz .LBB23_1418
; %bb.1417:
	global_load_dword v5, v[0:1], off
	s_waitcnt vmcnt(0)
	v_cvt_f32_i32_e32 v5, v5
	v_cvt_f16_f32_e32 v5, v5
.LBB23_1418:
	s_mov_b32 s5, 0
.LBB23_1419:
	s_andn2_b32 vcc_lo, exec_lo, s5
	s_cbranch_vccnz .LBB23_1421
; %bb.1420:
	global_load_ushort v5, v[0:1], off
	s_waitcnt vmcnt(0)
	v_cvt_f16_i16_e32 v5, v5
.LBB23_1421:
	s_mov_b32 s5, 0
.LBB23_1422:
	s_andn2_b32 vcc_lo, exec_lo, s5
	s_cbranch_vccnz .LBB23_1428
; %bb.1423:
	s_cmp_gt_i32 s0, 0
	s_mov_b32 s5, 0
	s_cbranch_scc0 .LBB23_1425
; %bb.1424:
	global_load_sbyte v5, v[0:1], off
	s_waitcnt vmcnt(0)
	v_cvt_f16_i16_e32 v5, v5
	s_branch .LBB23_1426
.LBB23_1425:
	s_mov_b32 s5, -1
                                        ; implicit-def: $vgpr5
.LBB23_1426:
	s_andn2_b32 vcc_lo, exec_lo, s5
	s_cbranch_vccnz .LBB23_1428
; %bb.1427:
	global_load_ubyte v0, v[0:1], off
	s_waitcnt vmcnt(0)
	v_cvt_f16_u16_e32 v5, v0
.LBB23_1428:
.LBB23_1429:
	s_waitcnt vmcnt(0)
	v_cvt_f32_f16_e32 v11, v5
	v_mov_b32_e32 v12, v10
	s_mov_b32 s5, exec_lo
	v_cmpx_nlg_f32_e64 0x7f800000, |v11|
	s_cbranch_execz .LBB23_1431
; %bb.1430:
	v_mov_b32_e32 v0, 0
	v_mov_b32_e32 v1, 1.0
	global_store_dword v0, v1, s[12:13]
	global_load_dword v12, v0, s[14:15]
.LBB23_1431:
	s_or_b32 exec_lo, exec_lo, s5
	v_add_nc_u32_e32 v0, s3, v6
	s_cmp_lt_i32 s0, 11
	v_ashrrev_i32_e32 v1, 31, v0
	v_add_co_u32 v0, vcc_lo, s10, v0
	v_add_co_ci_u32_e64 v1, null, s11, v1, vcc_lo
	s_cbranch_scc1 .LBB23_1438
; %bb.1432:
	s_cmp_gt_i32 s0, 25
	s_mov_b32 s5, 0
	s_cbranch_scc0 .LBB23_1439
; %bb.1433:
	s_cmp_gt_i32 s0, 28
	s_cbranch_scc0 .LBB23_1440
; %bb.1434:
	s_cmp_gt_i32 s0, 43
	;; [unrolled: 3-line block ×3, first 2 shown]
	s_cbranch_scc0 .LBB23_1443
; %bb.1436:
	s_cmp_eq_u32 s0, 46
	s_mov_b32 s11, 0
	s_cbranch_scc0 .LBB23_1444
; %bb.1437:
	global_load_dword v6, v[0:1], off
	s_mov_b32 s3, 0
	s_mov_b32 s10, -1
	s_waitcnt vmcnt(0)
	v_lshlrev_b32_e32 v6, 16, v6
	v_cvt_f16_f32_e32 v6, v6
	s_branch .LBB23_1446
.LBB23_1438:
	s_mov_b32 s3, -1
	s_mov_b32 s10, 0
                                        ; implicit-def: $vgpr6
	s_branch .LBB23_1512
.LBB23_1439:
	s_mov_b32 s11, -1
	s_mov_b32 s10, 0
	s_mov_b32 s3, 0
                                        ; implicit-def: $vgpr6
	s_branch .LBB23_1475
.LBB23_1440:
	s_mov_b32 s11, -1
	s_mov_b32 s10, 0
	s_mov_b32 s3, 0
                                        ; implicit-def: $vgpr6
	s_branch .LBB23_1456
.LBB23_1441:
	s_mov_b32 s11, -1
	s_mov_b32 s10, 0
	s_mov_b32 s3, 0
                                        ; implicit-def: $vgpr6
	s_branch .LBB23_1451
.LBB23_1442:
	s_or_b32 s4, s4, exec_lo
	s_trap 2
	s_cbranch_execz .LBB23_1379
	s_branch .LBB23_1380
.LBB23_1443:
	s_mov_b32 s11, -1
	s_mov_b32 s10, 0
	s_mov_b32 s3, 0
	s_branch .LBB23_1445
.LBB23_1444:
	s_mov_b32 s3, -1
	s_mov_b32 s10, 0
.LBB23_1445:
                                        ; implicit-def: $vgpr6
.LBB23_1446:
	s_and_b32 vcc_lo, exec_lo, s11
	s_cbranch_vccz .LBB23_1450
; %bb.1447:
	s_cmp_eq_u32 s0, 44
	s_cbranch_scc0 .LBB23_1449
; %bb.1448:
	global_load_ubyte v6, v[0:1], off
	s_mov_b32 s3, 0
	s_mov_b32 s10, -1
	s_waitcnt vmcnt(0)
	v_lshlrev_b32_e32 v13, 23, v6
	v_cmp_ne_u32_e32 vcc_lo, 0xff, v6
	v_cvt_f16_f32_e32 v13, v13
	v_cndmask_b32_e32 v13, 0x7e00, v13, vcc_lo
	v_cmp_ne_u32_e32 vcc_lo, 0, v6
	v_cndmask_b32_e32 v6, 0, v13, vcc_lo
	s_branch .LBB23_1450
.LBB23_1449:
	s_mov_b32 s3, -1
                                        ; implicit-def: $vgpr6
.LBB23_1450:
	s_mov_b32 s11, 0
.LBB23_1451:
	s_and_b32 vcc_lo, exec_lo, s11
	s_cbranch_vccz .LBB23_1455
; %bb.1452:
	s_cmp_eq_u32 s0, 29
	s_cbranch_scc0 .LBB23_1454
; %bb.1453:
	global_load_dwordx2 v[13:14], v[0:1], off
	s_mov_b32 s3, 0
	s_mov_b32 s10, -1
	s_mov_b32 s11, 0
	s_waitcnt vmcnt(0)
	v_ffbh_u32_e32 v6, v14
	v_min_u32_e32 v6, 32, v6
	v_lshlrev_b64 v[13:14], v6, v[13:14]
	v_sub_nc_u32_e32 v6, 32, v6
	v_min_u32_e32 v13, 1, v13
	v_or_b32_e32 v13, v14, v13
	v_cvt_f32_u32_e32 v13, v13
	v_ldexp_f32 v6, v13, v6
	v_cvt_f16_f32_e32 v6, v6
	s_branch .LBB23_1456
.LBB23_1454:
	s_mov_b32 s3, -1
                                        ; implicit-def: $vgpr6
.LBB23_1455:
	s_mov_b32 s11, 0
.LBB23_1456:
	s_and_b32 vcc_lo, exec_lo, s11
	s_cbranch_vccz .LBB23_1474
; %bb.1457:
	s_cmp_lt_i32 s0, 27
	s_cbranch_scc1 .LBB23_1460
; %bb.1458:
	s_cmp_gt_i32 s0, 27
	s_cbranch_scc0 .LBB23_1461
; %bb.1459:
	global_load_dword v6, v[0:1], off
	s_mov_b32 s10, 0
	s_waitcnt vmcnt(0)
	v_cvt_f32_u32_e32 v6, v6
	v_cvt_f16_f32_e32 v6, v6
	s_branch .LBB23_1462
.LBB23_1460:
	s_mov_b32 s10, -1
                                        ; implicit-def: $vgpr6
	s_branch .LBB23_1465
.LBB23_1461:
	s_mov_b32 s10, -1
                                        ; implicit-def: $vgpr6
.LBB23_1462:
	s_andn2_b32 vcc_lo, exec_lo, s10
	s_cbranch_vccnz .LBB23_1464
; %bb.1463:
	global_load_ushort v6, v[0:1], off
	s_waitcnt vmcnt(0)
	v_cvt_f16_u16_e32 v6, v6
.LBB23_1464:
	s_mov_b32 s10, 0
.LBB23_1465:
	s_andn2_b32 vcc_lo, exec_lo, s10
	s_cbranch_vccnz .LBB23_1473
; %bb.1466:
	global_load_ubyte v13, v[0:1], off
	s_mov_b32 s10, 0
	s_mov_b32 s11, exec_lo
	s_waitcnt vmcnt(0)
	v_cmpx_lt_i16_e32 0x7f, v13
	s_xor_b32 s11, exec_lo, s11
	s_cbranch_execz .LBB23_1487
; %bb.1467:
	s_mov_b32 s10, -1
	s_mov_b32 s16, exec_lo
	v_cmpx_eq_u16_e32 0x80, v13
; %bb.1468:
	s_xor_b32 s10, exec_lo, -1
; %bb.1469:
	s_or_b32 exec_lo, exec_lo, s16
	s_and_b32 s10, s10, exec_lo
	s_or_saveexec_b32 s11, s11
	v_mov_b32_e32 v6, 0x7e00
	s_xor_b32 exec_lo, exec_lo, s11
	s_cbranch_execnz .LBB23_1488
.LBB23_1470:
	s_or_b32 exec_lo, exec_lo, s11
	s_and_saveexec_b32 s11, s10
	s_cbranch_execz .LBB23_1472
.LBB23_1471:
	v_and_b32_e32 v6, 0xffff, v13
	v_lshlrev_b32_e32 v13, 24, v13
	v_and_b32_e32 v14, 7, v6
	v_bfe_u32 v17, v6, 3, 4
	v_and_b32_e32 v13, 0x80000000, v13
	v_ffbh_u32_e32 v15, v14
	v_cmp_eq_u32_e32 vcc_lo, 0, v17
	v_min_u32_e32 v15, 32, v15
	v_subrev_nc_u32_e32 v16, 28, v15
	v_sub_nc_u32_e32 v15, 29, v15
	v_lshlrev_b32_e32 v6, v16, v6
	v_cndmask_b32_e32 v15, v17, v15, vcc_lo
	v_and_b32_e32 v6, 7, v6
	v_cndmask_b32_e32 v6, v14, v6, vcc_lo
	v_lshl_add_u32 v14, v15, 23, 0x3b800000
	v_lshlrev_b32_e32 v6, 20, v6
	v_or3_b32 v6, v13, v14, v6
	v_cvt_f16_f32_e32 v6, v6
.LBB23_1472:
	s_or_b32 exec_lo, exec_lo, s11
.LBB23_1473:
	s_mov_b32 s10, -1
.LBB23_1474:
	s_mov_b32 s11, 0
.LBB23_1475:
	s_and_b32 vcc_lo, exec_lo, s11
	s_cbranch_vccz .LBB23_1508
; %bb.1476:
	s_cmp_gt_i32 s0, 22
	s_cbranch_scc0 .LBB23_1486
; %bb.1477:
	s_cmp_lt_i32 s0, 24
	s_cbranch_scc1 .LBB23_1489
; %bb.1478:
	s_cmp_gt_i32 s0, 24
	s_cbranch_scc0 .LBB23_1490
; %bb.1479:
	global_load_ubyte v13, v[0:1], off
	s_mov_b32 s10, exec_lo
	s_waitcnt vmcnt(0)
	v_cmpx_lt_i16_e32 0x7f, v13
	s_xor_b32 s10, exec_lo, s10
	s_cbranch_execz .LBB23_1502
; %bb.1480:
	s_mov_b32 s5, -1
	s_mov_b32 s11, exec_lo
	v_cmpx_eq_u16_e32 0x80, v13
; %bb.1481:
	s_xor_b32 s5, exec_lo, -1
; %bb.1482:
	s_or_b32 exec_lo, exec_lo, s11
	s_and_b32 s5, s5, exec_lo
	s_or_saveexec_b32 s10, s10
	v_mov_b32_e32 v6, 0x7e00
	s_xor_b32 exec_lo, exec_lo, s10
	s_cbranch_execnz .LBB23_1503
.LBB23_1483:
	s_or_b32 exec_lo, exec_lo, s10
	s_and_saveexec_b32 s10, s5
	s_cbranch_execz .LBB23_1485
.LBB23_1484:
	v_and_b32_e32 v6, 0xffff, v13
	v_lshlrev_b32_e32 v13, 24, v13
	v_and_b32_e32 v14, 3, v6
	v_bfe_u32 v17, v6, 2, 5
	v_and_b32_e32 v13, 0x80000000, v13
	v_ffbh_u32_e32 v15, v14
	v_cmp_eq_u32_e32 vcc_lo, 0, v17
	v_min_u32_e32 v15, 32, v15
	v_subrev_nc_u32_e32 v16, 29, v15
	v_sub_nc_u32_e32 v15, 30, v15
	v_lshlrev_b32_e32 v6, v16, v6
	v_cndmask_b32_e32 v15, v17, v15, vcc_lo
	v_and_b32_e32 v6, 3, v6
	v_cndmask_b32_e32 v6, v14, v6, vcc_lo
	v_lshl_add_u32 v14, v15, 23, 0x37800000
	v_lshlrev_b32_e32 v6, 21, v6
	v_or3_b32 v6, v13, v14, v6
	v_cvt_f16_f32_e32 v6, v6
.LBB23_1485:
	s_or_b32 exec_lo, exec_lo, s10
	s_mov_b32 s5, 0
	s_branch .LBB23_1491
.LBB23_1486:
	s_mov_b32 s5, -1
                                        ; implicit-def: $vgpr6
	s_branch .LBB23_1497
.LBB23_1487:
	s_or_saveexec_b32 s11, s11
	v_mov_b32_e32 v6, 0x7e00
	s_xor_b32 exec_lo, exec_lo, s11
	s_cbranch_execz .LBB23_1470
.LBB23_1488:
	v_cmp_ne_u16_e32 vcc_lo, 0, v13
	v_mov_b32_e32 v6, v13
	s_andn2_b32 s10, s10, exec_lo
	s_and_b32 s16, vcc_lo, exec_lo
	s_or_b32 s10, s10, s16
	s_or_b32 exec_lo, exec_lo, s11
	s_and_saveexec_b32 s11, s10
	s_cbranch_execnz .LBB23_1471
	s_branch .LBB23_1472
.LBB23_1489:
	s_mov_b32 s5, -1
                                        ; implicit-def: $vgpr6
	s_branch .LBB23_1494
.LBB23_1490:
	s_mov_b32 s5, -1
                                        ; implicit-def: $vgpr6
.LBB23_1491:
	s_and_b32 vcc_lo, exec_lo, s5
	s_cbranch_vccz .LBB23_1493
; %bb.1492:
	global_load_ubyte v6, v[0:1], off
	s_waitcnt vmcnt(0)
	v_lshlrev_b32_e32 v6, 24, v6
	v_and_b32_e32 v13, 0x7f000000, v6
	v_ffbh_u32_e32 v14, v13
	v_add_nc_u32_e32 v16, 0x1000000, v13
	v_cmp_ne_u32_e32 vcc_lo, 0, v13
	v_min_u32_e32 v14, 32, v14
	v_sub_nc_u32_e64 v14, v14, 4 clamp
	v_lshlrev_b32_e32 v15, v14, v13
	v_lshlrev_b32_e32 v14, 23, v14
	v_lshrrev_b32_e32 v15, 4, v15
	v_sub_nc_u32_e32 v14, v15, v14
	v_ashrrev_i32_e32 v15, 8, v16
	v_add_nc_u32_e32 v14, 0x3c000000, v14
	v_and_or_b32 v14, 0x7f800000, v15, v14
	v_cndmask_b32_e32 v13, 0, v14, vcc_lo
	v_and_or_b32 v6, 0x80000000, v6, v13
	v_cvt_f16_f32_e32 v6, v6
.LBB23_1493:
	s_mov_b32 s5, 0
.LBB23_1494:
	s_andn2_b32 vcc_lo, exec_lo, s5
	s_cbranch_vccnz .LBB23_1496
; %bb.1495:
	global_load_ubyte v6, v[0:1], off
	s_waitcnt vmcnt(0)
	v_lshlrev_b32_e32 v13, 25, v6
	v_lshlrev_b16 v6, 8, v6
	v_lshrrev_b32_e32 v14, 4, v13
	v_and_or_b32 v15, 0x7f00, v6, 0.5
	v_cmp_gt_u32_e32 vcc_lo, 0x8000000, v13
	v_bfe_i32 v6, v6, 0, 16
	v_or_b32_e32 v14, 0x70000000, v14
	v_add_f32_e32 v15, -0.5, v15
	v_mul_f32_e32 v14, 0x7800000, v14
	v_cndmask_b32_e32 v13, v14, v15, vcc_lo
	v_and_or_b32 v6, 0x80000000, v6, v13
	v_cvt_f16_f32_e32 v6, v6
.LBB23_1496:
	s_mov_b32 s5, 0
	s_mov_b32 s10, -1
.LBB23_1497:
	s_andn2_b32 vcc_lo, exec_lo, s5
	s_mov_b32 s5, 0
	s_cbranch_vccnz .LBB23_1508
; %bb.1498:
	s_cmp_gt_i32 s0, 14
	s_cbranch_scc0 .LBB23_1501
; %bb.1499:
	s_cmp_eq_u32 s0, 15
	s_cbranch_scc0 .LBB23_1504
; %bb.1500:
	global_load_ushort v6, v[0:1], off
	s_mov_b32 s3, 0
	s_mov_b32 s10, -1
	s_waitcnt vmcnt(0)
	v_lshlrev_b32_e32 v6, 16, v6
	v_cvt_f16_f32_e32 v6, v6
	s_branch .LBB23_1506
.LBB23_1501:
	s_mov_b32 s5, -1
	s_branch .LBB23_1505
.LBB23_1502:
	s_or_saveexec_b32 s10, s10
	v_mov_b32_e32 v6, 0x7e00
	s_xor_b32 exec_lo, exec_lo, s10
	s_cbranch_execz .LBB23_1483
.LBB23_1503:
	v_cmp_ne_u16_e32 vcc_lo, 0, v13
	v_mov_b32_e32 v6, v13
	s_andn2_b32 s5, s5, exec_lo
	s_and_b32 s11, vcc_lo, exec_lo
	s_or_b32 s5, s5, s11
	s_or_b32 exec_lo, exec_lo, s10
	s_and_saveexec_b32 s10, s5
	s_cbranch_execnz .LBB23_1484
	s_branch .LBB23_1485
.LBB23_1504:
	s_mov_b32 s3, -1
.LBB23_1505:
                                        ; implicit-def: $vgpr6
.LBB23_1506:
	s_and_b32 vcc_lo, exec_lo, s5
	s_mov_b32 s5, 0
	s_cbranch_vccz .LBB23_1508
; %bb.1507:
	s_cmp_lg_u32 s0, 11
	s_mov_b32 s5, -1
	s_cselect_b32 s3, -1, 0
.LBB23_1508:
	s_and_b32 vcc_lo, exec_lo, s3
	s_cbranch_vccnz .LBB23_2043
; %bb.1509:
	s_andn2_b32 vcc_lo, exec_lo, s5
	s_cbranch_vccnz .LBB23_1511
.LBB23_1510:
	global_load_ubyte v6, v[0:1], off
	s_mov_b32 s10, -1
	s_waitcnt vmcnt(0)
	v_cmp_ne_u16_e32 vcc_lo, 0, v6
	v_cndmask_b32_e64 v6, 0, 0x3c00, vcc_lo
.LBB23_1511:
	s_mov_b32 s3, 0
.LBB23_1512:
	s_and_b32 vcc_lo, exec_lo, s3
	s_cbranch_vccz .LBB23_1561
; %bb.1513:
	s_cmp_lt_i32 s0, 5
	s_cbranch_scc1 .LBB23_1518
; %bb.1514:
	s_cmp_lt_i32 s0, 8
	s_cbranch_scc1 .LBB23_1519
	;; [unrolled: 3-line block ×3, first 2 shown]
; %bb.1516:
	s_cmp_gt_i32 s0, 9
	s_cbranch_scc0 .LBB23_1521
; %bb.1517:
	global_load_dwordx2 v[13:14], v[0:1], off
	s_mov_b32 s3, 0
	s_waitcnt vmcnt(0)
	v_and_or_b32 v6, 0x1ff, v14, v13
	v_lshrrev_b32_e32 v13, 8, v14
	v_bfe_u32 v15, v14, 20, 11
	v_cmp_ne_u32_e32 vcc_lo, 0, v6
	v_sub_nc_u32_e32 v16, 0x3f1, v15
	v_add_nc_u32_e32 v15, 0xfffffc10, v15
	v_cndmask_b32_e64 v6, 0, 1, vcc_lo
	v_and_or_b32 v6, 0xffe, v13, v6
	v_med3_i32 v13, v16, 0, 13
	v_or_b32_e32 v16, 0x1000, v6
	v_lshrrev_b32_e32 v17, v13, v16
	v_lshlrev_b32_e32 v13, v13, v17
	v_cmp_ne_u32_e32 vcc_lo, v13, v16
	v_lshl_or_b32 v16, v15, 12, v6
	v_cndmask_b32_e64 v13, 0, 1, vcc_lo
	v_cmp_gt_i32_e32 vcc_lo, 1, v15
	v_or_b32_e32 v13, v17, v13
	v_cndmask_b32_e32 v13, v16, v13, vcc_lo
	v_and_b32_e32 v16, 7, v13
	v_lshrrev_b32_e32 v13, 2, v13
	v_cmp_lt_i32_e32 vcc_lo, 5, v16
	v_cndmask_b32_e64 v17, 0, 1, vcc_lo
	v_cmp_eq_u32_e32 vcc_lo, 3, v16
	v_cndmask_b32_e64 v16, 0, 1, vcc_lo
	v_cmp_ne_u32_e32 vcc_lo, 0, v6
	v_or_b32_e32 v16, v16, v17
	v_mov_b32_e32 v17, 0x7e00
	v_add_nc_u32_e32 v13, v13, v16
	v_cndmask_b32_e32 v6, 0x7c00, v17, vcc_lo
	v_cmp_gt_i32_e32 vcc_lo, 31, v15
	v_cndmask_b32_e32 v13, 0x7c00, v13, vcc_lo
	v_cmp_eq_u32_e32 vcc_lo, 0x40f, v15
	v_cndmask_b32_e32 v6, v13, v6, vcc_lo
	v_lshrrev_b32_e32 v13, 16, v14
	v_and_or_b32 v6, 0x8000, v13, v6
	s_branch .LBB23_1522
.LBB23_1518:
	s_mov_b32 s3, -1
                                        ; implicit-def: $vgpr6
	s_branch .LBB23_1540
.LBB23_1519:
	s_mov_b32 s3, -1
                                        ; implicit-def: $vgpr6
	s_branch .LBB23_1528
.LBB23_1520:
	s_mov_b32 s3, -1
                                        ; implicit-def: $vgpr6
	s_branch .LBB23_1525
.LBB23_1521:
	s_mov_b32 s3, -1
                                        ; implicit-def: $vgpr6
.LBB23_1522:
	s_andn2_b32 vcc_lo, exec_lo, s3
	s_cbranch_vccnz .LBB23_1524
; %bb.1523:
	global_load_dword v6, v[0:1], off
	s_waitcnt vmcnt(0)
	v_cvt_f16_f32_e32 v6, v6
.LBB23_1524:
	s_mov_b32 s3, 0
.LBB23_1525:
	s_andn2_b32 vcc_lo, exec_lo, s3
	s_cbranch_vccnz .LBB23_1527
; %bb.1526:
	global_load_dword v6, v[0:1], off
.LBB23_1527:
	s_mov_b32 s3, 0
.LBB23_1528:
	s_andn2_b32 vcc_lo, exec_lo, s3
	s_cbranch_vccnz .LBB23_1539
; %bb.1529:
	s_cmp_lt_i32 s0, 6
	s_cbranch_scc1 .LBB23_1532
; %bb.1530:
	s_cmp_gt_i32 s0, 6
	s_cbranch_scc0 .LBB23_1533
; %bb.1531:
	global_load_dwordx2 v[13:14], v[0:1], off
	s_mov_b32 s3, 0
	s_waitcnt vmcnt(0)
	v_and_or_b32 v6, 0x1ff, v14, v13
	v_lshrrev_b32_e32 v13, 8, v14
	v_bfe_u32 v15, v14, 20, 11
	v_cmp_ne_u32_e32 vcc_lo, 0, v6
	v_sub_nc_u32_e32 v16, 0x3f1, v15
	v_add_nc_u32_e32 v15, 0xfffffc10, v15
	v_cndmask_b32_e64 v6, 0, 1, vcc_lo
	v_and_or_b32 v6, 0xffe, v13, v6
	v_med3_i32 v13, v16, 0, 13
	v_or_b32_e32 v16, 0x1000, v6
	v_lshrrev_b32_e32 v17, v13, v16
	v_lshlrev_b32_e32 v13, v13, v17
	v_cmp_ne_u32_e32 vcc_lo, v13, v16
	v_lshl_or_b32 v16, v15, 12, v6
	v_cndmask_b32_e64 v13, 0, 1, vcc_lo
	v_cmp_gt_i32_e32 vcc_lo, 1, v15
	v_or_b32_e32 v13, v17, v13
	v_cndmask_b32_e32 v13, v16, v13, vcc_lo
	v_and_b32_e32 v16, 7, v13
	v_lshrrev_b32_e32 v13, 2, v13
	v_cmp_lt_i32_e32 vcc_lo, 5, v16
	v_cndmask_b32_e64 v17, 0, 1, vcc_lo
	v_cmp_eq_u32_e32 vcc_lo, 3, v16
	v_cndmask_b32_e64 v16, 0, 1, vcc_lo
	v_cmp_ne_u32_e32 vcc_lo, 0, v6
	v_or_b32_e32 v16, v16, v17
	v_mov_b32_e32 v17, 0x7e00
	v_add_nc_u32_e32 v13, v13, v16
	v_cndmask_b32_e32 v6, 0x7c00, v17, vcc_lo
	v_cmp_gt_i32_e32 vcc_lo, 31, v15
	v_cndmask_b32_e32 v13, 0x7c00, v13, vcc_lo
	v_cmp_eq_u32_e32 vcc_lo, 0x40f, v15
	v_cndmask_b32_e32 v6, v13, v6, vcc_lo
	v_lshrrev_b32_e32 v13, 16, v14
	v_and_or_b32 v6, 0x8000, v13, v6
	s_branch .LBB23_1534
.LBB23_1532:
	s_mov_b32 s3, -1
                                        ; implicit-def: $vgpr6
	s_branch .LBB23_1537
.LBB23_1533:
	s_mov_b32 s3, -1
                                        ; implicit-def: $vgpr6
.LBB23_1534:
	s_andn2_b32 vcc_lo, exec_lo, s3
	s_cbranch_vccnz .LBB23_1536
; %bb.1535:
	global_load_dword v6, v[0:1], off
	s_waitcnt vmcnt(0)
	v_cvt_f16_f32_e32 v6, v6
.LBB23_1536:
	s_mov_b32 s3, 0
.LBB23_1537:
	s_andn2_b32 vcc_lo, exec_lo, s3
	s_cbranch_vccnz .LBB23_1539
; %bb.1538:
	global_load_ushort v6, v[0:1], off
.LBB23_1539:
	s_mov_b32 s3, 0
.LBB23_1540:
	s_andn2_b32 vcc_lo, exec_lo, s3
	s_cbranch_vccnz .LBB23_1560
; %bb.1541:
	s_cmp_lt_i32 s0, 2
	s_cbranch_scc1 .LBB23_1545
; %bb.1542:
	s_cmp_lt_i32 s0, 3
	s_cbranch_scc1 .LBB23_1546
; %bb.1543:
	s_cmp_gt_i32 s0, 3
	s_cbranch_scc0 .LBB23_1547
; %bb.1544:
	global_load_dwordx2 v[13:14], v[0:1], off
	s_mov_b32 s3, 0
	s_waitcnt vmcnt(0)
	v_xor_b32_e32 v6, v13, v14
	v_ffbh_i32_e32 v15, v14
	v_ashrrev_i32_e32 v6, 31, v6
	v_add_nc_u32_e32 v15, -1, v15
	v_add_nc_u32_e32 v6, 32, v6
	v_min_u32_e32 v6, v15, v6
	v_lshlrev_b64 v[13:14], v6, v[13:14]
	v_sub_nc_u32_e32 v6, 32, v6
	v_min_u32_e32 v13, 1, v13
	v_or_b32_e32 v13, v14, v13
	v_cvt_f32_i32_e32 v13, v13
	v_ldexp_f32 v6, v13, v6
	v_cvt_f16_f32_e32 v6, v6
	s_branch .LBB23_1548
.LBB23_1545:
	s_mov_b32 s3, -1
                                        ; implicit-def: $vgpr6
	s_branch .LBB23_1554
.LBB23_1546:
	s_mov_b32 s3, -1
                                        ; implicit-def: $vgpr6
	s_branch .LBB23_1551
.LBB23_1547:
	s_mov_b32 s3, -1
                                        ; implicit-def: $vgpr6
.LBB23_1548:
	s_andn2_b32 vcc_lo, exec_lo, s3
	s_cbranch_vccnz .LBB23_1550
; %bb.1549:
	global_load_dword v6, v[0:1], off
	s_waitcnt vmcnt(0)
	v_cvt_f32_i32_e32 v6, v6
	v_cvt_f16_f32_e32 v6, v6
.LBB23_1550:
	s_mov_b32 s3, 0
.LBB23_1551:
	s_andn2_b32 vcc_lo, exec_lo, s3
	s_cbranch_vccnz .LBB23_1553
; %bb.1552:
	global_load_ushort v6, v[0:1], off
	s_waitcnt vmcnt(0)
	v_cvt_f16_i16_e32 v6, v6
.LBB23_1553:
	s_mov_b32 s3, 0
.LBB23_1554:
	s_andn2_b32 vcc_lo, exec_lo, s3
	s_cbranch_vccnz .LBB23_1560
; %bb.1555:
	s_cmp_gt_i32 s0, 0
	s_mov_b32 s0, 0
	s_cbranch_scc0 .LBB23_1557
; %bb.1556:
	global_load_sbyte v6, v[0:1], off
	s_waitcnt vmcnt(0)
	v_cvt_f16_i16_e32 v6, v6
	s_branch .LBB23_1558
.LBB23_1557:
	s_mov_b32 s0, -1
                                        ; implicit-def: $vgpr6
.LBB23_1558:
	s_andn2_b32 vcc_lo, exec_lo, s0
	s_cbranch_vccnz .LBB23_1560
; %bb.1559:
	global_load_ubyte v0, v[0:1], off
	s_waitcnt vmcnt(0)
	v_cvt_f16_u16_e32 v6, v0
.LBB23_1560:
	s_mov_b32 s10, -1
.LBB23_1561:
	s_andn2_b32 vcc_lo, exec_lo, s10
	s_cbranch_vccnz .LBB23_1997
; %bb.1562:
	s_waitcnt vmcnt(0)
	v_cvt_f32_f16_e32 v13, v6
	v_mov_b32_e32 v14, v12
	s_mov_b32 s0, exec_lo
	v_cmpx_nlg_f32_e64 0x7f800000, |v13|
	s_cbranch_execz .LBB23_1564
; %bb.1563:
	v_mov_b32_e32 v0, 0
	v_mov_b32_e32 v1, 1.0
	global_store_dword v0, v1, s[12:13]
	global_load_dword v14, v0, s[14:15]
.LBB23_1564:
	s_or_b32 exec_lo, exec_lo, s0
	v_mul_lo_u32 v2, s2, v2
	v_fma_mixlo_f16 v0, v8, v7, 0
	v_cmp_eq_f32_e32 vcc_lo, 1.0, v8
	s_and_b32 s16, s1, 0xff
	s_cmp_lt_i32 s16, 11
	v_cndmask_b32_e32 v3, v0, v3, vcc_lo
	v_ashrrev_i32_e32 v1, 31, v2
	v_add_co_u32 v0, vcc_lo, s8, v2
	v_add_co_ci_u32_e64 v1, null, s9, v1, vcc_lo
	s_cbranch_scc1 .LBB23_1642
; %bb.1565:
	s_and_b32 s1, 0xffff, s16
	s_mov_b32 s10, -1
	s_mov_b32 s3, 0
	s_cmp_gt_i32 s1, 25
	s_mov_b32 s5, 0
	s_mov_b32 s0, 0
	s_cbranch_scc0 .LBB23_1598
; %bb.1566:
	s_cmp_gt_i32 s1, 28
	s_cbranch_scc0 .LBB23_1581
; %bb.1567:
	s_cmp_gt_i32 s1, 43
	;; [unrolled: 3-line block ×3, first 2 shown]
	s_cbranch_scc0 .LBB23_1571
; %bb.1569:
	s_mov_b32 s0, -1
	s_mov_b32 s10, 0
	s_cmp_eq_u32 s1, 46
	s_cbranch_scc0 .LBB23_1571
; %bb.1570:
	v_cvt_f32_f16_e32 v7, v3
	v_cmp_o_f16_e32 vcc_lo, v3, v3
	s_mov_b32 s0, 0
	s_mov_b32 s5, -1
	v_bfe_u32 v8, v7, 16, 1
	v_add3_u32 v7, v7, v8, 0x7fff
	v_mov_b32_e32 v8, 0x7fc0
	v_cndmask_b32_sdwa v7, v8, v7, vcc_lo dst_sel:DWORD dst_unused:UNUSED_PAD src0_sel:DWORD src1_sel:WORD_1
	global_store_dword v[0:1], v7, off
.LBB23_1571:
	s_and_b32 vcc_lo, exec_lo, s10
	s_cbranch_vccz .LBB23_1576
; %bb.1572:
	s_cmp_eq_u32 s1, 44
	s_mov_b32 s0, -1
	s_cbranch_scc0 .LBB23_1576
; %bb.1573:
	v_cvt_f32_f16_e32 v7, v3
	v_mov_b32_e32 v8, 0xff
	s_mov_b32 s5, exec_lo
	v_bfe_u32 v15, v7, 23, 8
	v_cmpx_ne_u32_e32 0xff, v15
	s_cbranch_execz .LBB23_1575
; %bb.1574:
	v_and_b32_e32 v8, 0x400000, v7
	v_and_or_b32 v15, 0x3fffff, v7, v15
	v_lshrrev_b32_e32 v7, 23, v7
	v_cmp_ne_u32_e32 vcc_lo, 0, v8
	v_cmp_ne_u32_e64 s0, 0, v15
	s_and_b32 s0, vcc_lo, s0
	v_cndmask_b32_e64 v8, 0, 1, s0
	v_add_nc_u32_e32 v8, v7, v8
.LBB23_1575:
	s_or_b32 exec_lo, exec_lo, s5
	s_mov_b32 s0, 0
	s_mov_b32 s5, -1
	global_store_byte v[0:1], v8, off
.LBB23_1576:
	s_mov_b32 s10, 0
.LBB23_1577:
	s_and_b32 vcc_lo, exec_lo, s10
	s_cbranch_vccz .LBB23_1580
; %bb.1578:
	s_cmp_eq_u32 s1, 29
	s_mov_b32 s0, -1
	s_cbranch_scc0 .LBB23_1580
; %bb.1579:
	v_cvt_f32_f16_e32 v7, v3
	v_mov_b32_e32 v8, 0
	s_mov_b32 s0, 0
	s_mov_b32 s5, -1
	v_cvt_u32_f32_e32 v7, v7
	global_store_dwordx2 v[0:1], v[7:8], off
.LBB23_1580:
	s_mov_b32 s10, 0
.LBB23_1581:
	s_and_b32 vcc_lo, exec_lo, s10
	s_cbranch_vccz .LBB23_1597
; %bb.1582:
	s_cmp_lt_i32 s1, 27
	s_mov_b32 s5, -1
	s_cbranch_scc1 .LBB23_1588
; %bb.1583:
	s_cmp_gt_i32 s1, 27
	s_cbranch_scc0 .LBB23_1585
; %bb.1584:
	v_cvt_f32_f16_e32 v7, v3
	s_mov_b32 s5, 0
	v_cvt_u32_f32_e32 v7, v7
	global_store_dword v[0:1], v7, off
.LBB23_1585:
	s_andn2_b32 vcc_lo, exec_lo, s5
	s_cbranch_vccnz .LBB23_1587
; %bb.1586:
	v_cvt_u16_f16_e32 v7, v3
	global_store_short v[0:1], v7, off
.LBB23_1587:
	s_mov_b32 s5, 0
.LBB23_1588:
	s_andn2_b32 vcc_lo, exec_lo, s5
	s_cbranch_vccnz .LBB23_1596
; %bb.1589:
	v_cvt_f32_f16_e32 v7, v3
	v_mov_b32_e32 v15, 0x80
	s_mov_b32 s5, exec_lo
	v_and_b32_e32 v8, 0x7fffffff, v7
	v_cmpx_gt_u32_e32 0x43800000, v8
	s_cbranch_execz .LBB23_1595
; %bb.1590:
	v_cmp_lt_u32_e32 vcc_lo, 0x3bffffff, v8
	s_mov_b32 s10, 0
                                        ; implicit-def: $vgpr8
	s_and_saveexec_b32 s11, vcc_lo
	s_xor_b32 s11, exec_lo, s11
	s_cbranch_execz .LBB23_2044
; %bb.1591:
	v_bfe_u32 v8, v7, 20, 1
	s_mov_b32 s10, exec_lo
	v_add3_u32 v8, v7, v8, 0x487ffff
	v_lshrrev_b32_e32 v8, 20, v8
	s_andn2_saveexec_b32 s11, s11
	s_cbranch_execnz .LBB23_2045
.LBB23_1592:
	s_or_b32 exec_lo, exec_lo, s11
	v_mov_b32_e32 v15, 0
	s_and_saveexec_b32 s11, s10
.LBB23_1593:
	v_lshrrev_b32_e32 v7, 24, v7
	v_and_or_b32 v15, 0x80, v7, v8
.LBB23_1594:
	s_or_b32 exec_lo, exec_lo, s11
.LBB23_1595:
	s_or_b32 exec_lo, exec_lo, s5
	global_store_byte v[0:1], v15, off
.LBB23_1596:
	s_mov_b32 s5, -1
.LBB23_1597:
	s_mov_b32 s10, 0
.LBB23_1598:
	s_and_b32 vcc_lo, exec_lo, s10
	s_cbranch_vccz .LBB23_1638
; %bb.1599:
	s_cmp_gt_i32 s1, 22
	s_mov_b32 s3, -1
	s_cbranch_scc0 .LBB23_1631
; %bb.1600:
	s_cmp_lt_i32 s1, 24
	s_cbranch_scc1 .LBB23_1620
; %bb.1601:
	s_cmp_gt_i32 s1, 24
	s_cbranch_scc0 .LBB23_1609
; %bb.1602:
	v_cvt_f32_f16_e32 v7, v3
	v_mov_b32_e32 v15, 0x80
	s_mov_b32 s3, exec_lo
	v_and_b32_e32 v8, 0x7fffffff, v7
	v_cmpx_gt_u32_e32 0x47800000, v8
	s_cbranch_execz .LBB23_1608
; %bb.1603:
	v_cmp_lt_u32_e32 vcc_lo, 0x37ffffff, v8
	s_mov_b32 s5, 0
                                        ; implicit-def: $vgpr8
	s_and_saveexec_b32 s10, vcc_lo
	s_xor_b32 s10, exec_lo, s10
	s_cbranch_execz .LBB23_2047
; %bb.1604:
	v_bfe_u32 v8, v7, 21, 1
	s_mov_b32 s5, exec_lo
	v_add3_u32 v8, v7, v8, 0x88fffff
	v_lshrrev_b32_e32 v8, 21, v8
	s_andn2_saveexec_b32 s10, s10
	s_cbranch_execnz .LBB23_2048
.LBB23_1605:
	s_or_b32 exec_lo, exec_lo, s10
	v_mov_b32_e32 v15, 0
	s_and_saveexec_b32 s10, s5
.LBB23_1606:
	v_lshrrev_b32_e32 v7, 24, v7
	v_and_or_b32 v15, 0x80, v7, v8
.LBB23_1607:
	s_or_b32 exec_lo, exec_lo, s10
.LBB23_1608:
	s_or_b32 exec_lo, exec_lo, s3
	s_mov_b32 s3, 0
	global_store_byte v[0:1], v15, off
.LBB23_1609:
	s_and_b32 vcc_lo, exec_lo, s3
	s_cbranch_vccz .LBB23_1619
; %bb.1610:
	v_cvt_f32_f16_e32 v7, v3
	s_mov_b32 s3, exec_lo
                                        ; implicit-def: $vgpr8
	v_and_b32_e32 v15, 0x7fffffff, v7
	v_cmpx_gt_u32_e32 0x43f00000, v15
	s_xor_b32 s3, exec_lo, s3
	s_cbranch_execz .LBB23_1616
; %bb.1611:
	s_mov_b32 s5, exec_lo
                                        ; implicit-def: $vgpr8
	v_cmpx_lt_u32_e32 0x3c7fffff, v15
	s_xor_b32 s5, exec_lo, s5
; %bb.1612:
	v_bfe_u32 v8, v7, 20, 1
	v_add3_u32 v8, v7, v8, 0x407ffff
	v_and_b32_e32 v15, 0xff00000, v8
	v_lshrrev_b32_e32 v8, 20, v8
	v_cmp_ne_u32_e32 vcc_lo, 0x7f00000, v15
	v_cndmask_b32_e32 v8, 0x7e, v8, vcc_lo
; %bb.1613:
	s_andn2_saveexec_b32 s5, s5
; %bb.1614:
	v_add_f32_e64 v8, 0x46800000, |v7|
; %bb.1615:
	s_or_b32 exec_lo, exec_lo, s5
                                        ; implicit-def: $vgpr15
.LBB23_1616:
	s_andn2_saveexec_b32 s3, s3
; %bb.1617:
	v_mov_b32_e32 v8, 0x7f
	v_cmp_lt_u32_e32 vcc_lo, 0x7f800000, v15
	v_cndmask_b32_e32 v8, 0x7e, v8, vcc_lo
; %bb.1618:
	s_or_b32 exec_lo, exec_lo, s3
	v_lshrrev_b32_e32 v7, 24, v7
	v_and_or_b32 v7, 0x80, v7, v8
	global_store_byte v[0:1], v7, off
.LBB23_1619:
	s_mov_b32 s3, 0
.LBB23_1620:
	s_andn2_b32 vcc_lo, exec_lo, s3
	s_cbranch_vccnz .LBB23_1630
; %bb.1621:
	v_cvt_f32_f16_e32 v7, v3
	s_mov_b32 s3, exec_lo
                                        ; implicit-def: $vgpr8
	v_and_b32_e32 v15, 0x7fffffff, v7
	v_cmpx_gt_u32_e32 0x47800000, v15
	s_xor_b32 s3, exec_lo, s3
	s_cbranch_execz .LBB23_1627
; %bb.1622:
	s_mov_b32 s5, exec_lo
                                        ; implicit-def: $vgpr8
	v_cmpx_lt_u32_e32 0x387fffff, v15
	s_xor_b32 s5, exec_lo, s5
; %bb.1623:
	v_bfe_u32 v8, v7, 21, 1
	v_add3_u32 v8, v7, v8, 0x80fffff
	v_lshrrev_b32_e32 v8, 21, v8
; %bb.1624:
	s_andn2_saveexec_b32 s5, s5
; %bb.1625:
	v_add_f32_e64 v8, 0x43000000, |v7|
; %bb.1626:
	s_or_b32 exec_lo, exec_lo, s5
                                        ; implicit-def: $vgpr15
.LBB23_1627:
	s_andn2_saveexec_b32 s3, s3
; %bb.1628:
	v_mov_b32_e32 v8, 0x7f
	v_cmp_lt_u32_e32 vcc_lo, 0x7f800000, v15
	v_cndmask_b32_e32 v8, 0x7c, v8, vcc_lo
; %bb.1629:
	s_or_b32 exec_lo, exec_lo, s3
	v_lshrrev_b32_e32 v7, 24, v7
	v_and_or_b32 v7, 0x80, v7, v8
	global_store_byte v[0:1], v7, off
.LBB23_1630:
	s_mov_b32 s3, 0
	s_mov_b32 s5, -1
.LBB23_1631:
	s_andn2_b32 vcc_lo, exec_lo, s3
	s_mov_b32 s3, 0
	s_cbranch_vccnz .LBB23_1638
; %bb.1632:
	s_cmp_gt_i32 s1, 14
	s_mov_b32 s3, -1
	s_cbranch_scc0 .LBB23_1636
; %bb.1633:
	s_cmp_eq_u32 s1, 15
	s_mov_b32 s0, -1
	s_cbranch_scc0 .LBB23_1635
; %bb.1634:
	v_cvt_f32_f16_e32 v7, v3
	v_cmp_o_f16_e32 vcc_lo, v3, v3
	s_mov_b32 s0, 0
	s_mov_b32 s5, -1
	v_bfe_u32 v8, v7, 16, 1
	v_add3_u32 v7, v7, v8, 0x7fff
	v_mov_b32_e32 v8, 0x7fc0
	v_cndmask_b32_sdwa v7, v8, v7, vcc_lo dst_sel:DWORD dst_unused:UNUSED_PAD src0_sel:DWORD src1_sel:WORD_1
	global_store_short v[0:1], v7, off
.LBB23_1635:
	s_mov_b32 s3, 0
.LBB23_1636:
	s_and_b32 vcc_lo, exec_lo, s3
	s_mov_b32 s3, 0
	s_cbranch_vccz .LBB23_1638
; %bb.1637:
	s_cmp_lg_u32 s1, 11
	s_mov_b32 s3, -1
	s_cselect_b32 s0, -1, 0
.LBB23_1638:
	s_and_b32 vcc_lo, exec_lo, s0
	s_cbranch_vccnz .LBB23_2046
; %bb.1639:
	s_andn2_b32 vcc_lo, exec_lo, s3
	s_cbranch_vccnz .LBB23_1641
.LBB23_1640:
	v_and_b32_e32 v7, 0x7fff, v3
	s_mov_b32 s5, -1
	v_cmp_ne_u16_e32 vcc_lo, 0, v7
	v_cndmask_b32_e64 v7, 0, 1, vcc_lo
	global_store_byte v[0:1], v7, off
.LBB23_1641:
	s_mov_b32 s0, 0
	s_branch .LBB23_1643
.LBB23_1642:
	s_mov_b32 s0, -1
	s_mov_b32 s5, 0
.LBB23_1643:
	s_and_b32 vcc_lo, exec_lo, s0
	s_cbranch_vccz .LBB23_1682
; %bb.1644:
	s_and_b32 s0, 0xffff, s16
	s_mov_b32 s1, -1
	s_cmp_lt_i32 s0, 5
	s_cbranch_scc1 .LBB23_1665
; %bb.1645:
	s_cmp_lt_i32 s0, 8
	s_cbranch_scc1 .LBB23_1655
; %bb.1646:
	s_cmp_lt_i32 s0, 9
	s_cbranch_scc1 .LBB23_1652
; %bb.1647:
	s_cmp_gt_i32 s0, 9
	s_cbranch_scc0 .LBB23_1649
; %bb.1648:
	v_cvt_f32_f16_e32 v7, v3
	v_mov_b32_e32 v17, 0
	s_mov_b32 s1, 0
	v_cvt_f64_f32_e32 v[15:16], v7
	v_mov_b32_e32 v18, v17
	global_store_dwordx4 v[0:1], v[15:18], off
.LBB23_1649:
	s_andn2_b32 vcc_lo, exec_lo, s1
	s_cbranch_vccnz .LBB23_1651
; %bb.1650:
	v_cvt_f32_f16_e32 v7, v3
	v_mov_b32_e32 v8, 0
	global_store_dwordx2 v[0:1], v[7:8], off
.LBB23_1651:
	s_mov_b32 s1, 0
.LBB23_1652:
	s_andn2_b32 vcc_lo, exec_lo, s1
	s_cbranch_vccnz .LBB23_1654
; %bb.1653:
	v_and_b32_e32 v7, 0xffff, v3
	global_store_dword v[0:1], v7, off
.LBB23_1654:
	s_mov_b32 s1, 0
.LBB23_1655:
	s_andn2_b32 vcc_lo, exec_lo, s1
	s_cbranch_vccnz .LBB23_1664
; %bb.1656:
	s_cmp_lt_i32 s0, 6
	s_mov_b32 s1, -1
	s_cbranch_scc1 .LBB23_1662
; %bb.1657:
	s_cmp_gt_i32 s0, 6
	s_cbranch_scc0 .LBB23_1659
; %bb.1658:
	v_cvt_f32_f16_e32 v7, v3
	s_mov_b32 s1, 0
	v_cvt_f64_f32_e32 v[7:8], v7
	global_store_dwordx2 v[0:1], v[7:8], off
.LBB23_1659:
	s_andn2_b32 vcc_lo, exec_lo, s1
	s_cbranch_vccnz .LBB23_1661
; %bb.1660:
	v_cvt_f32_f16_e32 v7, v3
	global_store_dword v[0:1], v7, off
.LBB23_1661:
	s_mov_b32 s1, 0
.LBB23_1662:
	s_andn2_b32 vcc_lo, exec_lo, s1
	s_cbranch_vccnz .LBB23_1664
; %bb.1663:
	global_store_short v[0:1], v3, off
.LBB23_1664:
	s_mov_b32 s1, 0
.LBB23_1665:
	s_andn2_b32 vcc_lo, exec_lo, s1
	s_cbranch_vccnz .LBB23_1681
; %bb.1666:
	s_cmp_lt_i32 s0, 2
	s_mov_b32 s1, -1
	s_cbranch_scc1 .LBB23_1676
; %bb.1667:
	s_cmp_lt_i32 s0, 3
	s_cbranch_scc1 .LBB23_1673
; %bb.1668:
	s_cmp_gt_i32 s0, 3
	s_cbranch_scc0 .LBB23_1670
; %bb.1669:
	v_cvt_f32_f16_e32 v7, v3
	s_mov_b32 s1, 0
	v_cvt_i32_f32_e32 v7, v7
	v_ashrrev_i32_e32 v8, 31, v7
	global_store_dwordx2 v[0:1], v[7:8], off
.LBB23_1670:
	s_andn2_b32 vcc_lo, exec_lo, s1
	s_cbranch_vccnz .LBB23_1672
; %bb.1671:
	v_cvt_f32_f16_e32 v7, v3
	v_cvt_i32_f32_e32 v7, v7
	global_store_dword v[0:1], v7, off
.LBB23_1672:
	s_mov_b32 s1, 0
.LBB23_1673:
	s_andn2_b32 vcc_lo, exec_lo, s1
	s_cbranch_vccnz .LBB23_1675
; %bb.1674:
	v_cvt_i16_f16_e32 v7, v3
	global_store_short v[0:1], v7, off
.LBB23_1675:
	s_mov_b32 s1, 0
.LBB23_1676:
	s_andn2_b32 vcc_lo, exec_lo, s1
	s_cbranch_vccnz .LBB23_1681
; %bb.1677:
	s_cmp_gt_i32 s0, 0
	s_mov_b32 s0, -1
	s_cbranch_scc0 .LBB23_1679
; %bb.1678:
	v_cvt_i16_f16_e32 v7, v3
	s_mov_b32 s0, 0
	global_store_byte v[0:1], v7, off
.LBB23_1679:
	s_andn2_b32 vcc_lo, exec_lo, s0
	s_cbranch_vccnz .LBB23_1681
; %bb.1680:
	v_cvt_f32_f16_e32 v3, v3
	v_cvt_i32_f32_e32 v3, v3
	global_store_byte v[0:1], v3, off
.LBB23_1681:
	s_mov_b32 s5, -1
.LBB23_1682:
	s_andn2_b32 vcc_lo, exec_lo, s5
	s_cbranch_vccnz .LBB23_1997
; %bb.1683:
	s_lshl_b32 s1, s2, 7
	v_fma_mixlo_f16 v0, v10, v9, 0
	v_add_nc_u32_e32 v2, s1, v2
	v_cmp_eq_f32_e32 vcc_lo, 1.0, v10
	s_cmp_lt_i32 s16, 11
	v_ashrrev_i32_e32 v1, 31, v2
	v_cndmask_b32_e32 v3, v0, v4, vcc_lo
	v_add_co_u32 v0, vcc_lo, s8, v2
	v_add_co_ci_u32_e64 v1, null, s9, v1, vcc_lo
	s_cbranch_scc1 .LBB23_1761
; %bb.1684:
	s_and_b32 s2, 0xffff, s16
	s_mov_b32 s10, -1
	s_mov_b32 s3, 0
	s_cmp_gt_i32 s2, 25
	s_mov_b32 s5, 0
	s_mov_b32 s0, 0
	s_cbranch_scc0 .LBB23_1717
; %bb.1685:
	s_cmp_gt_i32 s2, 28
	s_cbranch_scc0 .LBB23_1700
; %bb.1686:
	s_cmp_gt_i32 s2, 43
	;; [unrolled: 3-line block ×3, first 2 shown]
	s_cbranch_scc0 .LBB23_1690
; %bb.1688:
	s_mov_b32 s0, -1
	s_mov_b32 s10, 0
	s_cmp_eq_u32 s2, 46
	s_cbranch_scc0 .LBB23_1690
; %bb.1689:
	v_cvt_f32_f16_e32 v4, v3
	v_cmp_o_f16_e32 vcc_lo, v3, v3
	s_mov_b32 s0, 0
	s_mov_b32 s5, -1
	v_bfe_u32 v7, v4, 16, 1
	v_add3_u32 v4, v4, v7, 0x7fff
	v_mov_b32_e32 v7, 0x7fc0
	v_cndmask_b32_sdwa v4, v7, v4, vcc_lo dst_sel:DWORD dst_unused:UNUSED_PAD src0_sel:DWORD src1_sel:WORD_1
	global_store_dword v[0:1], v4, off
.LBB23_1690:
	s_and_b32 vcc_lo, exec_lo, s10
	s_cbranch_vccz .LBB23_1695
; %bb.1691:
	s_cmp_eq_u32 s2, 44
	s_mov_b32 s0, -1
	s_cbranch_scc0 .LBB23_1695
; %bb.1692:
	v_cvt_f32_f16_e32 v4, v3
	v_mov_b32_e32 v7, 0xff
	s_mov_b32 s5, exec_lo
	v_bfe_u32 v8, v4, 23, 8
	v_cmpx_ne_u32_e32 0xff, v8
	s_cbranch_execz .LBB23_1694
; %bb.1693:
	v_and_b32_e32 v7, 0x400000, v4
	v_and_or_b32 v8, 0x3fffff, v4, v8
	v_lshrrev_b32_e32 v4, 23, v4
	v_cmp_ne_u32_e32 vcc_lo, 0, v7
	v_cmp_ne_u32_e64 s0, 0, v8
	s_and_b32 s0, vcc_lo, s0
	v_cndmask_b32_e64 v7, 0, 1, s0
	v_add_nc_u32_e32 v7, v4, v7
.LBB23_1694:
	s_or_b32 exec_lo, exec_lo, s5
	s_mov_b32 s0, 0
	s_mov_b32 s5, -1
	global_store_byte v[0:1], v7, off
.LBB23_1695:
	s_mov_b32 s10, 0
.LBB23_1696:
	s_and_b32 vcc_lo, exec_lo, s10
	s_cbranch_vccz .LBB23_1699
; %bb.1697:
	s_cmp_eq_u32 s2, 29
	s_mov_b32 s0, -1
	s_cbranch_scc0 .LBB23_1699
; %bb.1698:
	v_cvt_f32_f16_e32 v4, v3
	v_mov_b32_e32 v8, 0
	s_mov_b32 s0, 0
	s_mov_b32 s5, -1
	v_cvt_u32_f32_e32 v7, v4
	global_store_dwordx2 v[0:1], v[7:8], off
.LBB23_1699:
	s_mov_b32 s10, 0
.LBB23_1700:
	s_and_b32 vcc_lo, exec_lo, s10
	s_cbranch_vccz .LBB23_1716
; %bb.1701:
	s_cmp_lt_i32 s2, 27
	s_mov_b32 s5, -1
	s_cbranch_scc1 .LBB23_1707
; %bb.1702:
	s_cmp_gt_i32 s2, 27
	s_cbranch_scc0 .LBB23_1704
; %bb.1703:
	v_cvt_f32_f16_e32 v4, v3
	s_mov_b32 s5, 0
	v_cvt_u32_f32_e32 v4, v4
	global_store_dword v[0:1], v4, off
.LBB23_1704:
	s_andn2_b32 vcc_lo, exec_lo, s5
	s_cbranch_vccnz .LBB23_1706
; %bb.1705:
	v_cvt_u16_f16_e32 v4, v3
	global_store_short v[0:1], v4, off
.LBB23_1706:
	s_mov_b32 s5, 0
.LBB23_1707:
	s_andn2_b32 vcc_lo, exec_lo, s5
	s_cbranch_vccnz .LBB23_1715
; %bb.1708:
	v_cvt_f32_f16_e32 v4, v3
	v_mov_b32_e32 v8, 0x80
	s_mov_b32 s5, exec_lo
	v_and_b32_e32 v7, 0x7fffffff, v4
	v_cmpx_gt_u32_e32 0x43800000, v7
	s_cbranch_execz .LBB23_1714
; %bb.1709:
	v_cmp_lt_u32_e32 vcc_lo, 0x3bffffff, v7
	s_mov_b32 s10, 0
                                        ; implicit-def: $vgpr7
	s_and_saveexec_b32 s11, vcc_lo
	s_xor_b32 s11, exec_lo, s11
	s_cbranch_execz .LBB23_2049
; %bb.1710:
	v_bfe_u32 v7, v4, 20, 1
	s_mov_b32 s10, exec_lo
	v_add3_u32 v7, v4, v7, 0x487ffff
	v_lshrrev_b32_e32 v7, 20, v7
	s_andn2_saveexec_b32 s11, s11
	s_cbranch_execnz .LBB23_2050
.LBB23_1711:
	s_or_b32 exec_lo, exec_lo, s11
	v_mov_b32_e32 v8, 0
	s_and_saveexec_b32 s11, s10
.LBB23_1712:
	v_lshrrev_b32_e32 v4, 24, v4
	v_and_or_b32 v8, 0x80, v4, v7
.LBB23_1713:
	s_or_b32 exec_lo, exec_lo, s11
.LBB23_1714:
	s_or_b32 exec_lo, exec_lo, s5
	global_store_byte v[0:1], v8, off
.LBB23_1715:
	s_mov_b32 s5, -1
.LBB23_1716:
	s_mov_b32 s10, 0
.LBB23_1717:
	s_and_b32 vcc_lo, exec_lo, s10
	s_cbranch_vccz .LBB23_1757
; %bb.1718:
	s_cmp_gt_i32 s2, 22
	s_mov_b32 s3, -1
	s_cbranch_scc0 .LBB23_1750
; %bb.1719:
	s_cmp_lt_i32 s2, 24
	s_cbranch_scc1 .LBB23_1739
; %bb.1720:
	s_cmp_gt_i32 s2, 24
	s_cbranch_scc0 .LBB23_1728
; %bb.1721:
	v_cvt_f32_f16_e32 v4, v3
	v_mov_b32_e32 v8, 0x80
	s_mov_b32 s3, exec_lo
	v_and_b32_e32 v7, 0x7fffffff, v4
	v_cmpx_gt_u32_e32 0x47800000, v7
	s_cbranch_execz .LBB23_1727
; %bb.1722:
	v_cmp_lt_u32_e32 vcc_lo, 0x37ffffff, v7
	s_mov_b32 s5, 0
                                        ; implicit-def: $vgpr7
	s_and_saveexec_b32 s10, vcc_lo
	s_xor_b32 s10, exec_lo, s10
	s_cbranch_execz .LBB23_2052
; %bb.1723:
	v_bfe_u32 v7, v4, 21, 1
	s_mov_b32 s5, exec_lo
	v_add3_u32 v7, v4, v7, 0x88fffff
	v_lshrrev_b32_e32 v7, 21, v7
	s_andn2_saveexec_b32 s10, s10
	s_cbranch_execnz .LBB23_2053
.LBB23_1724:
	s_or_b32 exec_lo, exec_lo, s10
	v_mov_b32_e32 v8, 0
	s_and_saveexec_b32 s10, s5
.LBB23_1725:
	v_lshrrev_b32_e32 v4, 24, v4
	v_and_or_b32 v8, 0x80, v4, v7
.LBB23_1726:
	s_or_b32 exec_lo, exec_lo, s10
.LBB23_1727:
	s_or_b32 exec_lo, exec_lo, s3
	s_mov_b32 s3, 0
	global_store_byte v[0:1], v8, off
.LBB23_1728:
	s_and_b32 vcc_lo, exec_lo, s3
	s_cbranch_vccz .LBB23_1738
; %bb.1729:
	v_cvt_f32_f16_e32 v4, v3
	s_mov_b32 s3, exec_lo
                                        ; implicit-def: $vgpr7
	v_and_b32_e32 v8, 0x7fffffff, v4
	v_cmpx_gt_u32_e32 0x43f00000, v8
	s_xor_b32 s3, exec_lo, s3
	s_cbranch_execz .LBB23_1735
; %bb.1730:
	s_mov_b32 s5, exec_lo
                                        ; implicit-def: $vgpr7
	v_cmpx_lt_u32_e32 0x3c7fffff, v8
	s_xor_b32 s5, exec_lo, s5
; %bb.1731:
	v_bfe_u32 v7, v4, 20, 1
	v_add3_u32 v7, v4, v7, 0x407ffff
	v_and_b32_e32 v8, 0xff00000, v7
	v_lshrrev_b32_e32 v7, 20, v7
	v_cmp_ne_u32_e32 vcc_lo, 0x7f00000, v8
	v_cndmask_b32_e32 v7, 0x7e, v7, vcc_lo
; %bb.1732:
	s_andn2_saveexec_b32 s5, s5
; %bb.1733:
	v_add_f32_e64 v7, 0x46800000, |v4|
; %bb.1734:
	s_or_b32 exec_lo, exec_lo, s5
                                        ; implicit-def: $vgpr8
.LBB23_1735:
	s_andn2_saveexec_b32 s3, s3
; %bb.1736:
	v_mov_b32_e32 v7, 0x7f
	v_cmp_lt_u32_e32 vcc_lo, 0x7f800000, v8
	v_cndmask_b32_e32 v7, 0x7e, v7, vcc_lo
; %bb.1737:
	s_or_b32 exec_lo, exec_lo, s3
	v_lshrrev_b32_e32 v4, 24, v4
	v_and_or_b32 v4, 0x80, v4, v7
	global_store_byte v[0:1], v4, off
.LBB23_1738:
	s_mov_b32 s3, 0
.LBB23_1739:
	s_andn2_b32 vcc_lo, exec_lo, s3
	s_cbranch_vccnz .LBB23_1749
; %bb.1740:
	v_cvt_f32_f16_e32 v4, v3
	s_mov_b32 s3, exec_lo
                                        ; implicit-def: $vgpr7
	v_and_b32_e32 v8, 0x7fffffff, v4
	v_cmpx_gt_u32_e32 0x47800000, v8
	s_xor_b32 s3, exec_lo, s3
	s_cbranch_execz .LBB23_1746
; %bb.1741:
	s_mov_b32 s5, exec_lo
                                        ; implicit-def: $vgpr7
	v_cmpx_lt_u32_e32 0x387fffff, v8
	s_xor_b32 s5, exec_lo, s5
; %bb.1742:
	v_bfe_u32 v7, v4, 21, 1
	v_add3_u32 v7, v4, v7, 0x80fffff
	v_lshrrev_b32_e32 v7, 21, v7
; %bb.1743:
	s_andn2_saveexec_b32 s5, s5
; %bb.1744:
	v_add_f32_e64 v7, 0x43000000, |v4|
; %bb.1745:
	s_or_b32 exec_lo, exec_lo, s5
                                        ; implicit-def: $vgpr8
.LBB23_1746:
	s_andn2_saveexec_b32 s3, s3
; %bb.1747:
	v_mov_b32_e32 v7, 0x7f
	v_cmp_lt_u32_e32 vcc_lo, 0x7f800000, v8
	v_cndmask_b32_e32 v7, 0x7c, v7, vcc_lo
; %bb.1748:
	s_or_b32 exec_lo, exec_lo, s3
	v_lshrrev_b32_e32 v4, 24, v4
	v_and_or_b32 v4, 0x80, v4, v7
	global_store_byte v[0:1], v4, off
.LBB23_1749:
	s_mov_b32 s3, 0
	s_mov_b32 s5, -1
.LBB23_1750:
	s_andn2_b32 vcc_lo, exec_lo, s3
	s_mov_b32 s3, 0
	s_cbranch_vccnz .LBB23_1757
; %bb.1751:
	s_cmp_gt_i32 s2, 14
	s_mov_b32 s3, -1
	s_cbranch_scc0 .LBB23_1755
; %bb.1752:
	s_cmp_eq_u32 s2, 15
	s_mov_b32 s0, -1
	s_cbranch_scc0 .LBB23_1754
; %bb.1753:
	v_cvt_f32_f16_e32 v4, v3
	v_cmp_o_f16_e32 vcc_lo, v3, v3
	s_mov_b32 s0, 0
	s_mov_b32 s5, -1
	v_bfe_u32 v7, v4, 16, 1
	v_add3_u32 v4, v4, v7, 0x7fff
	v_mov_b32_e32 v7, 0x7fc0
	v_cndmask_b32_sdwa v4, v7, v4, vcc_lo dst_sel:DWORD dst_unused:UNUSED_PAD src0_sel:DWORD src1_sel:WORD_1
	global_store_short v[0:1], v4, off
.LBB23_1754:
	s_mov_b32 s3, 0
.LBB23_1755:
	s_and_b32 vcc_lo, exec_lo, s3
	s_mov_b32 s3, 0
	s_cbranch_vccz .LBB23_1757
; %bb.1756:
	s_cmp_lg_u32 s2, 11
	s_mov_b32 s3, -1
	s_cselect_b32 s0, -1, 0
.LBB23_1757:
	s_and_b32 vcc_lo, exec_lo, s0
	s_cbranch_vccnz .LBB23_2051
; %bb.1758:
	s_andn2_b32 vcc_lo, exec_lo, s3
	s_cbranch_vccnz .LBB23_1760
.LBB23_1759:
	v_and_b32_e32 v4, 0x7fff, v3
	s_mov_b32 s5, -1
	v_cmp_ne_u16_e32 vcc_lo, 0, v4
	v_cndmask_b32_e64 v4, 0, 1, vcc_lo
	global_store_byte v[0:1], v4, off
.LBB23_1760:
	s_mov_b32 s0, 0
	s_branch .LBB23_1762
.LBB23_1761:
	s_mov_b32 s0, -1
	s_mov_b32 s5, 0
.LBB23_1762:
	s_and_b32 vcc_lo, exec_lo, s0
	s_cbranch_vccz .LBB23_1801
; %bb.1763:
	s_and_b32 s0, 0xffff, s16
	s_mov_b32 s2, -1
	s_cmp_lt_i32 s0, 5
	s_cbranch_scc1 .LBB23_1784
; %bb.1764:
	s_cmp_lt_i32 s0, 8
	s_cbranch_scc1 .LBB23_1774
; %bb.1765:
	;; [unrolled: 3-line block ×3, first 2 shown]
	s_cmp_gt_i32 s0, 9
	s_cbranch_scc0 .LBB23_1768
; %bb.1767:
	v_cvt_f32_f16_e32 v4, v3
	v_mov_b32_e32 v9, 0
	s_mov_b32 s2, 0
	v_cvt_f64_f32_e32 v[7:8], v4
	v_mov_b32_e32 v10, v9
	global_store_dwordx4 v[0:1], v[7:10], off
.LBB23_1768:
	s_andn2_b32 vcc_lo, exec_lo, s2
	s_cbranch_vccnz .LBB23_1770
; %bb.1769:
	v_cvt_f32_f16_e32 v7, v3
	v_mov_b32_e32 v8, 0
	global_store_dwordx2 v[0:1], v[7:8], off
.LBB23_1770:
	s_mov_b32 s2, 0
.LBB23_1771:
	s_andn2_b32 vcc_lo, exec_lo, s2
	s_cbranch_vccnz .LBB23_1773
; %bb.1772:
	v_and_b32_e32 v4, 0xffff, v3
	global_store_dword v[0:1], v4, off
.LBB23_1773:
	s_mov_b32 s2, 0
.LBB23_1774:
	s_andn2_b32 vcc_lo, exec_lo, s2
	s_cbranch_vccnz .LBB23_1783
; %bb.1775:
	s_cmp_lt_i32 s0, 6
	s_mov_b32 s2, -1
	s_cbranch_scc1 .LBB23_1781
; %bb.1776:
	s_cmp_gt_i32 s0, 6
	s_cbranch_scc0 .LBB23_1778
; %bb.1777:
	v_cvt_f32_f16_e32 v4, v3
	s_mov_b32 s2, 0
	v_cvt_f64_f32_e32 v[7:8], v4
	global_store_dwordx2 v[0:1], v[7:8], off
.LBB23_1778:
	s_andn2_b32 vcc_lo, exec_lo, s2
	s_cbranch_vccnz .LBB23_1780
; %bb.1779:
	v_cvt_f32_f16_e32 v4, v3
	global_store_dword v[0:1], v4, off
.LBB23_1780:
	s_mov_b32 s2, 0
.LBB23_1781:
	s_andn2_b32 vcc_lo, exec_lo, s2
	s_cbranch_vccnz .LBB23_1783
; %bb.1782:
	global_store_short v[0:1], v3, off
.LBB23_1783:
	s_mov_b32 s2, 0
.LBB23_1784:
	s_andn2_b32 vcc_lo, exec_lo, s2
	s_cbranch_vccnz .LBB23_1800
; %bb.1785:
	s_cmp_lt_i32 s0, 2
	s_mov_b32 s2, -1
	s_cbranch_scc1 .LBB23_1795
; %bb.1786:
	s_cmp_lt_i32 s0, 3
	s_cbranch_scc1 .LBB23_1792
; %bb.1787:
	s_cmp_gt_i32 s0, 3
	s_cbranch_scc0 .LBB23_1789
; %bb.1788:
	v_cvt_f32_f16_e32 v4, v3
	s_mov_b32 s2, 0
	v_cvt_i32_f32_e32 v7, v4
	v_ashrrev_i32_e32 v8, 31, v7
	global_store_dwordx2 v[0:1], v[7:8], off
.LBB23_1789:
	s_andn2_b32 vcc_lo, exec_lo, s2
	s_cbranch_vccnz .LBB23_1791
; %bb.1790:
	v_cvt_f32_f16_e32 v4, v3
	v_cvt_i32_f32_e32 v4, v4
	global_store_dword v[0:1], v4, off
.LBB23_1791:
	s_mov_b32 s2, 0
.LBB23_1792:
	s_andn2_b32 vcc_lo, exec_lo, s2
	s_cbranch_vccnz .LBB23_1794
; %bb.1793:
	v_cvt_i16_f16_e32 v4, v3
	global_store_short v[0:1], v4, off
.LBB23_1794:
	s_mov_b32 s2, 0
.LBB23_1795:
	s_andn2_b32 vcc_lo, exec_lo, s2
	s_cbranch_vccnz .LBB23_1800
; %bb.1796:
	s_cmp_gt_i32 s0, 0
	s_mov_b32 s0, -1
	s_cbranch_scc0 .LBB23_1798
; %bb.1797:
	v_cvt_i16_f16_e32 v4, v3
	s_mov_b32 s0, 0
	global_store_byte v[0:1], v4, off
.LBB23_1798:
	s_andn2_b32 vcc_lo, exec_lo, s0
	s_cbranch_vccnz .LBB23_1800
; %bb.1799:
	v_cvt_f32_f16_e32 v3, v3
	v_cvt_i32_f32_e32 v3, v3
	global_store_byte v[0:1], v3, off
.LBB23_1800:
	s_mov_b32 s5, -1
.LBB23_1801:
	s_andn2_b32 vcc_lo, exec_lo, s5
	s_cbranch_vccnz .LBB23_1997
; %bb.1802:
	v_add_nc_u32_e32 v2, s1, v2
	v_fma_mixlo_f16 v0, v12, v11, 0
	v_cmp_eq_f32_e32 vcc_lo, 1.0, v12
	s_cmp_lt_i32 s16, 11
	v_ashrrev_i32_e32 v1, 31, v2
	v_cndmask_b32_e32 v3, v0, v5, vcc_lo
	v_add_co_u32 v0, vcc_lo, s8, v2
	v_add_co_ci_u32_e64 v1, null, s9, v1, vcc_lo
	s_cbranch_scc1 .LBB23_1880
; %bb.1803:
	s_and_b32 s2, 0xffff, s16
	s_mov_b32 s10, -1
	s_mov_b32 s3, 0
	s_cmp_gt_i32 s2, 25
	s_mov_b32 s5, 0
	s_mov_b32 s0, 0
	s_cbranch_scc0 .LBB23_1836
; %bb.1804:
	s_cmp_gt_i32 s2, 28
	s_cbranch_scc0 .LBB23_1819
; %bb.1805:
	s_cmp_gt_i32 s2, 43
	;; [unrolled: 3-line block ×3, first 2 shown]
	s_cbranch_scc0 .LBB23_1809
; %bb.1807:
	s_mov_b32 s0, -1
	s_mov_b32 s10, 0
	s_cmp_eq_u32 s2, 46
	s_cbranch_scc0 .LBB23_1809
; %bb.1808:
	v_cvt_f32_f16_e32 v4, v3
	v_cmp_o_f16_e32 vcc_lo, v3, v3
	s_mov_b32 s0, 0
	s_mov_b32 s5, -1
	v_bfe_u32 v5, v4, 16, 1
	v_add3_u32 v4, v4, v5, 0x7fff
	v_mov_b32_e32 v5, 0x7fc0
	v_cndmask_b32_sdwa v4, v5, v4, vcc_lo dst_sel:DWORD dst_unused:UNUSED_PAD src0_sel:DWORD src1_sel:WORD_1
	global_store_dword v[0:1], v4, off
.LBB23_1809:
	s_and_b32 vcc_lo, exec_lo, s10
	s_cbranch_vccz .LBB23_1814
; %bb.1810:
	s_cmp_eq_u32 s2, 44
	s_mov_b32 s0, -1
	s_cbranch_scc0 .LBB23_1814
; %bb.1811:
	v_cvt_f32_f16_e32 v4, v3
	v_mov_b32_e32 v5, 0xff
	s_mov_b32 s5, exec_lo
	v_bfe_u32 v7, v4, 23, 8
	v_cmpx_ne_u32_e32 0xff, v7
	s_cbranch_execz .LBB23_1813
; %bb.1812:
	v_and_b32_e32 v5, 0x400000, v4
	v_and_or_b32 v7, 0x3fffff, v4, v7
	v_lshrrev_b32_e32 v4, 23, v4
	v_cmp_ne_u32_e32 vcc_lo, 0, v5
	v_cmp_ne_u32_e64 s0, 0, v7
	s_and_b32 s0, vcc_lo, s0
	v_cndmask_b32_e64 v5, 0, 1, s0
	v_add_nc_u32_e32 v5, v4, v5
.LBB23_1813:
	s_or_b32 exec_lo, exec_lo, s5
	s_mov_b32 s0, 0
	s_mov_b32 s5, -1
	global_store_byte v[0:1], v5, off
.LBB23_1814:
	s_mov_b32 s10, 0
.LBB23_1815:
	s_and_b32 vcc_lo, exec_lo, s10
	s_cbranch_vccz .LBB23_1818
; %bb.1816:
	s_cmp_eq_u32 s2, 29
	s_mov_b32 s0, -1
	s_cbranch_scc0 .LBB23_1818
; %bb.1817:
	v_cvt_f32_f16_e32 v4, v3
	v_mov_b32_e32 v5, 0
	s_mov_b32 s0, 0
	s_mov_b32 s5, -1
	v_cvt_u32_f32_e32 v4, v4
	global_store_dwordx2 v[0:1], v[4:5], off
.LBB23_1818:
	s_mov_b32 s10, 0
.LBB23_1819:
	s_and_b32 vcc_lo, exec_lo, s10
	s_cbranch_vccz .LBB23_1835
; %bb.1820:
	s_cmp_lt_i32 s2, 27
	s_mov_b32 s5, -1
	s_cbranch_scc1 .LBB23_1826
; %bb.1821:
	s_cmp_gt_i32 s2, 27
	s_cbranch_scc0 .LBB23_1823
; %bb.1822:
	v_cvt_f32_f16_e32 v4, v3
	s_mov_b32 s5, 0
	v_cvt_u32_f32_e32 v4, v4
	global_store_dword v[0:1], v4, off
.LBB23_1823:
	s_andn2_b32 vcc_lo, exec_lo, s5
	s_cbranch_vccnz .LBB23_1825
; %bb.1824:
	v_cvt_u16_f16_e32 v4, v3
	global_store_short v[0:1], v4, off
.LBB23_1825:
	s_mov_b32 s5, 0
.LBB23_1826:
	s_andn2_b32 vcc_lo, exec_lo, s5
	s_cbranch_vccnz .LBB23_1834
; %bb.1827:
	v_cvt_f32_f16_e32 v4, v3
	v_mov_b32_e32 v7, 0x80
	s_mov_b32 s5, exec_lo
	v_and_b32_e32 v5, 0x7fffffff, v4
	v_cmpx_gt_u32_e32 0x43800000, v5
	s_cbranch_execz .LBB23_1833
; %bb.1828:
	v_cmp_lt_u32_e32 vcc_lo, 0x3bffffff, v5
	s_mov_b32 s10, 0
                                        ; implicit-def: $vgpr5
	s_and_saveexec_b32 s11, vcc_lo
	s_xor_b32 s11, exec_lo, s11
	s_cbranch_execz .LBB23_2054
; %bb.1829:
	v_bfe_u32 v5, v4, 20, 1
	s_mov_b32 s10, exec_lo
	v_add3_u32 v5, v4, v5, 0x487ffff
	v_lshrrev_b32_e32 v5, 20, v5
	s_andn2_saveexec_b32 s11, s11
	s_cbranch_execnz .LBB23_2055
.LBB23_1830:
	s_or_b32 exec_lo, exec_lo, s11
	v_mov_b32_e32 v7, 0
	s_and_saveexec_b32 s11, s10
.LBB23_1831:
	v_lshrrev_b32_e32 v4, 24, v4
	v_and_or_b32 v7, 0x80, v4, v5
.LBB23_1832:
	s_or_b32 exec_lo, exec_lo, s11
.LBB23_1833:
	s_or_b32 exec_lo, exec_lo, s5
	global_store_byte v[0:1], v7, off
.LBB23_1834:
	s_mov_b32 s5, -1
.LBB23_1835:
	s_mov_b32 s10, 0
.LBB23_1836:
	s_and_b32 vcc_lo, exec_lo, s10
	s_cbranch_vccz .LBB23_1876
; %bb.1837:
	s_cmp_gt_i32 s2, 22
	s_mov_b32 s3, -1
	s_cbranch_scc0 .LBB23_1869
; %bb.1838:
	s_cmp_lt_i32 s2, 24
	s_cbranch_scc1 .LBB23_1858
; %bb.1839:
	s_cmp_gt_i32 s2, 24
	s_cbranch_scc0 .LBB23_1847
; %bb.1840:
	v_cvt_f32_f16_e32 v4, v3
	v_mov_b32_e32 v7, 0x80
	s_mov_b32 s3, exec_lo
	v_and_b32_e32 v5, 0x7fffffff, v4
	v_cmpx_gt_u32_e32 0x47800000, v5
	s_cbranch_execz .LBB23_1846
; %bb.1841:
	v_cmp_lt_u32_e32 vcc_lo, 0x37ffffff, v5
	s_mov_b32 s5, 0
                                        ; implicit-def: $vgpr5
	s_and_saveexec_b32 s10, vcc_lo
	s_xor_b32 s10, exec_lo, s10
	s_cbranch_execz .LBB23_2057
; %bb.1842:
	v_bfe_u32 v5, v4, 21, 1
	s_mov_b32 s5, exec_lo
	v_add3_u32 v5, v4, v5, 0x88fffff
	v_lshrrev_b32_e32 v5, 21, v5
	s_andn2_saveexec_b32 s10, s10
	s_cbranch_execnz .LBB23_2058
.LBB23_1843:
	s_or_b32 exec_lo, exec_lo, s10
	v_mov_b32_e32 v7, 0
	s_and_saveexec_b32 s10, s5
.LBB23_1844:
	v_lshrrev_b32_e32 v4, 24, v4
	v_and_or_b32 v7, 0x80, v4, v5
.LBB23_1845:
	s_or_b32 exec_lo, exec_lo, s10
.LBB23_1846:
	s_or_b32 exec_lo, exec_lo, s3
	s_mov_b32 s3, 0
	global_store_byte v[0:1], v7, off
.LBB23_1847:
	s_and_b32 vcc_lo, exec_lo, s3
	s_cbranch_vccz .LBB23_1857
; %bb.1848:
	v_cvt_f32_f16_e32 v4, v3
	s_mov_b32 s3, exec_lo
                                        ; implicit-def: $vgpr5
	v_and_b32_e32 v7, 0x7fffffff, v4
	v_cmpx_gt_u32_e32 0x43f00000, v7
	s_xor_b32 s3, exec_lo, s3
	s_cbranch_execz .LBB23_1854
; %bb.1849:
	s_mov_b32 s5, exec_lo
                                        ; implicit-def: $vgpr5
	v_cmpx_lt_u32_e32 0x3c7fffff, v7
	s_xor_b32 s5, exec_lo, s5
; %bb.1850:
	v_bfe_u32 v5, v4, 20, 1
	v_add3_u32 v5, v4, v5, 0x407ffff
	v_and_b32_e32 v7, 0xff00000, v5
	v_lshrrev_b32_e32 v5, 20, v5
	v_cmp_ne_u32_e32 vcc_lo, 0x7f00000, v7
	v_cndmask_b32_e32 v5, 0x7e, v5, vcc_lo
; %bb.1851:
	s_andn2_saveexec_b32 s5, s5
; %bb.1852:
	v_add_f32_e64 v5, 0x46800000, |v4|
; %bb.1853:
	s_or_b32 exec_lo, exec_lo, s5
                                        ; implicit-def: $vgpr7
.LBB23_1854:
	s_andn2_saveexec_b32 s3, s3
; %bb.1855:
	v_mov_b32_e32 v5, 0x7f
	v_cmp_lt_u32_e32 vcc_lo, 0x7f800000, v7
	v_cndmask_b32_e32 v5, 0x7e, v5, vcc_lo
; %bb.1856:
	s_or_b32 exec_lo, exec_lo, s3
	v_lshrrev_b32_e32 v4, 24, v4
	v_and_or_b32 v4, 0x80, v4, v5
	global_store_byte v[0:1], v4, off
.LBB23_1857:
	s_mov_b32 s3, 0
.LBB23_1858:
	s_andn2_b32 vcc_lo, exec_lo, s3
	s_cbranch_vccnz .LBB23_1868
; %bb.1859:
	v_cvt_f32_f16_e32 v4, v3
	s_mov_b32 s3, exec_lo
                                        ; implicit-def: $vgpr5
	v_and_b32_e32 v7, 0x7fffffff, v4
	v_cmpx_gt_u32_e32 0x47800000, v7
	s_xor_b32 s3, exec_lo, s3
	s_cbranch_execz .LBB23_1865
; %bb.1860:
	s_mov_b32 s5, exec_lo
                                        ; implicit-def: $vgpr5
	v_cmpx_lt_u32_e32 0x387fffff, v7
	s_xor_b32 s5, exec_lo, s5
; %bb.1861:
	v_bfe_u32 v5, v4, 21, 1
	v_add3_u32 v5, v4, v5, 0x80fffff
	v_lshrrev_b32_e32 v5, 21, v5
; %bb.1862:
	s_andn2_saveexec_b32 s5, s5
; %bb.1863:
	v_add_f32_e64 v5, 0x43000000, |v4|
; %bb.1864:
	s_or_b32 exec_lo, exec_lo, s5
                                        ; implicit-def: $vgpr7
.LBB23_1865:
	s_andn2_saveexec_b32 s3, s3
; %bb.1866:
	v_mov_b32_e32 v5, 0x7f
	v_cmp_lt_u32_e32 vcc_lo, 0x7f800000, v7
	v_cndmask_b32_e32 v5, 0x7c, v5, vcc_lo
; %bb.1867:
	s_or_b32 exec_lo, exec_lo, s3
	v_lshrrev_b32_e32 v4, 24, v4
	v_and_or_b32 v4, 0x80, v4, v5
	global_store_byte v[0:1], v4, off
.LBB23_1868:
	s_mov_b32 s3, 0
	s_mov_b32 s5, -1
.LBB23_1869:
	s_andn2_b32 vcc_lo, exec_lo, s3
	s_mov_b32 s3, 0
	s_cbranch_vccnz .LBB23_1876
; %bb.1870:
	s_cmp_gt_i32 s2, 14
	s_mov_b32 s3, -1
	s_cbranch_scc0 .LBB23_1874
; %bb.1871:
	s_cmp_eq_u32 s2, 15
	s_mov_b32 s0, -1
	s_cbranch_scc0 .LBB23_1873
; %bb.1872:
	v_cvt_f32_f16_e32 v4, v3
	v_cmp_o_f16_e32 vcc_lo, v3, v3
	s_mov_b32 s0, 0
	s_mov_b32 s5, -1
	v_bfe_u32 v5, v4, 16, 1
	v_add3_u32 v4, v4, v5, 0x7fff
	v_mov_b32_e32 v5, 0x7fc0
	v_cndmask_b32_sdwa v4, v5, v4, vcc_lo dst_sel:DWORD dst_unused:UNUSED_PAD src0_sel:DWORD src1_sel:WORD_1
	global_store_short v[0:1], v4, off
.LBB23_1873:
	s_mov_b32 s3, 0
.LBB23_1874:
	s_and_b32 vcc_lo, exec_lo, s3
	s_mov_b32 s3, 0
	s_cbranch_vccz .LBB23_1876
; %bb.1875:
	s_cmp_lg_u32 s2, 11
	s_mov_b32 s3, -1
	s_cselect_b32 s0, -1, 0
.LBB23_1876:
	s_and_b32 vcc_lo, exec_lo, s0
	s_cbranch_vccnz .LBB23_2056
; %bb.1877:
	s_andn2_b32 vcc_lo, exec_lo, s3
	s_cbranch_vccnz .LBB23_1879
.LBB23_1878:
	v_and_b32_e32 v4, 0x7fff, v3
	s_mov_b32 s5, -1
	v_cmp_ne_u16_e32 vcc_lo, 0, v4
	v_cndmask_b32_e64 v4, 0, 1, vcc_lo
	global_store_byte v[0:1], v4, off
.LBB23_1879:
	s_mov_b32 s0, 0
	s_branch .LBB23_1881
.LBB23_1880:
	s_mov_b32 s0, -1
	s_mov_b32 s5, 0
.LBB23_1881:
	s_and_b32 vcc_lo, exec_lo, s0
	s_cbranch_vccz .LBB23_1920
; %bb.1882:
	s_and_b32 s0, 0xffff, s16
	s_mov_b32 s2, -1
	s_cmp_lt_i32 s0, 5
	s_cbranch_scc1 .LBB23_1903
; %bb.1883:
	s_cmp_lt_i32 s0, 8
	s_cbranch_scc1 .LBB23_1893
; %bb.1884:
	;; [unrolled: 3-line block ×3, first 2 shown]
	s_cmp_gt_i32 s0, 9
	s_cbranch_scc0 .LBB23_1887
; %bb.1886:
	v_cvt_f32_f16_e32 v4, v3
	v_mov_b32_e32 v9, 0
	s_mov_b32 s2, 0
	v_cvt_f64_f32_e32 v[7:8], v4
	v_mov_b32_e32 v10, v9
	global_store_dwordx4 v[0:1], v[7:10], off
.LBB23_1887:
	s_andn2_b32 vcc_lo, exec_lo, s2
	s_cbranch_vccnz .LBB23_1889
; %bb.1888:
	v_cvt_f32_f16_e32 v4, v3
	v_mov_b32_e32 v5, 0
	global_store_dwordx2 v[0:1], v[4:5], off
.LBB23_1889:
	s_mov_b32 s2, 0
.LBB23_1890:
	s_andn2_b32 vcc_lo, exec_lo, s2
	s_cbranch_vccnz .LBB23_1892
; %bb.1891:
	v_and_b32_e32 v4, 0xffff, v3
	global_store_dword v[0:1], v4, off
.LBB23_1892:
	s_mov_b32 s2, 0
.LBB23_1893:
	s_andn2_b32 vcc_lo, exec_lo, s2
	s_cbranch_vccnz .LBB23_1902
; %bb.1894:
	s_cmp_lt_i32 s0, 6
	s_mov_b32 s2, -1
	s_cbranch_scc1 .LBB23_1900
; %bb.1895:
	s_cmp_gt_i32 s0, 6
	s_cbranch_scc0 .LBB23_1897
; %bb.1896:
	v_cvt_f32_f16_e32 v4, v3
	s_mov_b32 s2, 0
	v_cvt_f64_f32_e32 v[4:5], v4
	global_store_dwordx2 v[0:1], v[4:5], off
.LBB23_1897:
	s_andn2_b32 vcc_lo, exec_lo, s2
	s_cbranch_vccnz .LBB23_1899
; %bb.1898:
	v_cvt_f32_f16_e32 v4, v3
	global_store_dword v[0:1], v4, off
.LBB23_1899:
	s_mov_b32 s2, 0
.LBB23_1900:
	s_andn2_b32 vcc_lo, exec_lo, s2
	s_cbranch_vccnz .LBB23_1902
; %bb.1901:
	global_store_short v[0:1], v3, off
.LBB23_1902:
	s_mov_b32 s2, 0
.LBB23_1903:
	s_andn2_b32 vcc_lo, exec_lo, s2
	s_cbranch_vccnz .LBB23_1919
; %bb.1904:
	s_cmp_lt_i32 s0, 2
	s_mov_b32 s2, -1
	s_cbranch_scc1 .LBB23_1914
; %bb.1905:
	s_cmp_lt_i32 s0, 3
	s_cbranch_scc1 .LBB23_1911
; %bb.1906:
	s_cmp_gt_i32 s0, 3
	s_cbranch_scc0 .LBB23_1908
; %bb.1907:
	v_cvt_f32_f16_e32 v4, v3
	s_mov_b32 s2, 0
	v_cvt_i32_f32_e32 v4, v4
	v_ashrrev_i32_e32 v5, 31, v4
	global_store_dwordx2 v[0:1], v[4:5], off
.LBB23_1908:
	s_andn2_b32 vcc_lo, exec_lo, s2
	s_cbranch_vccnz .LBB23_1910
; %bb.1909:
	v_cvt_f32_f16_e32 v4, v3
	v_cvt_i32_f32_e32 v4, v4
	global_store_dword v[0:1], v4, off
.LBB23_1910:
	s_mov_b32 s2, 0
.LBB23_1911:
	s_andn2_b32 vcc_lo, exec_lo, s2
	s_cbranch_vccnz .LBB23_1913
; %bb.1912:
	v_cvt_i16_f16_e32 v4, v3
	global_store_short v[0:1], v4, off
.LBB23_1913:
	s_mov_b32 s2, 0
.LBB23_1914:
	s_andn2_b32 vcc_lo, exec_lo, s2
	s_cbranch_vccnz .LBB23_1919
; %bb.1915:
	s_cmp_gt_i32 s0, 0
	s_mov_b32 s0, -1
	s_cbranch_scc0 .LBB23_1917
; %bb.1916:
	v_cvt_i16_f16_e32 v4, v3
	s_mov_b32 s0, 0
	global_store_byte v[0:1], v4, off
.LBB23_1917:
	s_andn2_b32 vcc_lo, exec_lo, s0
	s_cbranch_vccnz .LBB23_1919
; %bb.1918:
	v_cvt_f32_f16_e32 v3, v3
	v_cvt_i32_f32_e32 v3, v3
	global_store_byte v[0:1], v3, off
.LBB23_1919:
	s_mov_b32 s5, -1
.LBB23_1920:
	s_andn2_b32 vcc_lo, exec_lo, s5
	s_cbranch_vccnz .LBB23_1997
; %bb.1921:
	v_add_nc_u32_e32 v0, s1, v2
	s_waitcnt vmcnt(0)
	v_fma_mixlo_f16 v1, v14, v13, 0
	v_cmp_eq_f32_e32 vcc_lo, 1.0, v14
	s_cmp_lt_i32 s16, 11
	v_ashrrev_i32_e32 v2, 31, v0
	v_cndmask_b32_e32 v3, v1, v6, vcc_lo
	v_add_co_u32 v0, vcc_lo, s8, v0
	v_add_co_ci_u32_e64 v1, null, s9, v2, vcc_lo
	s_cbranch_scc1 .LBB23_2042
; %bb.1922:
	s_and_b32 s1, 0xffff, s16
	s_mov_b32 s3, -1
	s_mov_b32 s2, 0
	s_cmp_gt_i32 s1, 25
	s_mov_b32 s0, 0
	s_cbranch_scc0 .LBB23_1955
; %bb.1923:
	s_cmp_gt_i32 s1, 28
	s_cbranch_scc0 .LBB23_1939
; %bb.1924:
	s_cmp_gt_i32 s1, 43
	;; [unrolled: 3-line block ×3, first 2 shown]
	s_cbranch_scc0 .LBB23_1929
; %bb.1926:
	s_cmp_eq_u32 s1, 46
	s_mov_b32 s0, -1
	s_cbranch_scc0 .LBB23_1928
; %bb.1927:
	v_cvt_f32_f16_e32 v2, v3
	v_cmp_o_f16_e32 vcc_lo, v3, v3
	s_mov_b32 s0, 0
	v_bfe_u32 v4, v2, 16, 1
	v_add3_u32 v2, v2, v4, 0x7fff
	v_mov_b32_e32 v4, 0x7fc0
	v_cndmask_b32_sdwa v2, v4, v2, vcc_lo dst_sel:DWORD dst_unused:UNUSED_PAD src0_sel:DWORD src1_sel:WORD_1
	global_store_dword v[0:1], v2, off
.LBB23_1928:
	s_mov_b32 s3, 0
.LBB23_1929:
	s_and_b32 vcc_lo, exec_lo, s3
	s_cbranch_vccz .LBB23_1934
; %bb.1930:
	s_cmp_eq_u32 s1, 44
	s_mov_b32 s0, -1
	s_cbranch_scc0 .LBB23_1934
; %bb.1931:
	v_cvt_f32_f16_e32 v2, v3
	v_mov_b32_e32 v4, 0xff
	s_mov_b32 s3, exec_lo
	v_bfe_u32 v5, v2, 23, 8
	v_cmpx_ne_u32_e32 0xff, v5
	s_cbranch_execz .LBB23_1933
; %bb.1932:
	v_and_b32_e32 v4, 0x400000, v2
	v_and_or_b32 v5, 0x3fffff, v2, v5
	v_lshrrev_b32_e32 v2, 23, v2
	v_cmp_ne_u32_e32 vcc_lo, 0, v4
	v_cmp_ne_u32_e64 s0, 0, v5
	s_and_b32 s0, vcc_lo, s0
	v_cndmask_b32_e64 v4, 0, 1, s0
	v_add_nc_u32_e32 v4, v2, v4
.LBB23_1933:
	s_or_b32 exec_lo, exec_lo, s3
	s_mov_b32 s0, 0
	global_store_byte v[0:1], v4, off
.LBB23_1934:
	s_mov_b32 s3, 0
.LBB23_1935:
	s_and_b32 vcc_lo, exec_lo, s3
	s_cbranch_vccz .LBB23_1938
; %bb.1936:
	s_cmp_eq_u32 s1, 29
	s_mov_b32 s0, -1
	s_cbranch_scc0 .LBB23_1938
; %bb.1937:
	v_cvt_f32_f16_e32 v2, v3
	v_mov_b32_e32 v5, 0
	s_mov_b32 s0, 0
	v_cvt_u32_f32_e32 v4, v2
	global_store_dwordx2 v[0:1], v[4:5], off
.LBB23_1938:
	s_mov_b32 s3, 0
.LBB23_1939:
	s_and_b32 vcc_lo, exec_lo, s3
	s_cbranch_vccz .LBB23_1954
; %bb.1940:
	s_cmp_lt_i32 s1, 27
	s_mov_b32 s3, -1
	s_cbranch_scc1 .LBB23_1946
; %bb.1941:
	s_cmp_gt_i32 s1, 27
	s_cbranch_scc0 .LBB23_1943
; %bb.1942:
	v_cvt_f32_f16_e32 v2, v3
	s_mov_b32 s3, 0
	v_cvt_u32_f32_e32 v2, v2
	global_store_dword v[0:1], v2, off
.LBB23_1943:
	s_andn2_b32 vcc_lo, exec_lo, s3
	s_cbranch_vccnz .LBB23_1945
; %bb.1944:
	v_cvt_u16_f16_e32 v2, v3
	global_store_short v[0:1], v2, off
.LBB23_1945:
	s_mov_b32 s3, 0
.LBB23_1946:
	s_andn2_b32 vcc_lo, exec_lo, s3
	s_cbranch_vccnz .LBB23_1954
; %bb.1947:
	v_cvt_f32_f16_e32 v2, v3
	v_mov_b32_e32 v5, 0x80
	s_mov_b32 s3, exec_lo
	v_and_b32_e32 v4, 0x7fffffff, v2
	v_cmpx_gt_u32_e32 0x43800000, v4
	s_cbranch_execz .LBB23_1953
; %bb.1948:
	v_cmp_lt_u32_e32 vcc_lo, 0x3bffffff, v4
	s_mov_b32 s5, 0
                                        ; implicit-def: $vgpr4
	s_and_saveexec_b32 s8, vcc_lo
	s_xor_b32 s8, exec_lo, s8
	s_cbranch_execz .LBB23_2059
; %bb.1949:
	v_bfe_u32 v4, v2, 20, 1
	s_mov_b32 s5, exec_lo
	v_add3_u32 v4, v2, v4, 0x487ffff
	v_lshrrev_b32_e32 v4, 20, v4
	s_andn2_saveexec_b32 s8, s8
	s_cbranch_execnz .LBB23_2060
.LBB23_1950:
	s_or_b32 exec_lo, exec_lo, s8
	v_mov_b32_e32 v5, 0
	s_and_saveexec_b32 s8, s5
.LBB23_1951:
	v_lshrrev_b32_e32 v2, 24, v2
	v_and_or_b32 v5, 0x80, v2, v4
.LBB23_1952:
	s_or_b32 exec_lo, exec_lo, s8
.LBB23_1953:
	s_or_b32 exec_lo, exec_lo, s3
	global_store_byte v[0:1], v5, off
.LBB23_1954:
	s_mov_b32 s3, 0
.LBB23_1955:
	s_and_b32 vcc_lo, exec_lo, s3
	s_cbranch_vccz .LBB23_1995
; %bb.1956:
	s_cmp_gt_i32 s1, 22
	s_mov_b32 s2, -1
	s_cbranch_scc0 .LBB23_1988
; %bb.1957:
	s_cmp_lt_i32 s1, 24
	s_cbranch_scc1 .LBB23_1977
; %bb.1958:
	s_cmp_gt_i32 s1, 24
	s_cbranch_scc0 .LBB23_1966
; %bb.1959:
	v_cvt_f32_f16_e32 v2, v3
	v_mov_b32_e32 v5, 0x80
	s_mov_b32 s2, exec_lo
	v_and_b32_e32 v4, 0x7fffffff, v2
	v_cmpx_gt_u32_e32 0x47800000, v4
	s_cbranch_execz .LBB23_1965
; %bb.1960:
	v_cmp_lt_u32_e32 vcc_lo, 0x37ffffff, v4
	s_mov_b32 s3, 0
                                        ; implicit-def: $vgpr4
	s_and_saveexec_b32 s5, vcc_lo
	s_xor_b32 s5, exec_lo, s5
	s_cbranch_execz .LBB23_2062
; %bb.1961:
	v_bfe_u32 v4, v2, 21, 1
	s_mov_b32 s3, exec_lo
	v_add3_u32 v4, v2, v4, 0x88fffff
	v_lshrrev_b32_e32 v4, 21, v4
	s_andn2_saveexec_b32 s5, s5
	s_cbranch_execnz .LBB23_2063
.LBB23_1962:
	s_or_b32 exec_lo, exec_lo, s5
	v_mov_b32_e32 v5, 0
	s_and_saveexec_b32 s5, s3
.LBB23_1963:
	v_lshrrev_b32_e32 v2, 24, v2
	v_and_or_b32 v5, 0x80, v2, v4
.LBB23_1964:
	s_or_b32 exec_lo, exec_lo, s5
.LBB23_1965:
	s_or_b32 exec_lo, exec_lo, s2
	s_mov_b32 s2, 0
	global_store_byte v[0:1], v5, off
.LBB23_1966:
	s_and_b32 vcc_lo, exec_lo, s2
	s_cbranch_vccz .LBB23_1976
; %bb.1967:
	v_cvt_f32_f16_e32 v2, v3
	s_mov_b32 s2, exec_lo
                                        ; implicit-def: $vgpr4
	v_and_b32_e32 v5, 0x7fffffff, v2
	v_cmpx_gt_u32_e32 0x43f00000, v5
	s_xor_b32 s2, exec_lo, s2
	s_cbranch_execz .LBB23_1973
; %bb.1968:
	s_mov_b32 s3, exec_lo
                                        ; implicit-def: $vgpr4
	v_cmpx_lt_u32_e32 0x3c7fffff, v5
	s_xor_b32 s3, exec_lo, s3
; %bb.1969:
	v_bfe_u32 v4, v2, 20, 1
	v_add3_u32 v4, v2, v4, 0x407ffff
	v_and_b32_e32 v5, 0xff00000, v4
	v_lshrrev_b32_e32 v4, 20, v4
	v_cmp_ne_u32_e32 vcc_lo, 0x7f00000, v5
	v_cndmask_b32_e32 v4, 0x7e, v4, vcc_lo
; %bb.1970:
	s_andn2_saveexec_b32 s3, s3
; %bb.1971:
	v_add_f32_e64 v4, 0x46800000, |v2|
; %bb.1972:
	s_or_b32 exec_lo, exec_lo, s3
                                        ; implicit-def: $vgpr5
.LBB23_1973:
	s_andn2_saveexec_b32 s2, s2
; %bb.1974:
	v_mov_b32_e32 v4, 0x7f
	v_cmp_lt_u32_e32 vcc_lo, 0x7f800000, v5
	v_cndmask_b32_e32 v4, 0x7e, v4, vcc_lo
; %bb.1975:
	s_or_b32 exec_lo, exec_lo, s2
	v_lshrrev_b32_e32 v2, 24, v2
	v_and_or_b32 v2, 0x80, v2, v4
	global_store_byte v[0:1], v2, off
.LBB23_1976:
	s_mov_b32 s2, 0
.LBB23_1977:
	s_andn2_b32 vcc_lo, exec_lo, s2
	s_cbranch_vccnz .LBB23_1987
; %bb.1978:
	v_cvt_f32_f16_e32 v2, v3
	s_mov_b32 s2, exec_lo
                                        ; implicit-def: $vgpr4
	v_and_b32_e32 v5, 0x7fffffff, v2
	v_cmpx_gt_u32_e32 0x47800000, v5
	s_xor_b32 s2, exec_lo, s2
	s_cbranch_execz .LBB23_1984
; %bb.1979:
	s_mov_b32 s3, exec_lo
                                        ; implicit-def: $vgpr4
	v_cmpx_lt_u32_e32 0x387fffff, v5
	s_xor_b32 s3, exec_lo, s3
; %bb.1980:
	v_bfe_u32 v4, v2, 21, 1
	v_add3_u32 v4, v2, v4, 0x80fffff
	v_lshrrev_b32_e32 v4, 21, v4
; %bb.1981:
	s_andn2_saveexec_b32 s3, s3
; %bb.1982:
	v_add_f32_e64 v4, 0x43000000, |v2|
; %bb.1983:
	s_or_b32 exec_lo, exec_lo, s3
                                        ; implicit-def: $vgpr5
.LBB23_1984:
	s_andn2_saveexec_b32 s2, s2
; %bb.1985:
	v_mov_b32_e32 v4, 0x7f
	v_cmp_lt_u32_e32 vcc_lo, 0x7f800000, v5
	v_cndmask_b32_e32 v4, 0x7c, v4, vcc_lo
; %bb.1986:
	s_or_b32 exec_lo, exec_lo, s2
	v_lshrrev_b32_e32 v2, 24, v2
	v_and_or_b32 v2, 0x80, v2, v4
	global_store_byte v[0:1], v2, off
.LBB23_1987:
	s_mov_b32 s2, 0
.LBB23_1988:
	s_andn2_b32 vcc_lo, exec_lo, s2
	s_mov_b32 s2, 0
	s_cbranch_vccnz .LBB23_1995
; %bb.1989:
	s_cmp_gt_i32 s1, 14
	s_mov_b32 s2, -1
	s_cbranch_scc0 .LBB23_1993
; %bb.1990:
	s_cmp_eq_u32 s1, 15
	s_mov_b32 s0, -1
	s_cbranch_scc0 .LBB23_1992
; %bb.1991:
	v_cvt_f32_f16_e32 v2, v3
	v_cmp_o_f16_e32 vcc_lo, v3, v3
	s_mov_b32 s0, 0
	v_bfe_u32 v4, v2, 16, 1
	v_add3_u32 v2, v2, v4, 0x7fff
	v_mov_b32_e32 v4, 0x7fc0
	v_cndmask_b32_sdwa v2, v4, v2, vcc_lo dst_sel:DWORD dst_unused:UNUSED_PAD src0_sel:DWORD src1_sel:WORD_1
	global_store_short v[0:1], v2, off
.LBB23_1992:
	s_mov_b32 s2, 0
.LBB23_1993:
	s_and_b32 vcc_lo, exec_lo, s2
	s_mov_b32 s2, 0
	s_cbranch_vccz .LBB23_1995
; %bb.1994:
	s_cmp_lg_u32 s1, 11
	s_mov_b32 s2, -1
	s_cselect_b32 s0, -1, 0
.LBB23_1995:
	s_and_b32 vcc_lo, exec_lo, s0
	s_cbranch_vccnz .LBB23_2061
.LBB23_1996:
	s_mov_b32 s0, 0
	s_branch .LBB23_1998
.LBB23_1997:
	s_mov_b32 s0, 0
	s_mov_b32 s2, 0
                                        ; implicit-def: $sgpr16
                                        ; implicit-def: $vgpr0_vgpr1
                                        ; implicit-def: $vgpr3
.LBB23_1998:
	s_andn2_b32 s1, s7, exec_lo
	s_and_b32 s3, s4, exec_lo
	s_and_b32 s0, s0, exec_lo
	;; [unrolled: 1-line block ×3, first 2 shown]
	s_or_b32 s7, s1, s3
.LBB23_1999:
	s_or_b32 exec_lo, exec_lo, s6
	s_and_saveexec_b32 s1, s7
	s_cbranch_execz .LBB23_2002
; %bb.2000:
	; divergent unreachable
	s_or_b32 exec_lo, exec_lo, s1
	s_and_saveexec_b32 s1, s4
	s_xor_b32 s1, exec_lo, s1
	s_cbranch_execnz .LBB23_2003
.LBB23_2001:
	s_or_b32 exec_lo, exec_lo, s1
	s_and_saveexec_b32 s1, s0
	s_cbranch_execnz .LBB23_2004
	s_branch .LBB23_2041
.LBB23_2002:
	s_or_b32 exec_lo, exec_lo, s1
	s_and_saveexec_b32 s1, s4
	s_xor_b32 s1, exec_lo, s1
	s_cbranch_execz .LBB23_2001
.LBB23_2003:
	s_waitcnt vmcnt(0)
	v_and_b32_e32 v2, 0x7fff, v3
	v_cmp_ne_u16_e32 vcc_lo, 0, v2
	v_cndmask_b32_e64 v2, 0, 1, vcc_lo
	global_store_byte v[0:1], v2, off
	s_or_b32 exec_lo, exec_lo, s1
	s_and_saveexec_b32 s1, s0
	s_cbranch_execz .LBB23_2041
.LBB23_2004:
	s_sext_i32_i16 s1, s16
	s_mov_b32 s0, -1
	s_cmp_lt_i32 s1, 5
	s_cbranch_scc1 .LBB23_2025
; %bb.2005:
	s_cmp_lt_i32 s1, 8
	s_cbranch_scc1 .LBB23_2015
; %bb.2006:
	;; [unrolled: 3-line block ×3, first 2 shown]
	s_cmp_gt_i32 s1, 9
	s_cbranch_scc0 .LBB23_2009
; %bb.2008:
	s_waitcnt vmcnt(0)
	v_cvt_f32_f16_e32 v2, v3
	v_mov_b32_e32 v6, 0
	s_mov_b32 s0, 0
	v_cvt_f64_f32_e32 v[4:5], v2
	v_mov_b32_e32 v7, v6
	global_store_dwordx4 v[0:1], v[4:7], off
.LBB23_2009:
	s_andn2_b32 vcc_lo, exec_lo, s0
	s_cbranch_vccnz .LBB23_2011
; %bb.2010:
	s_waitcnt vmcnt(0)
	v_cvt_f32_f16_e32 v4, v3
	v_mov_b32_e32 v5, 0
	global_store_dwordx2 v[0:1], v[4:5], off
.LBB23_2011:
	s_mov_b32 s0, 0
.LBB23_2012:
	s_andn2_b32 vcc_lo, exec_lo, s0
	s_cbranch_vccnz .LBB23_2014
; %bb.2013:
	s_waitcnt vmcnt(0)
	v_and_b32_e32 v2, 0xffff, v3
	global_store_dword v[0:1], v2, off
.LBB23_2014:
	s_mov_b32 s0, 0
.LBB23_2015:
	s_andn2_b32 vcc_lo, exec_lo, s0
	s_cbranch_vccnz .LBB23_2024
; %bb.2016:
	s_sext_i32_i16 s1, s16
	s_mov_b32 s0, -1
	s_cmp_lt_i32 s1, 6
	s_cbranch_scc1 .LBB23_2022
; %bb.2017:
	s_cmp_gt_i32 s1, 6
	s_cbranch_scc0 .LBB23_2019
; %bb.2018:
	s_waitcnt vmcnt(0)
	v_cvt_f32_f16_e32 v2, v3
	s_mov_b32 s0, 0
	v_cvt_f64_f32_e32 v[4:5], v2
	global_store_dwordx2 v[0:1], v[4:5], off
.LBB23_2019:
	s_andn2_b32 vcc_lo, exec_lo, s0
	s_cbranch_vccnz .LBB23_2021
; %bb.2020:
	s_waitcnt vmcnt(0)
	v_cvt_f32_f16_e32 v2, v3
	global_store_dword v[0:1], v2, off
.LBB23_2021:
	s_mov_b32 s0, 0
.LBB23_2022:
	s_andn2_b32 vcc_lo, exec_lo, s0
	s_cbranch_vccnz .LBB23_2024
; %bb.2023:
	s_waitcnt vmcnt(0)
	global_store_short v[0:1], v3, off
.LBB23_2024:
	s_mov_b32 s0, 0
.LBB23_2025:
	s_andn2_b32 vcc_lo, exec_lo, s0
	s_cbranch_vccnz .LBB23_2041
; %bb.2026:
	s_sext_i32_i16 s1, s16
	s_mov_b32 s0, -1
	s_cmp_lt_i32 s1, 2
	s_cbranch_scc1 .LBB23_2036
; %bb.2027:
	s_cmp_lt_i32 s1, 3
	s_cbranch_scc1 .LBB23_2033
; %bb.2028:
	s_cmp_gt_i32 s1, 3
	s_cbranch_scc0 .LBB23_2030
; %bb.2029:
	s_waitcnt vmcnt(0)
	v_cvt_f32_f16_e32 v2, v3
	s_mov_b32 s0, 0
	v_cvt_i32_f32_e32 v4, v2
	v_ashrrev_i32_e32 v5, 31, v4
	global_store_dwordx2 v[0:1], v[4:5], off
.LBB23_2030:
	s_andn2_b32 vcc_lo, exec_lo, s0
	s_cbranch_vccnz .LBB23_2032
; %bb.2031:
	s_waitcnt vmcnt(0)
	v_cvt_f32_f16_e32 v2, v3
	v_cvt_i32_f32_e32 v2, v2
	global_store_dword v[0:1], v2, off
.LBB23_2032:
	s_mov_b32 s0, 0
.LBB23_2033:
	s_andn2_b32 vcc_lo, exec_lo, s0
	s_cbranch_vccnz .LBB23_2035
; %bb.2034:
	s_waitcnt vmcnt(0)
	v_cvt_i16_f16_e32 v2, v3
	global_store_short v[0:1], v2, off
.LBB23_2035:
	s_mov_b32 s0, 0
.LBB23_2036:
	s_andn2_b32 vcc_lo, exec_lo, s0
	s_cbranch_vccnz .LBB23_2041
; %bb.2037:
	s_sext_i32_i16 s0, s16
	s_cmp_gt_i32 s0, 0
	s_mov_b32 s0, -1
	s_cbranch_scc0 .LBB23_2039
; %bb.2038:
	s_waitcnt vmcnt(0)
	v_cvt_i16_f16_e32 v2, v3
	s_mov_b32 s0, 0
	global_store_byte v[0:1], v2, off
.LBB23_2039:
	s_andn2_b32 vcc_lo, exec_lo, s0
	s_cbranch_vccnz .LBB23_2041
; %bb.2040:
	s_waitcnt vmcnt(0)
	v_cvt_f32_f16_e32 v2, v3
	v_cvt_i32_f32_e32 v2, v2
	global_store_byte v[0:1], v2, off
	s_endpgm
.LBB23_2041:
	s_endpgm
.LBB23_2042:
	s_mov_b32 s2, 0
	s_mov_b32 s0, -1
	s_branch .LBB23_1998
.LBB23_2043:
	s_or_b32 s4, s4, exec_lo
	s_trap 2
	s_cbranch_execz .LBB23_1510
	s_branch .LBB23_1511
.LBB23_2044:
	s_andn2_saveexec_b32 s11, s11
	s_cbranch_execz .LBB23_1592
.LBB23_2045:
	v_add_f32_e64 v8, 0x46000000, |v7|
	s_andn2_b32 s10, s10, exec_lo
	v_and_b32_e32 v8, 0xff, v8
	v_cmp_ne_u32_e32 vcc_lo, 0, v8
	s_and_b32 s12, vcc_lo, exec_lo
	s_or_b32 s10, s10, s12
	s_or_b32 exec_lo, exec_lo, s11
	v_mov_b32_e32 v15, 0
	s_and_saveexec_b32 s11, s10
	s_cbranch_execnz .LBB23_1593
	s_branch .LBB23_1594
.LBB23_2046:
	s_or_b32 s4, s4, exec_lo
	s_trap 2
	s_cbranch_execz .LBB23_1640
	s_branch .LBB23_1641
.LBB23_2047:
	s_andn2_saveexec_b32 s10, s10
	s_cbranch_execz .LBB23_1605
.LBB23_2048:
	v_add_f32_e64 v8, 0x42800000, |v7|
	s_andn2_b32 s5, s5, exec_lo
	v_and_b32_e32 v8, 0xff, v8
	v_cmp_ne_u32_e32 vcc_lo, 0, v8
	s_and_b32 s11, vcc_lo, exec_lo
	s_or_b32 s5, s5, s11
	s_or_b32 exec_lo, exec_lo, s10
	v_mov_b32_e32 v15, 0
	s_and_saveexec_b32 s10, s5
	s_cbranch_execnz .LBB23_1606
	s_branch .LBB23_1607
.LBB23_2049:
	s_andn2_saveexec_b32 s11, s11
	s_cbranch_execz .LBB23_1711
.LBB23_2050:
	v_add_f32_e64 v7, 0x46000000, |v4|
	s_andn2_b32 s10, s10, exec_lo
	v_and_b32_e32 v7, 0xff, v7
	v_cmp_ne_u32_e32 vcc_lo, 0, v7
	s_and_b32 s12, vcc_lo, exec_lo
	s_or_b32 s10, s10, s12
	s_or_b32 exec_lo, exec_lo, s11
	v_mov_b32_e32 v8, 0
	s_and_saveexec_b32 s11, s10
	s_cbranch_execnz .LBB23_1712
	s_branch .LBB23_1713
.LBB23_2051:
	s_or_b32 s4, s4, exec_lo
	s_trap 2
	s_cbranch_execz .LBB23_1759
	s_branch .LBB23_1760
.LBB23_2052:
	s_andn2_saveexec_b32 s10, s10
	s_cbranch_execz .LBB23_1724
.LBB23_2053:
	v_add_f32_e64 v7, 0x42800000, |v4|
	s_andn2_b32 s5, s5, exec_lo
	v_and_b32_e32 v7, 0xff, v7
	v_cmp_ne_u32_e32 vcc_lo, 0, v7
	s_and_b32 s11, vcc_lo, exec_lo
	s_or_b32 s5, s5, s11
	s_or_b32 exec_lo, exec_lo, s10
	v_mov_b32_e32 v8, 0
	s_and_saveexec_b32 s10, s5
	s_cbranch_execnz .LBB23_1725
	s_branch .LBB23_1726
.LBB23_2054:
	s_andn2_saveexec_b32 s11, s11
	s_cbranch_execz .LBB23_1830
.LBB23_2055:
	v_add_f32_e64 v5, 0x46000000, |v4|
	s_andn2_b32 s10, s10, exec_lo
	v_and_b32_e32 v5, 0xff, v5
	v_cmp_ne_u32_e32 vcc_lo, 0, v5
	s_and_b32 s12, vcc_lo, exec_lo
	s_or_b32 s10, s10, s12
	s_or_b32 exec_lo, exec_lo, s11
	v_mov_b32_e32 v7, 0
	s_and_saveexec_b32 s11, s10
	s_cbranch_execnz .LBB23_1831
	s_branch .LBB23_1832
.LBB23_2056:
	s_or_b32 s4, s4, exec_lo
	s_trap 2
	s_cbranch_execz .LBB23_1878
	s_branch .LBB23_1879
.LBB23_2057:
	s_andn2_saveexec_b32 s10, s10
	s_cbranch_execz .LBB23_1843
.LBB23_2058:
	v_add_f32_e64 v5, 0x42800000, |v4|
	s_andn2_b32 s5, s5, exec_lo
	v_and_b32_e32 v5, 0xff, v5
	v_cmp_ne_u32_e32 vcc_lo, 0, v5
	s_and_b32 s11, vcc_lo, exec_lo
	s_or_b32 s5, s5, s11
	s_or_b32 exec_lo, exec_lo, s10
	v_mov_b32_e32 v7, 0
	s_and_saveexec_b32 s10, s5
	s_cbranch_execnz .LBB23_1844
	s_branch .LBB23_1845
.LBB23_2059:
	s_andn2_saveexec_b32 s8, s8
	s_cbranch_execz .LBB23_1950
.LBB23_2060:
	v_add_f32_e64 v4, 0x46000000, |v2|
	s_andn2_b32 s5, s5, exec_lo
	v_and_b32_e32 v4, 0xff, v4
	v_cmp_ne_u32_e32 vcc_lo, 0, v4
	s_and_b32 s9, vcc_lo, exec_lo
	s_or_b32 s5, s5, s9
	s_or_b32 exec_lo, exec_lo, s8
	v_mov_b32_e32 v5, 0
	s_and_saveexec_b32 s8, s5
	s_cbranch_execnz .LBB23_1951
	s_branch .LBB23_1952
.LBB23_2061:
	s_mov_b32 s2, 0
	s_or_b32 s4, s4, exec_lo
	s_trap 2
	s_branch .LBB23_1996
.LBB23_2062:
	s_andn2_saveexec_b32 s5, s5
	s_cbranch_execz .LBB23_1962
.LBB23_2063:
	v_add_f32_e64 v4, 0x42800000, |v2|
	s_andn2_b32 s3, s3, exec_lo
	v_and_b32_e32 v4, 0xff, v4
	v_cmp_ne_u32_e32 vcc_lo, 0, v4
	s_and_b32 s8, vcc_lo, exec_lo
	s_or_b32 s3, s3, s8
	s_or_b32 exec_lo, exec_lo, s5
	v_mov_b32_e32 v5, 0
	s_and_saveexec_b32 s5, s3
	s_cbranch_execnz .LBB23_1963
	s_branch .LBB23_1964
	.section	.rodata,"a",@progbits
	.p2align	6, 0x0
	.amdhsa_kernel _ZN2at6native32elementwise_kernel_manual_unrollILi128ELi4EZNS0_15gpu_kernel_implIZZZNS0_12_GLOBAL__N_139_amp_non_finite_check_and_unscale_cuda_ERNS_6TensorES5_RKS4_ENKUlvE_clEvENKUlvE1_clEvEUlN3c104HalfEE_EEvRNS_18TensorIteratorBaseERKT_EUlibE_EEviT1_
		.amdhsa_group_segment_fixed_size 0
		.amdhsa_private_segment_fixed_size 0
		.amdhsa_kernarg_size 56
		.amdhsa_user_sgpr_count 6
		.amdhsa_user_sgpr_private_segment_buffer 1
		.amdhsa_user_sgpr_dispatch_ptr 0
		.amdhsa_user_sgpr_queue_ptr 0
		.amdhsa_user_sgpr_kernarg_segment_ptr 1
		.amdhsa_user_sgpr_dispatch_id 0
		.amdhsa_user_sgpr_flat_scratch_init 0
		.amdhsa_user_sgpr_private_segment_size 0
		.amdhsa_wavefront_size32 1
		.amdhsa_uses_dynamic_stack 0
		.amdhsa_system_sgpr_private_segment_wavefront_offset 0
		.amdhsa_system_sgpr_workgroup_id_x 1
		.amdhsa_system_sgpr_workgroup_id_y 0
		.amdhsa_system_sgpr_workgroup_id_z 0
		.amdhsa_system_sgpr_workgroup_info 0
		.amdhsa_system_vgpr_workitem_id 0
		.amdhsa_next_free_vgpr 19
		.amdhsa_next_free_sgpr 30
		.amdhsa_reserve_vcc 1
		.amdhsa_reserve_flat_scratch 0
		.amdhsa_float_round_mode_32 0
		.amdhsa_float_round_mode_16_64 0
		.amdhsa_float_denorm_mode_32 3
		.amdhsa_float_denorm_mode_16_64 3
		.amdhsa_dx10_clamp 1
		.amdhsa_ieee_mode 1
		.amdhsa_fp16_overflow 0
		.amdhsa_workgroup_processor_mode 1
		.amdhsa_memory_ordered 1
		.amdhsa_forward_progress 1
		.amdhsa_shared_vgpr_count 0
		.amdhsa_exception_fp_ieee_invalid_op 0
		.amdhsa_exception_fp_denorm_src 0
		.amdhsa_exception_fp_ieee_div_zero 0
		.amdhsa_exception_fp_ieee_overflow 0
		.amdhsa_exception_fp_ieee_underflow 0
		.amdhsa_exception_fp_ieee_inexact 0
		.amdhsa_exception_int_div_zero 0
	.end_amdhsa_kernel
	.section	.text._ZN2at6native32elementwise_kernel_manual_unrollILi128ELi4EZNS0_15gpu_kernel_implIZZZNS0_12_GLOBAL__N_139_amp_non_finite_check_and_unscale_cuda_ERNS_6TensorES5_RKS4_ENKUlvE_clEvENKUlvE1_clEvEUlN3c104HalfEE_EEvRNS_18TensorIteratorBaseERKT_EUlibE_EEviT1_,"axG",@progbits,_ZN2at6native32elementwise_kernel_manual_unrollILi128ELi4EZNS0_15gpu_kernel_implIZZZNS0_12_GLOBAL__N_139_amp_non_finite_check_and_unscale_cuda_ERNS_6TensorES5_RKS4_ENKUlvE_clEvENKUlvE1_clEvEUlN3c104HalfEE_EEvRNS_18TensorIteratorBaseERKT_EUlibE_EEviT1_,comdat
.Lfunc_end23:
	.size	_ZN2at6native32elementwise_kernel_manual_unrollILi128ELi4EZNS0_15gpu_kernel_implIZZZNS0_12_GLOBAL__N_139_amp_non_finite_check_and_unscale_cuda_ERNS_6TensorES5_RKS4_ENKUlvE_clEvENKUlvE1_clEvEUlN3c104HalfEE_EEvRNS_18TensorIteratorBaseERKT_EUlibE_EEviT1_, .Lfunc_end23-_ZN2at6native32elementwise_kernel_manual_unrollILi128ELi4EZNS0_15gpu_kernel_implIZZZNS0_12_GLOBAL__N_139_amp_non_finite_check_and_unscale_cuda_ERNS_6TensorES5_RKS4_ENKUlvE_clEvENKUlvE1_clEvEUlN3c104HalfEE_EEvRNS_18TensorIteratorBaseERKT_EUlibE_EEviT1_
                                        ; -- End function
	.set _ZN2at6native32elementwise_kernel_manual_unrollILi128ELi4EZNS0_15gpu_kernel_implIZZZNS0_12_GLOBAL__N_139_amp_non_finite_check_and_unscale_cuda_ERNS_6TensorES5_RKS4_ENKUlvE_clEvENKUlvE1_clEvEUlN3c104HalfEE_EEvRNS_18TensorIteratorBaseERKT_EUlibE_EEviT1_.num_vgpr, 19
	.set _ZN2at6native32elementwise_kernel_manual_unrollILi128ELi4EZNS0_15gpu_kernel_implIZZZNS0_12_GLOBAL__N_139_amp_non_finite_check_and_unscale_cuda_ERNS_6TensorES5_RKS4_ENKUlvE_clEvENKUlvE1_clEvEUlN3c104HalfEE_EEvRNS_18TensorIteratorBaseERKT_EUlibE_EEviT1_.num_agpr, 0
	.set _ZN2at6native32elementwise_kernel_manual_unrollILi128ELi4EZNS0_15gpu_kernel_implIZZZNS0_12_GLOBAL__N_139_amp_non_finite_check_and_unscale_cuda_ERNS_6TensorES5_RKS4_ENKUlvE_clEvENKUlvE1_clEvEUlN3c104HalfEE_EEvRNS_18TensorIteratorBaseERKT_EUlibE_EEviT1_.numbered_sgpr, 30
	.set _ZN2at6native32elementwise_kernel_manual_unrollILi128ELi4EZNS0_15gpu_kernel_implIZZZNS0_12_GLOBAL__N_139_amp_non_finite_check_and_unscale_cuda_ERNS_6TensorES5_RKS4_ENKUlvE_clEvENKUlvE1_clEvEUlN3c104HalfEE_EEvRNS_18TensorIteratorBaseERKT_EUlibE_EEviT1_.num_named_barrier, 0
	.set _ZN2at6native32elementwise_kernel_manual_unrollILi128ELi4EZNS0_15gpu_kernel_implIZZZNS0_12_GLOBAL__N_139_amp_non_finite_check_and_unscale_cuda_ERNS_6TensorES5_RKS4_ENKUlvE_clEvENKUlvE1_clEvEUlN3c104HalfEE_EEvRNS_18TensorIteratorBaseERKT_EUlibE_EEviT1_.private_seg_size, 0
	.set _ZN2at6native32elementwise_kernel_manual_unrollILi128ELi4EZNS0_15gpu_kernel_implIZZZNS0_12_GLOBAL__N_139_amp_non_finite_check_and_unscale_cuda_ERNS_6TensorES5_RKS4_ENKUlvE_clEvENKUlvE1_clEvEUlN3c104HalfEE_EEvRNS_18TensorIteratorBaseERKT_EUlibE_EEviT1_.uses_vcc, 1
	.set _ZN2at6native32elementwise_kernel_manual_unrollILi128ELi4EZNS0_15gpu_kernel_implIZZZNS0_12_GLOBAL__N_139_amp_non_finite_check_and_unscale_cuda_ERNS_6TensorES5_RKS4_ENKUlvE_clEvENKUlvE1_clEvEUlN3c104HalfEE_EEvRNS_18TensorIteratorBaseERKT_EUlibE_EEviT1_.uses_flat_scratch, 0
	.set _ZN2at6native32elementwise_kernel_manual_unrollILi128ELi4EZNS0_15gpu_kernel_implIZZZNS0_12_GLOBAL__N_139_amp_non_finite_check_and_unscale_cuda_ERNS_6TensorES5_RKS4_ENKUlvE_clEvENKUlvE1_clEvEUlN3c104HalfEE_EEvRNS_18TensorIteratorBaseERKT_EUlibE_EEviT1_.has_dyn_sized_stack, 0
	.set _ZN2at6native32elementwise_kernel_manual_unrollILi128ELi4EZNS0_15gpu_kernel_implIZZZNS0_12_GLOBAL__N_139_amp_non_finite_check_and_unscale_cuda_ERNS_6TensorES5_RKS4_ENKUlvE_clEvENKUlvE1_clEvEUlN3c104HalfEE_EEvRNS_18TensorIteratorBaseERKT_EUlibE_EEviT1_.has_recursion, 0
	.set _ZN2at6native32elementwise_kernel_manual_unrollILi128ELi4EZNS0_15gpu_kernel_implIZZZNS0_12_GLOBAL__N_139_amp_non_finite_check_and_unscale_cuda_ERNS_6TensorES5_RKS4_ENKUlvE_clEvENKUlvE1_clEvEUlN3c104HalfEE_EEvRNS_18TensorIteratorBaseERKT_EUlibE_EEviT1_.has_indirect_call, 0
	.section	.AMDGPU.csdata,"",@progbits
; Kernel info:
; codeLenInByte = 35344
; TotalNumSgprs: 32
; NumVgprs: 19
; ScratchSize: 0
; MemoryBound: 0
; FloatMode: 240
; IeeeMode: 1
; LDSByteSize: 0 bytes/workgroup (compile time only)
; SGPRBlocks: 0
; VGPRBlocks: 2
; NumSGPRsForWavesPerEU: 32
; NumVGPRsForWavesPerEU: 19
; Occupancy: 16
; WaveLimiterHint : 0
; COMPUTE_PGM_RSRC2:SCRATCH_EN: 0
; COMPUTE_PGM_RSRC2:USER_SGPR: 6
; COMPUTE_PGM_RSRC2:TRAP_HANDLER: 0
; COMPUTE_PGM_RSRC2:TGID_X_EN: 1
; COMPUTE_PGM_RSRC2:TGID_Y_EN: 0
; COMPUTE_PGM_RSRC2:TGID_Z_EN: 0
; COMPUTE_PGM_RSRC2:TIDIG_COMP_CNT: 0
	.section	.text._ZN2at6native32elementwise_kernel_manual_unrollILi128ELi4EZNS0_15gpu_kernel_implIZZZNS0_12_GLOBAL__N_139_amp_non_finite_check_and_unscale_cuda_ERNS_6TensorES5_RKS4_ENKUlvE_clEvENKUlvE1_clEvEUlN3c104HalfEE_EEvRNS_18TensorIteratorBaseERKT_EUlibE0_EEviT1_,"axG",@progbits,_ZN2at6native32elementwise_kernel_manual_unrollILi128ELi4EZNS0_15gpu_kernel_implIZZZNS0_12_GLOBAL__N_139_amp_non_finite_check_and_unscale_cuda_ERNS_6TensorES5_RKS4_ENKUlvE_clEvENKUlvE1_clEvEUlN3c104HalfEE_EEvRNS_18TensorIteratorBaseERKT_EUlibE0_EEviT1_,comdat
	.globl	_ZN2at6native32elementwise_kernel_manual_unrollILi128ELi4EZNS0_15gpu_kernel_implIZZZNS0_12_GLOBAL__N_139_amp_non_finite_check_and_unscale_cuda_ERNS_6TensorES5_RKS4_ENKUlvE_clEvENKUlvE1_clEvEUlN3c104HalfEE_EEvRNS_18TensorIteratorBaseERKT_EUlibE0_EEviT1_ ; -- Begin function _ZN2at6native32elementwise_kernel_manual_unrollILi128ELi4EZNS0_15gpu_kernel_implIZZZNS0_12_GLOBAL__N_139_amp_non_finite_check_and_unscale_cuda_ERNS_6TensorES5_RKS4_ENKUlvE_clEvENKUlvE1_clEvEUlN3c104HalfEE_EEvRNS_18TensorIteratorBaseERKT_EUlibE0_EEviT1_
	.p2align	8
	.type	_ZN2at6native32elementwise_kernel_manual_unrollILi128ELi4EZNS0_15gpu_kernel_implIZZZNS0_12_GLOBAL__N_139_amp_non_finite_check_and_unscale_cuda_ERNS_6TensorES5_RKS4_ENKUlvE_clEvENKUlvE1_clEvEUlN3c104HalfEE_EEvRNS_18TensorIteratorBaseERKT_EUlibE0_EEviT1_,@function
_ZN2at6native32elementwise_kernel_manual_unrollILi128ELi4EZNS0_15gpu_kernel_implIZZZNS0_12_GLOBAL__N_139_amp_non_finite_check_and_unscale_cuda_ERNS_6TensorES5_RKS4_ENKUlvE_clEvENKUlvE1_clEvEUlN3c104HalfEE_EEvRNS_18TensorIteratorBaseERKT_EUlibE0_EEviT1_: ; @_ZN2at6native32elementwise_kernel_manual_unrollILi128ELi4EZNS0_15gpu_kernel_implIZZZNS0_12_GLOBAL__N_139_amp_non_finite_check_and_unscale_cuda_ERNS_6TensorES5_RKS4_ENKUlvE_clEvENKUlvE1_clEvEUlN3c104HalfEE_EEvRNS_18TensorIteratorBaseERKT_EUlibE0_EEviT1_
; %bb.0:
	s_clause 0x1
	s_load_dword s28, s[4:5], 0x8
	s_load_dword s37, s[4:5], 0x0
	v_lshl_or_b32 v8, s6, 9, v0
	s_add_u32 s2, s4, 8
	s_addc_u32 s3, s5, 0
	s_mov_b32 s1, -1
	s_mov_b32 s30, 0
	v_or_b32_e32 v15, 0x180, v8
	s_mov_b32 s16, 0
	s_mov_b32 s0, exec_lo
	s_waitcnt lgkmcnt(0)
	s_add_i32 s29, s28, -1
	s_cmp_gt_u32 s29, 1
	s_cselect_b32 s31, -1, 0
	v_cmpx_le_i32_e64 s37, v15
	s_xor_b32 s33, exec_lo, s0
	s_cbranch_execz .LBB24_1097
; %bb.1:
	s_clause 0x4
	s_load_dword s34, s[2:3], 0x168
	s_load_dwordx4 s[20:23], s[2:3], 0x4
	s_load_dwordx2 s[6:7], s[2:3], 0x14
	s_load_dwordx4 s[16:19], s[2:3], 0xc4
	s_load_dwordx8 s[8:15], s[2:3], 0x148
	s_cmp_lg_u32 s28, 0
	s_mov_b32 s43, 0
	s_cselect_b32 s39, -1, 0
	s_add_u32 s24, s2, 0xc4
	s_addc_u32 s25, s3, 0
	s_min_u32 s38, s29, 15
	s_cmp_gt_u32 s28, 1
	s_mov_b32 s41, 0
	s_cselect_b32 s36, -1, 0
	s_mov_b32 s40, 0
	s_mov_b32 s42, exec_lo
	s_waitcnt lgkmcnt(0)
	s_bfe_u32 s35, s34, 0x80008
	v_cmpx_gt_i32_e64 s37, v8
	s_cbranch_execz .LBB24_268
; %bb.2:
	s_andn2_b32 vcc_lo, exec_lo, s31
	s_cbranch_vccnz .LBB24_7
; %bb.3:
	s_andn2_b32 vcc_lo, exec_lo, s39
	s_cbranch_vccnz .LBB24_8
; %bb.4:
	s_add_i32 s41, s38, 1
	s_cmp_eq_u32 s29, 2
	s_cbranch_scc1 .LBB24_9
; %bb.5:
	v_mov_b32_e32 v2, 0
	v_mov_b32_e32 v0, 0
	;; [unrolled: 1-line block ×3, first 2 shown]
	s_and_b32 s40, s41, 28
	s_mov_b32 s44, 0
	s_mov_b64 s[0:1], s[2:3]
	s_mov_b64 s[26:27], s[24:25]
.LBB24_6:                               ; =>This Inner Loop Header: Depth=1
	s_clause 0x1
	s_load_dwordx8 s[48:55], s[0:1], 0x4
	s_load_dwordx4 s[64:67], s[0:1], 0x24
	s_load_dwordx8 s[56:63], s[26:27], 0x0
	s_add_u32 s0, s0, 48
	s_addc_u32 s1, s1, 0
	s_add_i32 s44, s44, 4
	s_add_u32 s26, s26, 32
	s_addc_u32 s27, s27, 0
	s_cmp_lg_u32 s40, s44
	s_waitcnt lgkmcnt(0)
	v_mul_hi_u32 v3, s49, v1
	v_add_nc_u32_e32 v3, v1, v3
	v_lshrrev_b32_e32 v3, s50, v3
	v_mul_hi_u32 v4, s52, v3
	v_mul_lo_u32 v6, v3, s48
	v_add_nc_u32_e32 v4, v3, v4
	v_sub_nc_u32_e32 v1, v1, v6
	v_lshrrev_b32_e32 v4, s53, v4
	v_mul_lo_u32 v6, v1, s56
	v_mul_lo_u32 v9, v1, s57
	v_mul_hi_u32 v5, s55, v4
	v_add_nc_u32_e32 v5, v4, v5
	v_lshrrev_b32_e32 v5, s64, v5
	v_mul_hi_u32 v7, s66, v5
	v_mul_lo_u32 v10, v5, s54
	v_add_nc_u32_e32 v1, v5, v7
	v_mul_lo_u32 v7, v4, s51
	v_sub_nc_u32_e32 v4, v4, v10
	v_lshrrev_b32_e32 v1, s67, v1
	v_mul_lo_u32 v10, v4, s60
	v_mul_lo_u32 v4, v4, s61
	v_sub_nc_u32_e32 v3, v3, v7
	v_mul_lo_u32 v11, v1, s65
	v_mul_lo_u32 v7, v3, s58
	;; [unrolled: 1-line block ×3, first 2 shown]
	v_sub_nc_u32_e32 v5, v5, v11
	v_add3_u32 v0, v6, v0, v7
	v_mul_lo_u32 v11, v5, s62
	v_mul_lo_u32 v5, v5, s63
	v_add3_u32 v2, v9, v2, v3
	v_add3_u32 v0, v10, v0, v11
	;; [unrolled: 1-line block ×3, first 2 shown]
	s_cbranch_scc1 .LBB24_6
	s_branch .LBB24_10
.LBB24_7:
                                        ; implicit-def: $vgpr0
                                        ; implicit-def: $vgpr2
	s_branch .LBB24_14
.LBB24_8:
	v_mov_b32_e32 v0, 0
	v_mov_b32_e32 v2, 0
	s_branch .LBB24_13
.LBB24_9:
	v_mov_b32_e32 v0, 0
	v_mov_b32_e32 v2, 0
	;; [unrolled: 1-line block ×3, first 2 shown]
.LBB24_10:
	s_and_b32 s41, s41, 3
	s_cmp_eq_u32 s41, 0
	s_cbranch_scc1 .LBB24_13
; %bb.11:
	s_lshl_b32 s0, s40, 3
	s_mul_i32 s26, s40, 12
	s_add_u32 s0, s2, s0
	s_addc_u32 s1, s3, 0
	s_add_u32 s0, s0, 0xc4
	s_addc_u32 s1, s1, 0
	;; [unrolled: 2-line block ×3, first 2 shown]
	.p2align	6
.LBB24_12:                              ; =>This Inner Loop Header: Depth=1
	s_clause 0x1
	s_load_dwordx2 s[44:45], s[26:27], 0x4
	s_load_dword s40, s[26:27], 0xc
	s_load_dwordx2 s[46:47], s[0:1], 0x0
	s_add_u32 s26, s26, 12
	s_addc_u32 s27, s27, 0
	s_add_u32 s0, s0, 8
	s_addc_u32 s1, s1, 0
	s_add_i32 s41, s41, -1
	s_cmp_lg_u32 s41, 0
	s_waitcnt lgkmcnt(0)
	v_mul_hi_u32 v3, s45, v1
	v_add_nc_u32_e32 v3, v1, v3
	v_lshrrev_b32_e32 v4, s40, v3
	v_mul_lo_u32 v3, v4, s44
	v_sub_nc_u32_e32 v3, v1, v3
	v_mad_u64_u32 v[0:1], null, v3, s46, v[0:1]
	v_mad_u64_u32 v[2:3], null, v3, s47, v[2:3]
	v_mov_b32_e32 v1, v4
	s_cbranch_scc1 .LBB24_12
.LBB24_13:
	s_cbranch_execnz .LBB24_16
.LBB24_14:
	v_mul_hi_u32 v0, s21, v8
	s_andn2_b32 vcc_lo, exec_lo, s36
	v_add_nc_u32_e32 v0, v8, v0
	v_lshrrev_b32_e32 v1, s22, v0
	v_mul_lo_u32 v0, v1, s20
	v_sub_nc_u32_e32 v2, v8, v0
	v_mul_lo_u32 v0, v2, s16
	v_mul_lo_u32 v2, v2, s17
	s_cbranch_vccnz .LBB24_16
; %bb.15:
	v_mul_hi_u32 v3, s6, v1
	v_add_nc_u32_e32 v3, v1, v3
	v_lshrrev_b32_e32 v3, s7, v3
	v_mul_lo_u32 v3, v3, s23
	v_sub_nc_u32_e32 v3, v1, v3
	v_mad_u64_u32 v[0:1], null, v3, s18, v[0:1]
	v_mad_u64_u32 v[2:3], null, v3, s19, v[2:3]
.LBB24_16:
	v_add_co_u32 v1, s0, s10, v2
	v_add_co_ci_u32_e64 v2, null, s11, 0, s0
	s_and_b32 s0, 0xffff, s35
	s_cmp_lt_i32 s0, 11
	s_cbranch_scc1 .LBB24_23
; %bb.17:
	s_cmp_gt_i32 s0, 25
	s_cbranch_scc0 .LBB24_34
; %bb.18:
	s_cmp_gt_i32 s0, 28
	s_cbranch_scc0 .LBB24_37
	;; [unrolled: 3-line block ×4, first 2 shown]
; %bb.21:
	s_cmp_eq_u32 s0, 46
	s_mov_b32 s27, 0
	s_cbranch_scc0 .LBB24_43
; %bb.22:
	global_load_dword v3, v[1:2], off
	s_mov_b32 s26, -1
	s_mov_b32 s1, 0
	s_waitcnt vmcnt(0)
	v_lshlrev_b32_e32 v3, 16, v3
	v_cvt_f16_f32_e32 v3, v3
	s_branch .LBB24_45
.LBB24_23:
	s_mov_b32 s1, 0
	s_mov_b32 s26, 0
                                        ; implicit-def: $vgpr3
	s_cbranch_execnz .LBB24_218
.LBB24_24:
	s_andn2_b32 vcc_lo, exec_lo, s26
	s_cbranch_vccnz .LBB24_265
.LBB24_25:
	s_waitcnt vmcnt(0)
	v_cvt_f32_f16_e32 v1, v3
	s_mov_b32 s0, exec_lo
	v_cmpx_nlg_f32_e64 0x7f800000, |v1|
	s_cbranch_execz .LBB24_27
; %bb.26:
	v_mov_b32_e32 v2, 0
	v_mov_b32_e32 v4, 1.0
	global_store_dword v2, v4, s[12:13]
.LBB24_27:
	s_or_b32 exec_lo, exec_lo, s0
	v_mov_b32_e32 v2, 0
	v_add_co_u32 v0, s0, s8, v0
	s_and_b32 s26, s34, 0xff
	s_cmp_lt_i32 s26, 11
	global_load_dword v2, v2, s[14:15]
	s_waitcnt vmcnt(0)
	v_fma_mixlo_f16 v4, v2, v1, 0
	v_cmp_eq_f32_e32 vcc_lo, 1.0, v2
	v_add_co_ci_u32_e64 v1, null, s9, 0, s0
	v_cndmask_b32_e32 v2, v4, v3, vcc_lo
	s_cbranch_scc1 .LBB24_35
; %bb.28:
	s_and_b32 s27, 0xffff, s26
	s_cmp_gt_i32 s27, 25
	s_cbranch_scc0 .LBB24_38
; %bb.29:
	s_cmp_gt_i32 s27, 28
	s_cbranch_scc0 .LBB24_40
; %bb.30:
	;; [unrolled: 3-line block ×4, first 2 shown]
	s_mov_b32 s41, 0
	s_mov_b32 s0, -1
	s_cmp_eq_u32 s27, 46
	s_mov_b32 s40, 0
	s_cbranch_scc0 .LBB24_49
; %bb.33:
	v_cvt_f32_f16_e32 v3, v2
	v_cmp_o_f16_e32 vcc_lo, v2, v2
	s_mov_b32 s40, -1
	s_mov_b32 s0, 0
	v_bfe_u32 v4, v3, 16, 1
	v_add3_u32 v3, v3, v4, 0x7fff
	v_mov_b32_e32 v4, 0x7fc0
	v_cndmask_b32_sdwa v3, v4, v3, vcc_lo dst_sel:DWORD dst_unused:UNUSED_PAD src0_sel:DWORD src1_sel:WORD_1
	global_store_dword v[0:1], v3, off
	s_branch .LBB24_49
.LBB24_34:
	s_mov_b32 s1, 0
	s_mov_b32 s26, 0
                                        ; implicit-def: $vgpr3
	s_cbranch_execnz .LBB24_183
	s_branch .LBB24_217
.LBB24_35:
	s_mov_b32 s0, 0
	s_mov_b32 s40, 0
	s_cbranch_execnz .LBB24_118
.LBB24_36:
	s_andn2_b32 vcc_lo, exec_lo, s40
	s_cbranch_vccz .LBB24_156
	s_branch .LBB24_266
.LBB24_37:
	s_mov_b32 s27, -1
	s_mov_b32 s1, 0
	s_mov_b32 s26, 0
                                        ; implicit-def: $vgpr3
	s_branch .LBB24_164
.LBB24_38:
	s_mov_b32 s41, -1
	s_mov_b32 s0, 0
	s_mov_b32 s40, 0
	s_branch .LBB24_76
.LBB24_39:
	s_mov_b32 s27, -1
	s_mov_b32 s1, 0
	s_mov_b32 s26, 0
                                        ; implicit-def: $vgpr3
	s_branch .LBB24_159
.LBB24_40:
	s_mov_b32 s41, -1
	s_mov_b32 s0, 0
	s_mov_b32 s40, 0
	s_branch .LBB24_59
.LBB24_41:
	s_mov_b32 s27, -1
	s_mov_b32 s1, 0
	s_branch .LBB24_44
.LBB24_42:
	s_mov_b32 s41, -1
	s_mov_b32 s0, 0
	s_mov_b32 s40, 0
	s_branch .LBB24_55
.LBB24_43:
	s_mov_b32 s1, -1
.LBB24_44:
	s_mov_b32 s26, 0
                                        ; implicit-def: $vgpr3
.LBB24_45:
	s_and_b32 vcc_lo, exec_lo, s27
	s_cbranch_vccz .LBB24_158
; %bb.46:
	s_cmp_eq_u32 s0, 44
	s_cbranch_scc0 .LBB24_157
; %bb.47:
	global_load_ubyte v3, v[1:2], off
	s_mov_b32 s1, 0
	s_mov_b32 s26, -1
	s_waitcnt vmcnt(0)
	v_lshlrev_b32_e32 v4, 23, v3
	v_cmp_ne_u32_e32 vcc_lo, 0xff, v3
	v_cvt_f16_f32_e32 v4, v4
	v_cndmask_b32_e32 v4, 0x7e00, v4, vcc_lo
	v_cmp_ne_u32_e32 vcc_lo, 0, v3
	v_cndmask_b32_e32 v3, 0, v4, vcc_lo
	s_branch .LBB24_158
.LBB24_48:
	s_mov_b32 s41, -1
	s_mov_b32 s0, 0
	s_mov_b32 s40, 0
.LBB24_49:
	s_and_b32 vcc_lo, exec_lo, s41
	s_cbranch_vccz .LBB24_54
; %bb.50:
	s_cmp_eq_u32 s27, 44
	s_mov_b32 s0, -1
	s_cbranch_scc0 .LBB24_54
; %bb.51:
	v_cvt_f32_f16_e32 v3, v2
	v_mov_b32_e32 v4, 0xff
	s_mov_b32 s40, exec_lo
	v_bfe_u32 v5, v3, 23, 8
	v_cmpx_ne_u32_e32 0xff, v5
	s_cbranch_execz .LBB24_53
; %bb.52:
	v_and_b32_e32 v4, 0x400000, v3
	v_and_or_b32 v5, 0x3fffff, v3, v5
	v_lshrrev_b32_e32 v3, 23, v3
	v_cmp_ne_u32_e32 vcc_lo, 0, v4
	v_cmp_ne_u32_e64 s0, 0, v5
	s_and_b32 s0, vcc_lo, s0
	v_cndmask_b32_e64 v4, 0, 1, s0
	v_add_nc_u32_e32 v4, v3, v4
.LBB24_53:
	s_or_b32 exec_lo, exec_lo, s40
	s_mov_b32 s40, -1
	s_mov_b32 s0, 0
	global_store_byte v[0:1], v4, off
.LBB24_54:
	s_mov_b32 s41, 0
.LBB24_55:
	s_and_b32 vcc_lo, exec_lo, s41
	s_cbranch_vccz .LBB24_58
; %bb.56:
	s_cmp_eq_u32 s27, 29
	s_mov_b32 s0, -1
	s_cbranch_scc0 .LBB24_58
; %bb.57:
	v_cvt_f32_f16_e32 v3, v2
	v_mov_b32_e32 v4, 0
	s_mov_b32 s40, -1
	s_mov_b32 s0, 0
	s_mov_b32 s41, 0
	v_cvt_u32_f32_e32 v3, v3
	global_store_dwordx2 v[0:1], v[3:4], off
	s_branch .LBB24_59
.LBB24_58:
	s_mov_b32 s41, 0
.LBB24_59:
	s_and_b32 vcc_lo, exec_lo, s41
	s_cbranch_vccz .LBB24_75
; %bb.60:
	s_cmp_lt_i32 s27, 27
	s_mov_b32 s40, -1
	s_cbranch_scc1 .LBB24_66
; %bb.61:
	s_cmp_gt_i32 s27, 27
	s_cbranch_scc0 .LBB24_63
; %bb.62:
	v_cvt_f32_f16_e32 v3, v2
	s_mov_b32 s40, 0
	v_cvt_u32_f32_e32 v3, v3
	global_store_dword v[0:1], v3, off
.LBB24_63:
	s_andn2_b32 vcc_lo, exec_lo, s40
	s_cbranch_vccnz .LBB24_65
; %bb.64:
	v_cvt_u16_f16_e32 v3, v2
	global_store_short v[0:1], v3, off
.LBB24_65:
	s_mov_b32 s40, 0
.LBB24_66:
	s_andn2_b32 vcc_lo, exec_lo, s40
	s_cbranch_vccnz .LBB24_74
; %bb.67:
	v_cvt_f32_f16_e32 v3, v2
	v_mov_b32_e32 v5, 0x80
	s_mov_b32 s40, exec_lo
	v_and_b32_e32 v4, 0x7fffffff, v3
	v_cmpx_gt_u32_e32 0x43800000, v4
	s_cbranch_execz .LBB24_73
; %bb.68:
	v_cmp_lt_u32_e32 vcc_lo, 0x3bffffff, v4
	s_mov_b32 s41, 0
                                        ; implicit-def: $vgpr4
	s_and_saveexec_b32 s44, vcc_lo
	s_xor_b32 s44, exec_lo, s44
	s_cbranch_execz .LBB24_311
; %bb.69:
	v_bfe_u32 v4, v3, 20, 1
	s_mov_b32 s41, exec_lo
	v_add3_u32 v4, v3, v4, 0x487ffff
	v_lshrrev_b32_e32 v4, 20, v4
	s_andn2_saveexec_b32 s44, s44
	s_cbranch_execnz .LBB24_312
.LBB24_70:
	s_or_b32 exec_lo, exec_lo, s44
	v_mov_b32_e32 v5, 0
	s_and_saveexec_b32 s44, s41
.LBB24_71:
	v_lshrrev_b32_e32 v3, 24, v3
	v_and_or_b32 v5, 0x80, v3, v4
.LBB24_72:
	s_or_b32 exec_lo, exec_lo, s44
.LBB24_73:
	s_or_b32 exec_lo, exec_lo, s40
	global_store_byte v[0:1], v5, off
.LBB24_74:
	s_mov_b32 s40, -1
.LBB24_75:
	s_mov_b32 s41, 0
.LBB24_76:
	s_and_b32 vcc_lo, exec_lo, s41
	s_cbranch_vccz .LBB24_117
; %bb.77:
	s_cmp_gt_i32 s27, 22
	s_mov_b32 s41, -1
	s_cbranch_scc0 .LBB24_109
; %bb.78:
	s_cmp_lt_i32 s27, 24
	s_mov_b32 s40, -1
	s_cbranch_scc1 .LBB24_98
; %bb.79:
	s_cmp_gt_i32 s27, 24
	s_cbranch_scc0 .LBB24_87
; %bb.80:
	v_cvt_f32_f16_e32 v3, v2
	v_mov_b32_e32 v5, 0x80
	s_mov_b32 s40, exec_lo
	v_and_b32_e32 v4, 0x7fffffff, v3
	v_cmpx_gt_u32_e32 0x47800000, v4
	s_cbranch_execz .LBB24_86
; %bb.81:
	v_cmp_lt_u32_e32 vcc_lo, 0x37ffffff, v4
	s_mov_b32 s41, 0
                                        ; implicit-def: $vgpr4
	s_and_saveexec_b32 s44, vcc_lo
	s_xor_b32 s44, exec_lo, s44
	s_cbranch_execz .LBB24_315
; %bb.82:
	v_bfe_u32 v4, v3, 21, 1
	s_mov_b32 s41, exec_lo
	v_add3_u32 v4, v3, v4, 0x88fffff
	v_lshrrev_b32_e32 v4, 21, v4
	s_andn2_saveexec_b32 s44, s44
	s_cbranch_execnz .LBB24_316
.LBB24_83:
	s_or_b32 exec_lo, exec_lo, s44
	v_mov_b32_e32 v5, 0
	s_and_saveexec_b32 s44, s41
.LBB24_84:
	v_lshrrev_b32_e32 v3, 24, v3
	v_and_or_b32 v5, 0x80, v3, v4
.LBB24_85:
	s_or_b32 exec_lo, exec_lo, s44
.LBB24_86:
	s_or_b32 exec_lo, exec_lo, s40
	s_mov_b32 s40, 0
	global_store_byte v[0:1], v5, off
.LBB24_87:
	s_and_b32 vcc_lo, exec_lo, s40
	s_cbranch_vccz .LBB24_97
; %bb.88:
	v_cvt_f32_f16_e32 v3, v2
	s_mov_b32 s40, exec_lo
                                        ; implicit-def: $vgpr4
	v_and_b32_e32 v5, 0x7fffffff, v3
	v_cmpx_gt_u32_e32 0x43f00000, v5
	s_xor_b32 s40, exec_lo, s40
	s_cbranch_execz .LBB24_94
; %bb.89:
	s_mov_b32 s41, exec_lo
                                        ; implicit-def: $vgpr4
	v_cmpx_lt_u32_e32 0x3c7fffff, v5
	s_xor_b32 s41, exec_lo, s41
; %bb.90:
	v_bfe_u32 v4, v3, 20, 1
	v_add3_u32 v4, v3, v4, 0x407ffff
	v_and_b32_e32 v5, 0xff00000, v4
	v_lshrrev_b32_e32 v4, 20, v4
	v_cmp_ne_u32_e32 vcc_lo, 0x7f00000, v5
	v_cndmask_b32_e32 v4, 0x7e, v4, vcc_lo
; %bb.91:
	s_andn2_saveexec_b32 s41, s41
; %bb.92:
	v_add_f32_e64 v4, 0x46800000, |v3|
; %bb.93:
	s_or_b32 exec_lo, exec_lo, s41
                                        ; implicit-def: $vgpr5
.LBB24_94:
	s_andn2_saveexec_b32 s40, s40
; %bb.95:
	v_mov_b32_e32 v4, 0x7f
	v_cmp_lt_u32_e32 vcc_lo, 0x7f800000, v5
	v_cndmask_b32_e32 v4, 0x7e, v4, vcc_lo
; %bb.96:
	s_or_b32 exec_lo, exec_lo, s40
	v_lshrrev_b32_e32 v3, 24, v3
	v_and_or_b32 v3, 0x80, v3, v4
	global_store_byte v[0:1], v3, off
.LBB24_97:
	s_mov_b32 s40, 0
.LBB24_98:
	s_andn2_b32 vcc_lo, exec_lo, s40
	s_cbranch_vccnz .LBB24_108
; %bb.99:
	v_cvt_f32_f16_e32 v3, v2
	s_mov_b32 s40, exec_lo
                                        ; implicit-def: $vgpr4
	v_and_b32_e32 v5, 0x7fffffff, v3
	v_cmpx_gt_u32_e32 0x47800000, v5
	s_xor_b32 s40, exec_lo, s40
	s_cbranch_execz .LBB24_105
; %bb.100:
	s_mov_b32 s41, exec_lo
                                        ; implicit-def: $vgpr4
	v_cmpx_lt_u32_e32 0x387fffff, v5
	s_xor_b32 s41, exec_lo, s41
; %bb.101:
	v_bfe_u32 v4, v3, 21, 1
	v_add3_u32 v4, v3, v4, 0x80fffff
	v_lshrrev_b32_e32 v4, 21, v4
; %bb.102:
	s_andn2_saveexec_b32 s41, s41
; %bb.103:
	v_add_f32_e64 v4, 0x43000000, |v3|
; %bb.104:
	s_or_b32 exec_lo, exec_lo, s41
                                        ; implicit-def: $vgpr5
.LBB24_105:
	s_andn2_saveexec_b32 s40, s40
; %bb.106:
	v_mov_b32_e32 v4, 0x7f
	v_cmp_lt_u32_e32 vcc_lo, 0x7f800000, v5
	v_cndmask_b32_e32 v4, 0x7c, v4, vcc_lo
; %bb.107:
	s_or_b32 exec_lo, exec_lo, s40
	v_lshrrev_b32_e32 v3, 24, v3
	v_and_or_b32 v3, 0x80, v3, v4
	global_store_byte v[0:1], v3, off
.LBB24_108:
	s_mov_b32 s41, 0
	s_mov_b32 s40, -1
.LBB24_109:
	s_andn2_b32 vcc_lo, exec_lo, s41
	s_cbranch_vccnz .LBB24_117
; %bb.110:
	s_cmp_gt_i32 s27, 14
	s_mov_b32 s41, -1
	s_cbranch_scc0 .LBB24_114
; %bb.111:
	s_cmp_eq_u32 s27, 15
	s_mov_b32 s0, -1
	s_cbranch_scc0 .LBB24_113
; %bb.112:
	v_cvt_f32_f16_e32 v3, v2
	v_cmp_o_f16_e32 vcc_lo, v2, v2
	s_mov_b32 s40, -1
	s_mov_b32 s0, 0
	v_bfe_u32 v4, v3, 16, 1
	v_add3_u32 v3, v3, v4, 0x7fff
	v_mov_b32_e32 v4, 0x7fc0
	v_cndmask_b32_sdwa v3, v4, v3, vcc_lo dst_sel:DWORD dst_unused:UNUSED_PAD src0_sel:DWORD src1_sel:WORD_1
	global_store_short v[0:1], v3, off
.LBB24_113:
	s_mov_b32 s41, 0
.LBB24_114:
	s_and_b32 vcc_lo, exec_lo, s41
	s_cbranch_vccz .LBB24_117
; %bb.115:
	s_cmp_eq_u32 s27, 11
	s_mov_b32 s0, -1
	s_cbranch_scc0 .LBB24_117
; %bb.116:
	v_and_b32_e32 v3, 0x7fff, v2
	s_mov_b32 s0, 0
	s_mov_b32 s40, -1
	v_cmp_ne_u16_e32 vcc_lo, 0, v3
	v_cndmask_b32_e64 v3, 0, 1, vcc_lo
	global_store_byte v[0:1], v3, off
.LBB24_117:
	s_branch .LBB24_36
.LBB24_118:
	s_and_b32 s26, 0xffff, s26
	s_mov_b32 s27, -1
	s_cmp_lt_i32 s26, 5
	s_cbranch_scc1 .LBB24_139
; %bb.119:
	s_cmp_lt_i32 s26, 8
	s_cbranch_scc1 .LBB24_129
; %bb.120:
	;; [unrolled: 3-line block ×3, first 2 shown]
	s_cmp_gt_i32 s26, 9
	s_cbranch_scc0 .LBB24_123
; %bb.122:
	v_cvt_f32_f16_e32 v3, v2
	v_mov_b32_e32 v5, 0
	s_mov_b32 s27, 0
	v_cvt_f64_f32_e32 v[3:4], v3
	v_mov_b32_e32 v6, v5
	global_store_dwordx4 v[0:1], v[3:6], off
.LBB24_123:
	s_andn2_b32 vcc_lo, exec_lo, s27
	s_cbranch_vccnz .LBB24_125
; %bb.124:
	v_cvt_f32_f16_e32 v3, v2
	v_mov_b32_e32 v4, 0
	global_store_dwordx2 v[0:1], v[3:4], off
.LBB24_125:
	s_mov_b32 s27, 0
.LBB24_126:
	s_andn2_b32 vcc_lo, exec_lo, s27
	s_cbranch_vccnz .LBB24_128
; %bb.127:
	v_and_b32_e32 v3, 0xffff, v2
	global_store_dword v[0:1], v3, off
.LBB24_128:
	s_mov_b32 s27, 0
.LBB24_129:
	s_andn2_b32 vcc_lo, exec_lo, s27
	s_cbranch_vccnz .LBB24_138
; %bb.130:
	s_cmp_lt_i32 s26, 6
	s_mov_b32 s27, -1
	s_cbranch_scc1 .LBB24_136
; %bb.131:
	s_cmp_gt_i32 s26, 6
	s_cbranch_scc0 .LBB24_133
; %bb.132:
	v_cvt_f32_f16_e32 v3, v2
	s_mov_b32 s27, 0
	v_cvt_f64_f32_e32 v[3:4], v3
	global_store_dwordx2 v[0:1], v[3:4], off
.LBB24_133:
	s_andn2_b32 vcc_lo, exec_lo, s27
	s_cbranch_vccnz .LBB24_135
; %bb.134:
	v_cvt_f32_f16_e32 v3, v2
	global_store_dword v[0:1], v3, off
.LBB24_135:
	s_mov_b32 s27, 0
.LBB24_136:
	s_andn2_b32 vcc_lo, exec_lo, s27
	s_cbranch_vccnz .LBB24_138
; %bb.137:
	global_store_short v[0:1], v2, off
.LBB24_138:
	s_mov_b32 s27, 0
.LBB24_139:
	s_andn2_b32 vcc_lo, exec_lo, s27
	s_cbranch_vccnz .LBB24_155
; %bb.140:
	s_cmp_lt_i32 s26, 2
	s_mov_b32 s27, -1
	s_cbranch_scc1 .LBB24_150
; %bb.141:
	s_cmp_lt_i32 s26, 3
	s_cbranch_scc1 .LBB24_147
; %bb.142:
	s_cmp_gt_i32 s26, 3
	s_cbranch_scc0 .LBB24_144
; %bb.143:
	v_cvt_f32_f16_e32 v3, v2
	s_mov_b32 s27, 0
	v_cvt_i32_f32_e32 v3, v3
	v_ashrrev_i32_e32 v4, 31, v3
	global_store_dwordx2 v[0:1], v[3:4], off
.LBB24_144:
	s_andn2_b32 vcc_lo, exec_lo, s27
	s_cbranch_vccnz .LBB24_146
; %bb.145:
	v_cvt_f32_f16_e32 v3, v2
	v_cvt_i32_f32_e32 v3, v3
	global_store_dword v[0:1], v3, off
.LBB24_146:
	s_mov_b32 s27, 0
.LBB24_147:
	s_andn2_b32 vcc_lo, exec_lo, s27
	s_cbranch_vccnz .LBB24_149
; %bb.148:
	v_cvt_i16_f16_e32 v3, v2
	global_store_short v[0:1], v3, off
.LBB24_149:
	s_mov_b32 s27, 0
.LBB24_150:
	s_andn2_b32 vcc_lo, exec_lo, s27
	s_cbranch_vccnz .LBB24_155
; %bb.151:
	s_cmp_gt_i32 s26, 0
	s_mov_b32 s26, -1
	s_cbranch_scc0 .LBB24_153
; %bb.152:
	v_cvt_i16_f16_e32 v3, v2
	s_mov_b32 s26, 0
	global_store_byte v[0:1], v3, off
.LBB24_153:
	s_andn2_b32 vcc_lo, exec_lo, s26
	s_cbranch_vccnz .LBB24_155
; %bb.154:
	v_cvt_f32_f16_e32 v2, v2
	v_cvt_i32_f32_e32 v2, v2
	global_store_byte v[0:1], v2, off
.LBB24_155:
.LBB24_156:
	v_add_nc_u32_e32 v8, 0x80, v8
	s_mov_b32 s26, -1
	s_branch .LBB24_267
.LBB24_157:
	s_mov_b32 s1, -1
                                        ; implicit-def: $vgpr3
.LBB24_158:
	s_mov_b32 s27, 0
.LBB24_159:
	s_and_b32 vcc_lo, exec_lo, s27
	s_cbranch_vccz .LBB24_163
; %bb.160:
	s_cmp_eq_u32 s0, 29
	s_cbranch_scc0 .LBB24_162
; %bb.161:
	global_load_dwordx2 v[3:4], v[1:2], off
	s_mov_b32 s26, -1
	s_mov_b32 s1, 0
	s_mov_b32 s27, 0
	s_waitcnt vmcnt(0)
	v_ffbh_u32_e32 v5, v4
	v_min_u32_e32 v5, 32, v5
	v_lshlrev_b64 v[3:4], v5, v[3:4]
	v_min_u32_e32 v3, 1, v3
	v_or_b32_e32 v3, v4, v3
	v_sub_nc_u32_e32 v4, 32, v5
	v_cvt_f32_u32_e32 v3, v3
	v_ldexp_f32 v3, v3, v4
	v_cvt_f16_f32_e32 v3, v3
	s_branch .LBB24_164
.LBB24_162:
	s_mov_b32 s1, -1
                                        ; implicit-def: $vgpr3
.LBB24_163:
	s_mov_b32 s27, 0
.LBB24_164:
	s_and_b32 vcc_lo, exec_lo, s27
	s_cbranch_vccz .LBB24_182
; %bb.165:
	s_cmp_lt_i32 s0, 27
	s_cbranch_scc1 .LBB24_168
; %bb.166:
	s_cmp_gt_i32 s0, 27
	s_cbranch_scc0 .LBB24_169
; %bb.167:
	global_load_dword v3, v[1:2], off
	s_mov_b32 s26, 0
	s_waitcnt vmcnt(0)
	v_cvt_f32_u32_e32 v3, v3
	v_cvt_f16_f32_e32 v3, v3
	s_branch .LBB24_170
.LBB24_168:
	s_mov_b32 s26, -1
                                        ; implicit-def: $vgpr3
	s_branch .LBB24_173
.LBB24_169:
	s_mov_b32 s26, -1
                                        ; implicit-def: $vgpr3
.LBB24_170:
	s_andn2_b32 vcc_lo, exec_lo, s26
	s_cbranch_vccnz .LBB24_172
; %bb.171:
	global_load_ushort v3, v[1:2], off
	s_waitcnt vmcnt(0)
	v_cvt_f16_u16_e32 v3, v3
.LBB24_172:
	s_mov_b32 s26, 0
.LBB24_173:
	s_andn2_b32 vcc_lo, exec_lo, s26
	s_cbranch_vccnz .LBB24_181
; %bb.174:
	global_load_ubyte v4, v[1:2], off
	s_mov_b32 s26, 0
	s_mov_b32 s27, exec_lo
	s_waitcnt vmcnt(0)
	v_cmpx_lt_i16_e32 0x7f, v4
	s_xor_b32 s27, exec_lo, s27
	s_cbranch_execz .LBB24_194
; %bb.175:
	s_mov_b32 s26, -1
	s_mov_b32 s40, exec_lo
	v_cmpx_eq_u16_e32 0x80, v4
; %bb.176:
	s_xor_b32 s26, exec_lo, -1
; %bb.177:
	s_or_b32 exec_lo, exec_lo, s40
	s_and_b32 s26, s26, exec_lo
	s_or_saveexec_b32 s27, s27
	v_mov_b32_e32 v3, 0x7e00
	s_xor_b32 exec_lo, exec_lo, s27
	s_cbranch_execnz .LBB24_195
.LBB24_178:
	s_or_b32 exec_lo, exec_lo, s27
	s_and_saveexec_b32 s27, s26
	s_cbranch_execz .LBB24_180
.LBB24_179:
	v_and_b32_e32 v3, 0xffff, v4
	v_lshlrev_b32_e32 v4, 24, v4
	v_and_b32_e32 v5, 7, v3
	v_bfe_u32 v9, v3, 3, 4
	v_and_b32_e32 v4, 0x80000000, v4
	v_ffbh_u32_e32 v6, v5
	v_cmp_eq_u32_e32 vcc_lo, 0, v9
	v_min_u32_e32 v6, 32, v6
	v_subrev_nc_u32_e32 v7, 28, v6
	v_sub_nc_u32_e32 v6, 29, v6
	v_lshlrev_b32_e32 v3, v7, v3
	v_cndmask_b32_e32 v6, v9, v6, vcc_lo
	v_and_b32_e32 v3, 7, v3
	v_cndmask_b32_e32 v3, v5, v3, vcc_lo
	v_lshl_add_u32 v5, v6, 23, 0x3b800000
	v_lshlrev_b32_e32 v3, 20, v3
	v_or3_b32 v3, v4, v5, v3
	v_cvt_f16_f32_e32 v3, v3
.LBB24_180:
	s_or_b32 exec_lo, exec_lo, s27
.LBB24_181:
	s_mov_b32 s26, -1
.LBB24_182:
	s_branch .LBB24_217
.LBB24_183:
	s_cmp_gt_i32 s0, 22
	s_cbranch_scc0 .LBB24_193
; %bb.184:
	s_cmp_lt_i32 s0, 24
	s_cbranch_scc1 .LBB24_196
; %bb.185:
	s_cmp_gt_i32 s0, 24
	s_cbranch_scc0 .LBB24_197
; %bb.186:
	global_load_ubyte v4, v[1:2], off
	s_mov_b32 s26, 0
	s_mov_b32 s27, exec_lo
	s_waitcnt vmcnt(0)
	v_cmpx_lt_i16_e32 0x7f, v4
	s_xor_b32 s27, exec_lo, s27
	s_cbranch_execz .LBB24_209
; %bb.187:
	s_mov_b32 s26, -1
	s_mov_b32 s40, exec_lo
	v_cmpx_eq_u16_e32 0x80, v4
; %bb.188:
	s_xor_b32 s26, exec_lo, -1
; %bb.189:
	s_or_b32 exec_lo, exec_lo, s40
	s_and_b32 s26, s26, exec_lo
	s_or_saveexec_b32 s27, s27
	v_mov_b32_e32 v3, 0x7e00
	s_xor_b32 exec_lo, exec_lo, s27
	s_cbranch_execnz .LBB24_210
.LBB24_190:
	s_or_b32 exec_lo, exec_lo, s27
	s_and_saveexec_b32 s27, s26
	s_cbranch_execz .LBB24_192
.LBB24_191:
	v_and_b32_e32 v3, 0xffff, v4
	v_lshlrev_b32_e32 v4, 24, v4
	v_and_b32_e32 v5, 3, v3
	v_bfe_u32 v9, v3, 2, 5
	v_and_b32_e32 v4, 0x80000000, v4
	v_ffbh_u32_e32 v6, v5
	v_cmp_eq_u32_e32 vcc_lo, 0, v9
	v_min_u32_e32 v6, 32, v6
	v_subrev_nc_u32_e32 v7, 29, v6
	v_sub_nc_u32_e32 v6, 30, v6
	v_lshlrev_b32_e32 v3, v7, v3
	v_cndmask_b32_e32 v6, v9, v6, vcc_lo
	v_and_b32_e32 v3, 3, v3
	v_cndmask_b32_e32 v3, v5, v3, vcc_lo
	v_lshl_add_u32 v5, v6, 23, 0x37800000
	v_lshlrev_b32_e32 v3, 21, v3
	v_or3_b32 v3, v4, v5, v3
	v_cvt_f16_f32_e32 v3, v3
.LBB24_192:
	s_or_b32 exec_lo, exec_lo, s27
	s_mov_b32 s26, 0
	s_branch .LBB24_198
.LBB24_193:
	s_mov_b32 s27, -1
                                        ; implicit-def: $vgpr3
	s_branch .LBB24_204
.LBB24_194:
	s_or_saveexec_b32 s27, s27
	v_mov_b32_e32 v3, 0x7e00
	s_xor_b32 exec_lo, exec_lo, s27
	s_cbranch_execz .LBB24_178
.LBB24_195:
	v_cmp_ne_u16_e32 vcc_lo, 0, v4
	v_mov_b32_e32 v3, v4
	s_andn2_b32 s26, s26, exec_lo
	s_and_b32 s40, vcc_lo, exec_lo
	s_or_b32 s26, s26, s40
	s_or_b32 exec_lo, exec_lo, s27
	s_and_saveexec_b32 s27, s26
	s_cbranch_execnz .LBB24_179
	s_branch .LBB24_180
.LBB24_196:
	s_mov_b32 s26, -1
                                        ; implicit-def: $vgpr3
	s_branch .LBB24_201
.LBB24_197:
	s_mov_b32 s26, -1
                                        ; implicit-def: $vgpr3
.LBB24_198:
	s_and_b32 vcc_lo, exec_lo, s26
	s_cbranch_vccz .LBB24_200
; %bb.199:
	global_load_ubyte v3, v[1:2], off
	s_waitcnt vmcnt(0)
	v_lshlrev_b32_e32 v3, 24, v3
	v_and_b32_e32 v4, 0x7f000000, v3
	v_ffbh_u32_e32 v5, v4
	v_add_nc_u32_e32 v7, 0x1000000, v4
	v_cmp_ne_u32_e32 vcc_lo, 0, v4
	v_min_u32_e32 v5, 32, v5
	v_sub_nc_u32_e64 v5, v5, 4 clamp
	v_lshlrev_b32_e32 v6, v5, v4
	v_lshlrev_b32_e32 v5, 23, v5
	v_lshrrev_b32_e32 v6, 4, v6
	v_sub_nc_u32_e32 v5, v6, v5
	v_ashrrev_i32_e32 v6, 8, v7
	v_add_nc_u32_e32 v5, 0x3c000000, v5
	v_and_or_b32 v5, 0x7f800000, v6, v5
	v_cndmask_b32_e32 v4, 0, v5, vcc_lo
	v_and_or_b32 v3, 0x80000000, v3, v4
	v_cvt_f16_f32_e32 v3, v3
.LBB24_200:
	s_mov_b32 s26, 0
.LBB24_201:
	s_andn2_b32 vcc_lo, exec_lo, s26
	s_cbranch_vccnz .LBB24_203
; %bb.202:
	global_load_ubyte v3, v[1:2], off
	s_waitcnt vmcnt(0)
	v_lshlrev_b32_e32 v4, 25, v3
	v_lshlrev_b16 v3, 8, v3
	v_lshrrev_b32_e32 v5, 4, v4
	v_and_or_b32 v6, 0x7f00, v3, 0.5
	v_cmp_gt_u32_e32 vcc_lo, 0x8000000, v4
	v_bfe_i32 v3, v3, 0, 16
	v_or_b32_e32 v5, 0x70000000, v5
	v_add_f32_e32 v6, -0.5, v6
	v_mul_f32_e32 v5, 0x7800000, v5
	v_cndmask_b32_e32 v4, v5, v6, vcc_lo
	v_and_or_b32 v3, 0x80000000, v3, v4
	v_cvt_f16_f32_e32 v3, v3
.LBB24_203:
	s_mov_b32 s27, 0
	s_mov_b32 s26, -1
.LBB24_204:
	s_andn2_b32 vcc_lo, exec_lo, s27
	s_cbranch_vccnz .LBB24_217
; %bb.205:
	s_cmp_gt_i32 s0, 14
	s_cbranch_scc0 .LBB24_208
; %bb.206:
	s_cmp_eq_u32 s0, 15
	s_cbranch_scc0 .LBB24_211
; %bb.207:
	global_load_ushort v3, v[1:2], off
	s_mov_b32 s26, -1
	s_mov_b32 s1, 0
	s_waitcnt vmcnt(0)
	v_lshlrev_b32_e32 v3, 16, v3
	v_cvt_f16_f32_e32 v3, v3
	s_branch .LBB24_212
.LBB24_208:
	s_mov_b32 s27, -1
                                        ; implicit-def: $vgpr3
	s_branch .LBB24_213
.LBB24_209:
	s_or_saveexec_b32 s27, s27
	v_mov_b32_e32 v3, 0x7e00
	s_xor_b32 exec_lo, exec_lo, s27
	s_cbranch_execz .LBB24_190
.LBB24_210:
	v_cmp_ne_u16_e32 vcc_lo, 0, v4
	v_mov_b32_e32 v3, v4
	s_andn2_b32 s26, s26, exec_lo
	s_and_b32 s40, vcc_lo, exec_lo
	s_or_b32 s26, s26, s40
	s_or_b32 exec_lo, exec_lo, s27
	s_and_saveexec_b32 s27, s26
	s_cbranch_execnz .LBB24_191
	s_branch .LBB24_192
.LBB24_211:
	s_mov_b32 s1, -1
                                        ; implicit-def: $vgpr3
.LBB24_212:
	s_mov_b32 s27, 0
.LBB24_213:
	s_and_b32 vcc_lo, exec_lo, s27
	s_cbranch_vccz .LBB24_217
; %bb.214:
	s_cmp_eq_u32 s0, 11
	s_cbranch_scc0 .LBB24_216
; %bb.215:
	global_load_ubyte v3, v[1:2], off
	s_mov_b32 s1, 0
	s_mov_b32 s26, -1
	s_waitcnt vmcnt(0)
	v_cmp_ne_u16_e32 vcc_lo, 0, v3
	v_cndmask_b32_e64 v3, 0, 0x3c00, vcc_lo
	s_branch .LBB24_217
.LBB24_216:
	s_mov_b32 s1, -1
                                        ; implicit-def: $vgpr3
.LBB24_217:
	s_branch .LBB24_24
.LBB24_218:
	s_cmp_lt_i32 s0, 5
	s_cbranch_scc1 .LBB24_223
; %bb.219:
	s_cmp_lt_i32 s0, 8
	s_cbranch_scc1 .LBB24_224
; %bb.220:
	;; [unrolled: 3-line block ×3, first 2 shown]
	s_cmp_gt_i32 s0, 9
	s_cbranch_scc0 .LBB24_226
; %bb.222:
	global_load_dwordx2 v[3:4], v[1:2], off
	s_mov_b32 s26, 0
	s_waitcnt vmcnt(0)
	v_and_or_b32 v3, 0x1ff, v4, v3
	v_lshrrev_b32_e32 v5, 8, v4
	v_bfe_u32 v6, v4, 20, 11
	v_lshrrev_b32_e32 v4, 16, v4
	v_cmp_ne_u32_e32 vcc_lo, 0, v3
	v_sub_nc_u32_e32 v7, 0x3f1, v6
	v_add_nc_u32_e32 v6, 0xfffffc10, v6
	v_cndmask_b32_e64 v3, 0, 1, vcc_lo
	v_and_or_b32 v3, 0xffe, v5, v3
	v_med3_i32 v5, v7, 0, 13
	v_or_b32_e32 v7, 0x1000, v3
	v_lshrrev_b32_e32 v9, v5, v7
	v_lshlrev_b32_e32 v5, v5, v9
	v_cmp_ne_u32_e32 vcc_lo, v5, v7
	v_lshl_or_b32 v7, v6, 12, v3
	v_cndmask_b32_e64 v5, 0, 1, vcc_lo
	v_cmp_gt_i32_e32 vcc_lo, 1, v6
	v_or_b32_e32 v5, v9, v5
	v_cndmask_b32_e32 v5, v7, v5, vcc_lo
	v_and_b32_e32 v7, 7, v5
	v_lshrrev_b32_e32 v5, 2, v5
	v_cmp_lt_i32_e32 vcc_lo, 5, v7
	v_cndmask_b32_e64 v9, 0, 1, vcc_lo
	v_cmp_eq_u32_e32 vcc_lo, 3, v7
	v_cndmask_b32_e64 v7, 0, 1, vcc_lo
	v_cmp_ne_u32_e32 vcc_lo, 0, v3
	v_or_b32_e32 v7, v7, v9
	v_mov_b32_e32 v9, 0x7e00
	v_add_nc_u32_e32 v5, v5, v7
	v_cndmask_b32_e32 v3, 0x7c00, v9, vcc_lo
	v_cmp_gt_i32_e32 vcc_lo, 31, v6
	v_cndmask_b32_e32 v5, 0x7c00, v5, vcc_lo
	v_cmp_eq_u32_e32 vcc_lo, 0x40f, v6
	v_cndmask_b32_e32 v3, v5, v3, vcc_lo
	v_and_or_b32 v3, 0x8000, v4, v3
	s_branch .LBB24_227
.LBB24_223:
                                        ; implicit-def: $vgpr3
	s_branch .LBB24_245
.LBB24_224:
	s_mov_b32 s26, -1
                                        ; implicit-def: $vgpr3
	s_branch .LBB24_233
.LBB24_225:
	s_mov_b32 s26, -1
                                        ; implicit-def: $vgpr3
	s_branch .LBB24_230
.LBB24_226:
	s_mov_b32 s26, -1
                                        ; implicit-def: $vgpr3
.LBB24_227:
	s_andn2_b32 vcc_lo, exec_lo, s26
	s_cbranch_vccnz .LBB24_229
; %bb.228:
	global_load_dword v3, v[1:2], off
	s_waitcnt vmcnt(0)
	v_cvt_f16_f32_e32 v3, v3
.LBB24_229:
	s_mov_b32 s26, 0
.LBB24_230:
	s_andn2_b32 vcc_lo, exec_lo, s26
	s_cbranch_vccnz .LBB24_232
; %bb.231:
	global_load_dword v3, v[1:2], off
.LBB24_232:
	s_mov_b32 s26, 0
.LBB24_233:
	s_andn2_b32 vcc_lo, exec_lo, s26
	s_cbranch_vccnz .LBB24_244
; %bb.234:
	s_cmp_lt_i32 s0, 6
	s_cbranch_scc1 .LBB24_237
; %bb.235:
	s_cmp_gt_i32 s0, 6
	s_cbranch_scc0 .LBB24_238
; %bb.236:
	global_load_dwordx2 v[3:4], v[1:2], off
	s_mov_b32 s26, 0
	s_waitcnt vmcnt(0)
	v_and_or_b32 v3, 0x1ff, v4, v3
	v_lshrrev_b32_e32 v5, 8, v4
	v_bfe_u32 v6, v4, 20, 11
	v_lshrrev_b32_e32 v4, 16, v4
	v_cmp_ne_u32_e32 vcc_lo, 0, v3
	v_sub_nc_u32_e32 v7, 0x3f1, v6
	v_add_nc_u32_e32 v6, 0xfffffc10, v6
	v_cndmask_b32_e64 v3, 0, 1, vcc_lo
	v_and_or_b32 v3, 0xffe, v5, v3
	v_med3_i32 v5, v7, 0, 13
	v_or_b32_e32 v7, 0x1000, v3
	v_lshrrev_b32_e32 v9, v5, v7
	v_lshlrev_b32_e32 v5, v5, v9
	v_cmp_ne_u32_e32 vcc_lo, v5, v7
	v_lshl_or_b32 v7, v6, 12, v3
	v_cndmask_b32_e64 v5, 0, 1, vcc_lo
	v_cmp_gt_i32_e32 vcc_lo, 1, v6
	v_or_b32_e32 v5, v9, v5
	v_cndmask_b32_e32 v5, v7, v5, vcc_lo
	v_and_b32_e32 v7, 7, v5
	v_lshrrev_b32_e32 v5, 2, v5
	v_cmp_lt_i32_e32 vcc_lo, 5, v7
	v_cndmask_b32_e64 v9, 0, 1, vcc_lo
	v_cmp_eq_u32_e32 vcc_lo, 3, v7
	v_cndmask_b32_e64 v7, 0, 1, vcc_lo
	v_cmp_ne_u32_e32 vcc_lo, 0, v3
	v_or_b32_e32 v7, v7, v9
	v_mov_b32_e32 v9, 0x7e00
	v_add_nc_u32_e32 v5, v5, v7
	v_cndmask_b32_e32 v3, 0x7c00, v9, vcc_lo
	v_cmp_gt_i32_e32 vcc_lo, 31, v6
	v_cndmask_b32_e32 v5, 0x7c00, v5, vcc_lo
	v_cmp_eq_u32_e32 vcc_lo, 0x40f, v6
	v_cndmask_b32_e32 v3, v5, v3, vcc_lo
	v_and_or_b32 v3, 0x8000, v4, v3
	s_branch .LBB24_239
.LBB24_237:
	s_mov_b32 s26, -1
                                        ; implicit-def: $vgpr3
	s_branch .LBB24_242
.LBB24_238:
	s_mov_b32 s26, -1
                                        ; implicit-def: $vgpr3
.LBB24_239:
	s_andn2_b32 vcc_lo, exec_lo, s26
	s_cbranch_vccnz .LBB24_241
; %bb.240:
	global_load_dword v3, v[1:2], off
	s_waitcnt vmcnt(0)
	v_cvt_f16_f32_e32 v3, v3
.LBB24_241:
	s_mov_b32 s26, 0
.LBB24_242:
	s_andn2_b32 vcc_lo, exec_lo, s26
	s_cbranch_vccnz .LBB24_244
; %bb.243:
	global_load_ushort v3, v[1:2], off
.LBB24_244:
	s_cbranch_execnz .LBB24_264
.LBB24_245:
	s_cmp_lt_i32 s0, 2
	s_cbranch_scc1 .LBB24_249
; %bb.246:
	s_cmp_lt_i32 s0, 3
	s_cbranch_scc1 .LBB24_250
; %bb.247:
	s_cmp_gt_i32 s0, 3
	s_cbranch_scc0 .LBB24_251
; %bb.248:
	global_load_dwordx2 v[3:4], v[1:2], off
	s_mov_b32 s26, 0
	s_waitcnt vmcnt(0)
	v_xor_b32_e32 v5, v3, v4
	v_ffbh_i32_e32 v6, v4
	v_ashrrev_i32_e32 v5, 31, v5
	v_add_nc_u32_e32 v6, -1, v6
	v_add_nc_u32_e32 v5, 32, v5
	v_min_u32_e32 v5, v6, v5
	v_lshlrev_b64 v[3:4], v5, v[3:4]
	v_min_u32_e32 v3, 1, v3
	v_or_b32_e32 v3, v4, v3
	v_sub_nc_u32_e32 v4, 32, v5
	v_cvt_f32_i32_e32 v3, v3
	v_ldexp_f32 v3, v3, v4
	v_cvt_f16_f32_e32 v3, v3
	s_branch .LBB24_252
.LBB24_249:
	s_mov_b32 s26, -1
                                        ; implicit-def: $vgpr3
	s_branch .LBB24_258
.LBB24_250:
	s_mov_b32 s26, -1
                                        ; implicit-def: $vgpr3
	s_branch .LBB24_255
.LBB24_251:
	s_mov_b32 s26, -1
                                        ; implicit-def: $vgpr3
.LBB24_252:
	s_andn2_b32 vcc_lo, exec_lo, s26
	s_cbranch_vccnz .LBB24_254
; %bb.253:
	global_load_dword v3, v[1:2], off
	s_waitcnt vmcnt(0)
	v_cvt_f32_i32_e32 v3, v3
	v_cvt_f16_f32_e32 v3, v3
.LBB24_254:
	s_mov_b32 s26, 0
.LBB24_255:
	s_andn2_b32 vcc_lo, exec_lo, s26
	s_cbranch_vccnz .LBB24_257
; %bb.256:
	global_load_ushort v3, v[1:2], off
	s_waitcnt vmcnt(0)
	v_cvt_f16_i16_e32 v3, v3
.LBB24_257:
	s_mov_b32 s26, 0
.LBB24_258:
	s_andn2_b32 vcc_lo, exec_lo, s26
	s_cbranch_vccnz .LBB24_264
; %bb.259:
	s_cmp_gt_i32 s0, 0
	s_mov_b32 s0, 0
	s_cbranch_scc0 .LBB24_261
; %bb.260:
	global_load_sbyte v3, v[1:2], off
	s_waitcnt vmcnt(0)
	v_cvt_f16_i16_e32 v3, v3
	s_branch .LBB24_262
.LBB24_261:
	s_mov_b32 s0, -1
                                        ; implicit-def: $vgpr3
.LBB24_262:
	s_andn2_b32 vcc_lo, exec_lo, s0
	s_cbranch_vccnz .LBB24_264
; %bb.263:
	global_load_ubyte v1, v[1:2], off
	s_waitcnt vmcnt(0)
	v_cvt_f16_u16_e32 v3, v1
.LBB24_264:
	s_branch .LBB24_25
.LBB24_265:
	s_mov_b32 s0, 0
.LBB24_266:
	s_mov_b32 s26, 0
                                        ; implicit-def: $vgpr8
.LBB24_267:
	s_and_b32 s40, s0, exec_lo
	s_and_b32 s41, s1, exec_lo
	s_orn2_b32 s1, s26, exec_lo
.LBB24_268:
	s_or_b32 exec_lo, exec_lo, s42
	s_mov_b32 s26, 0
	s_mov_b32 s0, 0
                                        ; implicit-def: $vgpr1_vgpr2
                                        ; implicit-def: $vgpr0
                                        ; implicit-def: $vgpr4
	s_and_saveexec_b32 s42, s1
	s_cbranch_execz .LBB24_275
; %bb.269:
	s_mov_b32 s0, -1
	s_mov_b32 s43, s41
	s_mov_b32 s44, s40
	s_mov_b32 s45, exec_lo
	v_cmpx_gt_i32_e64 s37, v8
	s_cbranch_execz .LBB24_547
; %bb.270:
	s_andn2_b32 vcc_lo, exec_lo, s31
	s_cbranch_vccnz .LBB24_278
; %bb.271:
	s_andn2_b32 vcc_lo, exec_lo, s39
	s_cbranch_vccnz .LBB24_279
; %bb.272:
	s_add_i32 s44, s38, 1
	s_cmp_eq_u32 s29, 2
	s_cbranch_scc1 .LBB24_280
; %bb.273:
	v_mov_b32_e32 v2, 0
	v_mov_b32_e32 v0, 0
	v_mov_b32_e32 v1, v8
	s_and_b32 s43, s44, 28
	s_mov_b32 s46, 0
	s_mov_b64 s[0:1], s[2:3]
	s_mov_b64 s[26:27], s[24:25]
.LBB24_274:                             ; =>This Inner Loop Header: Depth=1
	s_clause 0x1
	s_load_dwordx8 s[48:55], s[0:1], 0x4
	s_load_dwordx4 s[64:67], s[0:1], 0x24
	s_load_dwordx8 s[56:63], s[26:27], 0x0
	s_add_u32 s0, s0, 48
	s_addc_u32 s1, s1, 0
	s_add_i32 s46, s46, 4
	s_add_u32 s26, s26, 32
	s_addc_u32 s27, s27, 0
	s_cmp_eq_u32 s43, s46
	s_waitcnt vmcnt(0) lgkmcnt(0)
	v_mul_hi_u32 v3, s49, v1
	v_add_nc_u32_e32 v3, v1, v3
	v_lshrrev_b32_e32 v3, s50, v3
	v_mul_hi_u32 v4, s52, v3
	v_mul_lo_u32 v6, v3, s48
	v_add_nc_u32_e32 v4, v3, v4
	v_sub_nc_u32_e32 v1, v1, v6
	v_lshrrev_b32_e32 v4, s53, v4
	v_mul_lo_u32 v6, v1, s56
	v_mul_lo_u32 v9, v1, s57
	v_mul_hi_u32 v5, s55, v4
	v_add_nc_u32_e32 v5, v4, v5
	v_lshrrev_b32_e32 v5, s64, v5
	v_mul_hi_u32 v7, s66, v5
	v_mul_lo_u32 v10, v5, s54
	v_add_nc_u32_e32 v1, v5, v7
	v_mul_lo_u32 v7, v4, s51
	v_sub_nc_u32_e32 v4, v4, v10
	v_lshrrev_b32_e32 v1, s67, v1
	v_mul_lo_u32 v10, v4, s60
	v_mul_lo_u32 v4, v4, s61
	v_sub_nc_u32_e32 v3, v3, v7
	v_mul_lo_u32 v11, v1, s65
	v_mul_lo_u32 v7, v3, s58
	;; [unrolled: 1-line block ×3, first 2 shown]
	v_sub_nc_u32_e32 v5, v5, v11
	v_add3_u32 v0, v6, v0, v7
	v_mul_lo_u32 v11, v5, s62
	v_mul_lo_u32 v5, v5, s63
	v_add3_u32 v2, v9, v2, v3
	v_add3_u32 v0, v10, v0, v11
	;; [unrolled: 1-line block ×3, first 2 shown]
	s_cbranch_scc0 .LBB24_274
	s_branch .LBB24_281
.LBB24_275:
	s_or_b32 exec_lo, exec_lo, s42
	s_mov_b32 s1, 0
	s_and_saveexec_b32 s6, s41
	s_cbranch_execnz .LBB24_927
.LBB24_276:
	s_or_b32 exec_lo, exec_lo, s6
	s_and_saveexec_b32 s6, s43
	s_xor_b32 s6, exec_lo, s6
	s_cbranch_execz .LBB24_928
.LBB24_277:
	global_load_ubyte v3, v[1:2], off
	s_or_b32 s0, s0, exec_lo
	s_waitcnt vmcnt(0)
	v_cmp_ne_u16_e32 vcc_lo, 0, v3
	v_cndmask_b32_e64 v4, 0, 0x3c00, vcc_lo
	s_or_b32 exec_lo, exec_lo, s6
	s_and_saveexec_b32 s6, s26
	s_cbranch_execz .LBB24_974
	s_branch .LBB24_929
.LBB24_278:
                                        ; implicit-def: $vgpr0
                                        ; implicit-def: $vgpr2
	s_andn2_b32 vcc_lo, exec_lo, s0
	s_cbranch_vccz .LBB24_285
	s_branch .LBB24_287
.LBB24_279:
	v_mov_b32_e32 v0, 0
	v_mov_b32_e32 v2, 0
	s_branch .LBB24_284
.LBB24_280:
	v_mov_b32_e32 v0, 0
	v_mov_b32_e32 v2, 0
	;; [unrolled: 1-line block ×3, first 2 shown]
	s_mov_b32 s43, 0
.LBB24_281:
	s_and_b32 s44, s44, 3
	s_cmp_eq_u32 s44, 0
	s_cbranch_scc1 .LBB24_284
; %bb.282:
	s_lshl_b32 s0, s43, 3
	s_mul_i32 s26, s43, 12
	s_add_u32 s0, s2, s0
	s_addc_u32 s1, s3, 0
	s_add_u32 s0, s0, 0xc4
	s_addc_u32 s1, s1, 0
	;; [unrolled: 2-line block ×3, first 2 shown]
	.p2align	6
.LBB24_283:                             ; =>This Inner Loop Header: Depth=1
	s_clause 0x1
	s_load_dwordx2 s[46:47], s[26:27], 0x4
	s_load_dword s43, s[26:27], 0xc
	s_load_dwordx2 s[48:49], s[0:1], 0x0
	s_add_u32 s26, s26, 12
	s_addc_u32 s27, s27, 0
	s_add_u32 s0, s0, 8
	s_addc_u32 s1, s1, 0
	s_add_i32 s44, s44, -1
	s_cmp_lg_u32 s44, 0
	s_waitcnt vmcnt(0) lgkmcnt(0)
	v_mul_hi_u32 v3, s47, v1
	v_add_nc_u32_e32 v3, v1, v3
	v_lshrrev_b32_e32 v4, s43, v3
	v_mul_lo_u32 v3, v4, s46
	v_sub_nc_u32_e32 v3, v1, v3
	v_mad_u64_u32 v[0:1], null, v3, s48, v[0:1]
	v_mad_u64_u32 v[2:3], null, v3, s49, v[2:3]
	v_mov_b32_e32 v1, v4
	s_cbranch_scc1 .LBB24_283
.LBB24_284:
	s_cbranch_execnz .LBB24_287
.LBB24_285:
	v_mul_hi_u32 v0, s21, v8
	s_andn2_b32 vcc_lo, exec_lo, s36
	v_add_nc_u32_e32 v0, v8, v0
	v_lshrrev_b32_e32 v1, s22, v0
	v_mul_lo_u32 v0, v1, s20
	v_sub_nc_u32_e32 v2, v8, v0
	v_mul_lo_u32 v0, v2, s16
	v_mul_lo_u32 v2, v2, s17
	s_cbranch_vccnz .LBB24_287
; %bb.286:
	s_waitcnt vmcnt(0)
	v_mul_hi_u32 v3, s6, v1
	v_add_nc_u32_e32 v3, v1, v3
	v_lshrrev_b32_e32 v3, s7, v3
	v_mul_lo_u32 v3, v3, s23
	v_sub_nc_u32_e32 v3, v1, v3
	v_mad_u64_u32 v[0:1], null, v3, s18, v[0:1]
	v_mad_u64_u32 v[2:3], null, v3, s19, v[2:3]
.LBB24_287:
	v_add_co_u32 v1, s0, s10, v2
	v_add_co_ci_u32_e64 v2, null, s11, 0, s0
	s_and_b32 s0, 0xffff, s35
	s_cmp_lt_i32 s0, 11
	s_cbranch_scc1 .LBB24_294
; %bb.288:
	s_cmp_gt_i32 s0, 25
	s_cbranch_scc0 .LBB24_305
; %bb.289:
	s_cmp_gt_i32 s0, 28
	s_cbranch_scc0 .LBB24_307
	;; [unrolled: 3-line block ×4, first 2 shown]
; %bb.292:
	s_cmp_eq_u32 s0, 46
	s_mov_b32 s27, 0
	s_cbranch_scc0 .LBB24_317
; %bb.293:
	global_load_dword v3, v[1:2], off
	s_mov_b32 s26, -1
	s_mov_b32 s1, 0
	s_waitcnt vmcnt(0)
	v_lshlrev_b32_e32 v3, 16, v3
	v_cvt_f16_f32_e32 v3, v3
	s_branch .LBB24_319
.LBB24_294:
	s_mov_b32 s26, 0
	s_mov_b32 s1, s41
                                        ; implicit-def: $vgpr3
	s_cbranch_execnz .LBB24_496
.LBB24_295:
	s_andn2_b32 vcc_lo, exec_lo, s26
	s_cbranch_vccnz .LBB24_544
.LBB24_296:
	s_waitcnt vmcnt(0)
	v_cvt_f32_f16_e32 v1, v3
	s_mov_b32 s0, exec_lo
	v_cmpx_nlg_f32_e64 0x7f800000, |v1|
	s_cbranch_execz .LBB24_298
; %bb.297:
	v_mov_b32_e32 v2, 0
	v_mov_b32_e32 v4, 1.0
	global_store_dword v2, v4, s[12:13]
.LBB24_298:
	s_or_b32 exec_lo, exec_lo, s0
	v_mov_b32_e32 v2, 0
	v_add_co_u32 v0, s0, s8, v0
	s_and_b32 s26, s34, 0xff
	s_cmp_lt_i32 s26, 11
	global_load_dword v2, v2, s[14:15]
	s_waitcnt vmcnt(0)
	v_fma_mixlo_f16 v4, v2, v1, 0
	v_cmp_eq_f32_e32 vcc_lo, 1.0, v2
	v_add_co_ci_u32_e64 v1, null, s9, 0, s0
	v_cndmask_b32_e32 v2, v4, v3, vcc_lo
	s_cbranch_scc1 .LBB24_306
; %bb.299:
	s_and_b32 s27, 0xffff, s26
	s_cmp_gt_i32 s27, 25
	s_cbranch_scc0 .LBB24_308
; %bb.300:
	s_cmp_gt_i32 s27, 28
	s_cbranch_scc0 .LBB24_310
; %bb.301:
	;; [unrolled: 3-line block ×4, first 2 shown]
	s_mov_b32 s44, 0
	s_mov_b32 s0, -1
	s_cmp_eq_u32 s27, 46
	s_mov_b32 s43, 0
	s_cbranch_scc0 .LBB24_323
; %bb.304:
	v_cvt_f32_f16_e32 v3, v2
	v_cmp_o_f16_e32 vcc_lo, v2, v2
	s_mov_b32 s43, -1
	s_mov_b32 s0, 0
	v_bfe_u32 v4, v3, 16, 1
	v_add3_u32 v3, v3, v4, 0x7fff
	v_mov_b32_e32 v4, 0x7fc0
	v_cndmask_b32_sdwa v3, v4, v3, vcc_lo dst_sel:DWORD dst_unused:UNUSED_PAD src0_sel:DWORD src1_sel:WORD_1
	global_store_dword v[0:1], v3, off
	s_branch .LBB24_323
.LBB24_305:
	s_mov_b32 s27, -1
	s_mov_b32 s26, 0
	s_mov_b32 s1, s41
                                        ; implicit-def: $vgpr3
	s_branch .LBB24_460
.LBB24_306:
	s_mov_b32 s27, -1
	s_mov_b32 s43, 0
	s_mov_b32 s0, s40
	s_branch .LBB24_392
.LBB24_307:
	s_mov_b32 s27, -1
	s_mov_b32 s26, 0
	s_mov_b32 s1, s41
                                        ; implicit-def: $vgpr3
	s_branch .LBB24_441
.LBB24_308:
	s_mov_b32 s44, -1
	s_mov_b32 s43, 0
	s_mov_b32 s0, s40
	s_branch .LBB24_350
.LBB24_309:
	s_mov_b32 s27, -1
	s_mov_b32 s26, 0
	s_mov_b32 s1, s41
                                        ; implicit-def: $vgpr3
	s_branch .LBB24_436
.LBB24_310:
	s_mov_b32 s44, -1
	s_mov_b32 s43, 0
	s_mov_b32 s0, s40
	s_branch .LBB24_333
.LBB24_311:
	s_andn2_saveexec_b32 s44, s44
	s_cbranch_execz .LBB24_70
.LBB24_312:
	v_add_f32_e64 v4, 0x46000000, |v3|
	s_andn2_b32 s41, s41, exec_lo
	v_and_b32_e32 v4, 0xff, v4
	v_cmp_ne_u32_e32 vcc_lo, 0, v4
	s_and_b32 s45, vcc_lo, exec_lo
	s_or_b32 s41, s41, s45
	s_or_b32 exec_lo, exec_lo, s44
	v_mov_b32_e32 v5, 0
	s_and_saveexec_b32 s44, s41
	s_cbranch_execnz .LBB24_71
	s_branch .LBB24_72
.LBB24_313:
	s_mov_b32 s27, -1
	s_mov_b32 s26, 0
	s_mov_b32 s1, s41
	s_branch .LBB24_318
.LBB24_314:
	s_mov_b32 s44, -1
	s_mov_b32 s43, 0
	s_mov_b32 s0, s40
	s_branch .LBB24_329
.LBB24_315:
	s_andn2_saveexec_b32 s44, s44
	s_cbranch_execz .LBB24_83
.LBB24_316:
	v_add_f32_e64 v4, 0x42800000, |v3|
	s_andn2_b32 s41, s41, exec_lo
	v_and_b32_e32 v4, 0xff, v4
	v_cmp_ne_u32_e32 vcc_lo, 0, v4
	s_and_b32 s45, vcc_lo, exec_lo
	s_or_b32 s41, s41, s45
	s_or_b32 exec_lo, exec_lo, s44
	v_mov_b32_e32 v5, 0
	s_and_saveexec_b32 s44, s41
	s_cbranch_execnz .LBB24_84
	s_branch .LBB24_85
.LBB24_317:
	s_mov_b32 s1, -1
	s_mov_b32 s26, 0
.LBB24_318:
                                        ; implicit-def: $vgpr3
.LBB24_319:
	s_and_b32 vcc_lo, exec_lo, s27
	s_cbranch_vccz .LBB24_435
; %bb.320:
	s_cmp_eq_u32 s0, 44
	s_cbranch_scc0 .LBB24_434
; %bb.321:
	global_load_ubyte v3, v[1:2], off
	s_mov_b32 s1, 0
	s_mov_b32 s26, -1
	s_waitcnt vmcnt(0)
	v_lshlrev_b32_e32 v4, 23, v3
	v_cmp_ne_u32_e32 vcc_lo, 0xff, v3
	v_cvt_f16_f32_e32 v4, v4
	v_cndmask_b32_e32 v4, 0x7e00, v4, vcc_lo
	v_cmp_ne_u32_e32 vcc_lo, 0, v3
	v_cndmask_b32_e32 v3, 0, v4, vcc_lo
	s_branch .LBB24_435
.LBB24_322:
	s_mov_b32 s44, -1
	s_mov_b32 s43, 0
	s_mov_b32 s0, s40
.LBB24_323:
	s_and_b32 vcc_lo, exec_lo, s44
	s_cbranch_vccz .LBB24_328
; %bb.324:
	s_cmp_eq_u32 s27, 44
	s_mov_b32 s0, -1
	s_cbranch_scc0 .LBB24_328
; %bb.325:
	v_cvt_f32_f16_e32 v3, v2
	v_mov_b32_e32 v4, 0xff
	s_mov_b32 s43, exec_lo
	v_bfe_u32 v5, v3, 23, 8
	v_cmpx_ne_u32_e32 0xff, v5
	s_cbranch_execz .LBB24_327
; %bb.326:
	v_and_b32_e32 v4, 0x400000, v3
	v_and_or_b32 v5, 0x3fffff, v3, v5
	v_lshrrev_b32_e32 v3, 23, v3
	v_cmp_ne_u32_e32 vcc_lo, 0, v4
	v_cmp_ne_u32_e64 s0, 0, v5
	s_and_b32 s0, vcc_lo, s0
	v_cndmask_b32_e64 v4, 0, 1, s0
	v_add_nc_u32_e32 v4, v3, v4
.LBB24_327:
	s_or_b32 exec_lo, exec_lo, s43
	s_mov_b32 s43, -1
	s_mov_b32 s0, 0
	global_store_byte v[0:1], v4, off
.LBB24_328:
	s_mov_b32 s44, 0
.LBB24_329:
	s_and_b32 vcc_lo, exec_lo, s44
	s_cbranch_vccz .LBB24_332
; %bb.330:
	s_cmp_eq_u32 s27, 29
	s_mov_b32 s0, -1
	s_cbranch_scc0 .LBB24_332
; %bb.331:
	v_cvt_f32_f16_e32 v3, v2
	v_mov_b32_e32 v4, 0
	s_mov_b32 s43, -1
	s_mov_b32 s0, 0
	s_mov_b32 s44, 0
	v_cvt_u32_f32_e32 v3, v3
	global_store_dwordx2 v[0:1], v[3:4], off
	s_branch .LBB24_333
.LBB24_332:
	s_mov_b32 s44, 0
.LBB24_333:
	s_and_b32 vcc_lo, exec_lo, s44
	s_cbranch_vccz .LBB24_349
; %bb.334:
	s_cmp_lt_i32 s27, 27
	s_mov_b32 s43, -1
	s_cbranch_scc1 .LBB24_340
; %bb.335:
	s_cmp_gt_i32 s27, 27
	s_cbranch_scc0 .LBB24_337
; %bb.336:
	v_cvt_f32_f16_e32 v3, v2
	s_mov_b32 s43, 0
	v_cvt_u32_f32_e32 v3, v3
	global_store_dword v[0:1], v3, off
.LBB24_337:
	s_andn2_b32 vcc_lo, exec_lo, s43
	s_cbranch_vccnz .LBB24_339
; %bb.338:
	v_cvt_u16_f16_e32 v3, v2
	global_store_short v[0:1], v3, off
.LBB24_339:
	s_mov_b32 s43, 0
.LBB24_340:
	s_andn2_b32 vcc_lo, exec_lo, s43
	s_cbranch_vccnz .LBB24_348
; %bb.341:
	v_cvt_f32_f16_e32 v3, v2
	v_mov_b32_e32 v5, 0x80
	s_mov_b32 s43, exec_lo
	v_and_b32_e32 v4, 0x7fffffff, v3
	v_cmpx_gt_u32_e32 0x43800000, v4
	s_cbranch_execz .LBB24_347
; %bb.342:
	v_cmp_lt_u32_e32 vcc_lo, 0x3bffffff, v4
	s_mov_b32 s44, 0
                                        ; implicit-def: $vgpr4
	s_and_saveexec_b32 s46, vcc_lo
	s_xor_b32 s46, exec_lo, s46
	s_cbranch_execz .LBB24_575
; %bb.343:
	v_bfe_u32 v4, v3, 20, 1
	s_mov_b32 s44, exec_lo
	v_add3_u32 v4, v3, v4, 0x487ffff
	v_lshrrev_b32_e32 v4, 20, v4
	s_andn2_saveexec_b32 s46, s46
	s_cbranch_execnz .LBB24_576
.LBB24_344:
	s_or_b32 exec_lo, exec_lo, s46
	v_mov_b32_e32 v5, 0
	s_and_saveexec_b32 s46, s44
.LBB24_345:
	v_lshrrev_b32_e32 v3, 24, v3
	v_and_or_b32 v5, 0x80, v3, v4
.LBB24_346:
	s_or_b32 exec_lo, exec_lo, s46
.LBB24_347:
	s_or_b32 exec_lo, exec_lo, s43
	global_store_byte v[0:1], v5, off
.LBB24_348:
	s_mov_b32 s43, -1
.LBB24_349:
	s_mov_b32 s44, 0
.LBB24_350:
	s_and_b32 vcc_lo, exec_lo, s44
	s_cbranch_vccz .LBB24_391
; %bb.351:
	s_cmp_gt_i32 s27, 22
	s_mov_b32 s44, -1
	s_cbranch_scc0 .LBB24_383
; %bb.352:
	s_cmp_lt_i32 s27, 24
	s_mov_b32 s43, -1
	s_cbranch_scc1 .LBB24_372
; %bb.353:
	s_cmp_gt_i32 s27, 24
	s_cbranch_scc0 .LBB24_361
; %bb.354:
	v_cvt_f32_f16_e32 v3, v2
	v_mov_b32_e32 v5, 0x80
	s_mov_b32 s43, exec_lo
	v_and_b32_e32 v4, 0x7fffffff, v3
	v_cmpx_gt_u32_e32 0x47800000, v4
	s_cbranch_execz .LBB24_360
; %bb.355:
	v_cmp_lt_u32_e32 vcc_lo, 0x37ffffff, v4
	s_mov_b32 s44, 0
                                        ; implicit-def: $vgpr4
	s_and_saveexec_b32 s46, vcc_lo
	s_xor_b32 s46, exec_lo, s46
	s_cbranch_execz .LBB24_578
; %bb.356:
	v_bfe_u32 v4, v3, 21, 1
	s_mov_b32 s44, exec_lo
	v_add3_u32 v4, v3, v4, 0x88fffff
	v_lshrrev_b32_e32 v4, 21, v4
	s_andn2_saveexec_b32 s46, s46
	s_cbranch_execnz .LBB24_579
.LBB24_357:
	s_or_b32 exec_lo, exec_lo, s46
	v_mov_b32_e32 v5, 0
	s_and_saveexec_b32 s46, s44
.LBB24_358:
	v_lshrrev_b32_e32 v3, 24, v3
	v_and_or_b32 v5, 0x80, v3, v4
.LBB24_359:
	s_or_b32 exec_lo, exec_lo, s46
.LBB24_360:
	s_or_b32 exec_lo, exec_lo, s43
	s_mov_b32 s43, 0
	global_store_byte v[0:1], v5, off
.LBB24_361:
	s_and_b32 vcc_lo, exec_lo, s43
	s_cbranch_vccz .LBB24_371
; %bb.362:
	v_cvt_f32_f16_e32 v3, v2
	s_mov_b32 s43, exec_lo
                                        ; implicit-def: $vgpr4
	v_and_b32_e32 v5, 0x7fffffff, v3
	v_cmpx_gt_u32_e32 0x43f00000, v5
	s_xor_b32 s43, exec_lo, s43
	s_cbranch_execz .LBB24_368
; %bb.363:
	s_mov_b32 s44, exec_lo
                                        ; implicit-def: $vgpr4
	v_cmpx_lt_u32_e32 0x3c7fffff, v5
	s_xor_b32 s44, exec_lo, s44
; %bb.364:
	v_bfe_u32 v4, v3, 20, 1
	v_add3_u32 v4, v3, v4, 0x407ffff
	v_and_b32_e32 v5, 0xff00000, v4
	v_lshrrev_b32_e32 v4, 20, v4
	v_cmp_ne_u32_e32 vcc_lo, 0x7f00000, v5
	v_cndmask_b32_e32 v4, 0x7e, v4, vcc_lo
; %bb.365:
	s_andn2_saveexec_b32 s44, s44
; %bb.366:
	v_add_f32_e64 v4, 0x46800000, |v3|
; %bb.367:
	s_or_b32 exec_lo, exec_lo, s44
                                        ; implicit-def: $vgpr5
.LBB24_368:
	s_andn2_saveexec_b32 s43, s43
; %bb.369:
	v_mov_b32_e32 v4, 0x7f
	v_cmp_lt_u32_e32 vcc_lo, 0x7f800000, v5
	v_cndmask_b32_e32 v4, 0x7e, v4, vcc_lo
; %bb.370:
	s_or_b32 exec_lo, exec_lo, s43
	v_lshrrev_b32_e32 v3, 24, v3
	v_and_or_b32 v3, 0x80, v3, v4
	global_store_byte v[0:1], v3, off
.LBB24_371:
	s_mov_b32 s43, 0
.LBB24_372:
	s_andn2_b32 vcc_lo, exec_lo, s43
	s_cbranch_vccnz .LBB24_382
; %bb.373:
	v_cvt_f32_f16_e32 v3, v2
	s_mov_b32 s43, exec_lo
                                        ; implicit-def: $vgpr4
	v_and_b32_e32 v5, 0x7fffffff, v3
	v_cmpx_gt_u32_e32 0x47800000, v5
	s_xor_b32 s43, exec_lo, s43
	s_cbranch_execz .LBB24_379
; %bb.374:
	s_mov_b32 s44, exec_lo
                                        ; implicit-def: $vgpr4
	v_cmpx_lt_u32_e32 0x387fffff, v5
	s_xor_b32 s44, exec_lo, s44
; %bb.375:
	v_bfe_u32 v4, v3, 21, 1
	v_add3_u32 v4, v3, v4, 0x80fffff
	v_lshrrev_b32_e32 v4, 21, v4
; %bb.376:
	s_andn2_saveexec_b32 s44, s44
; %bb.377:
	v_add_f32_e64 v4, 0x43000000, |v3|
; %bb.378:
	s_or_b32 exec_lo, exec_lo, s44
                                        ; implicit-def: $vgpr5
.LBB24_379:
	s_andn2_saveexec_b32 s43, s43
; %bb.380:
	v_mov_b32_e32 v4, 0x7f
	v_cmp_lt_u32_e32 vcc_lo, 0x7f800000, v5
	v_cndmask_b32_e32 v4, 0x7c, v4, vcc_lo
; %bb.381:
	s_or_b32 exec_lo, exec_lo, s43
	v_lshrrev_b32_e32 v3, 24, v3
	v_and_or_b32 v3, 0x80, v3, v4
	global_store_byte v[0:1], v3, off
.LBB24_382:
	s_mov_b32 s44, 0
	s_mov_b32 s43, -1
.LBB24_383:
	s_andn2_b32 vcc_lo, exec_lo, s44
	s_cbranch_vccnz .LBB24_391
; %bb.384:
	s_cmp_gt_i32 s27, 14
	s_mov_b32 s44, -1
	s_cbranch_scc0 .LBB24_388
; %bb.385:
	s_cmp_eq_u32 s27, 15
	s_mov_b32 s0, -1
	s_cbranch_scc0 .LBB24_387
; %bb.386:
	v_cvt_f32_f16_e32 v3, v2
	v_cmp_o_f16_e32 vcc_lo, v2, v2
	s_mov_b32 s43, -1
	s_mov_b32 s0, 0
	v_bfe_u32 v4, v3, 16, 1
	v_add3_u32 v3, v3, v4, 0x7fff
	v_mov_b32_e32 v4, 0x7fc0
	v_cndmask_b32_sdwa v3, v4, v3, vcc_lo dst_sel:DWORD dst_unused:UNUSED_PAD src0_sel:DWORD src1_sel:WORD_1
	global_store_short v[0:1], v3, off
.LBB24_387:
	s_mov_b32 s44, 0
.LBB24_388:
	s_and_b32 vcc_lo, exec_lo, s44
	s_cbranch_vccz .LBB24_391
; %bb.389:
	s_cmp_eq_u32 s27, 11
	s_mov_b32 s0, -1
	s_cbranch_scc0 .LBB24_391
; %bb.390:
	v_and_b32_e32 v3, 0x7fff, v2
	s_mov_b32 s0, 0
	s_mov_b32 s43, -1
	v_cmp_ne_u16_e32 vcc_lo, 0, v3
	v_cndmask_b32_e64 v3, 0, 1, vcc_lo
	global_store_byte v[0:1], v3, off
.LBB24_391:
	s_mov_b32 s27, 0
.LBB24_392:
	s_and_b32 vcc_lo, exec_lo, s27
	s_cbranch_vccz .LBB24_431
; %bb.393:
	s_and_b32 s26, 0xffff, s26
	s_mov_b32 s27, -1
	s_cmp_lt_i32 s26, 5
	s_cbranch_scc1 .LBB24_414
; %bb.394:
	s_cmp_lt_i32 s26, 8
	s_cbranch_scc1 .LBB24_404
; %bb.395:
	;; [unrolled: 3-line block ×3, first 2 shown]
	s_cmp_gt_i32 s26, 9
	s_cbranch_scc0 .LBB24_398
; %bb.397:
	v_cvt_f32_f16_e32 v3, v2
	v_mov_b32_e32 v5, 0
	s_mov_b32 s27, 0
	v_cvt_f64_f32_e32 v[3:4], v3
	v_mov_b32_e32 v6, v5
	global_store_dwordx4 v[0:1], v[3:6], off
.LBB24_398:
	s_andn2_b32 vcc_lo, exec_lo, s27
	s_cbranch_vccnz .LBB24_400
; %bb.399:
	v_cvt_f32_f16_e32 v3, v2
	v_mov_b32_e32 v4, 0
	global_store_dwordx2 v[0:1], v[3:4], off
.LBB24_400:
	s_mov_b32 s27, 0
.LBB24_401:
	s_andn2_b32 vcc_lo, exec_lo, s27
	s_cbranch_vccnz .LBB24_403
; %bb.402:
	v_and_b32_e32 v3, 0xffff, v2
	global_store_dword v[0:1], v3, off
.LBB24_403:
	s_mov_b32 s27, 0
.LBB24_404:
	s_andn2_b32 vcc_lo, exec_lo, s27
	s_cbranch_vccnz .LBB24_413
; %bb.405:
	s_cmp_lt_i32 s26, 6
	s_mov_b32 s27, -1
	s_cbranch_scc1 .LBB24_411
; %bb.406:
	s_cmp_gt_i32 s26, 6
	s_cbranch_scc0 .LBB24_408
; %bb.407:
	v_cvt_f32_f16_e32 v3, v2
	s_mov_b32 s27, 0
	v_cvt_f64_f32_e32 v[3:4], v3
	global_store_dwordx2 v[0:1], v[3:4], off
.LBB24_408:
	s_andn2_b32 vcc_lo, exec_lo, s27
	s_cbranch_vccnz .LBB24_410
; %bb.409:
	v_cvt_f32_f16_e32 v3, v2
	global_store_dword v[0:1], v3, off
.LBB24_410:
	s_mov_b32 s27, 0
.LBB24_411:
	s_andn2_b32 vcc_lo, exec_lo, s27
	s_cbranch_vccnz .LBB24_413
; %bb.412:
	global_store_short v[0:1], v2, off
.LBB24_413:
	s_mov_b32 s27, 0
.LBB24_414:
	s_andn2_b32 vcc_lo, exec_lo, s27
	s_cbranch_vccnz .LBB24_430
; %bb.415:
	s_cmp_lt_i32 s26, 2
	s_mov_b32 s27, -1
	s_cbranch_scc1 .LBB24_425
; %bb.416:
	s_cmp_lt_i32 s26, 3
	s_cbranch_scc1 .LBB24_422
; %bb.417:
	s_cmp_gt_i32 s26, 3
	s_cbranch_scc0 .LBB24_419
; %bb.418:
	v_cvt_f32_f16_e32 v3, v2
	s_mov_b32 s27, 0
	v_cvt_i32_f32_e32 v3, v3
	v_ashrrev_i32_e32 v4, 31, v3
	global_store_dwordx2 v[0:1], v[3:4], off
.LBB24_419:
	s_andn2_b32 vcc_lo, exec_lo, s27
	s_cbranch_vccnz .LBB24_421
; %bb.420:
	v_cvt_f32_f16_e32 v3, v2
	v_cvt_i32_f32_e32 v3, v3
	global_store_dword v[0:1], v3, off
.LBB24_421:
	s_mov_b32 s27, 0
.LBB24_422:
	s_andn2_b32 vcc_lo, exec_lo, s27
	s_cbranch_vccnz .LBB24_424
; %bb.423:
	v_cvt_i16_f16_e32 v3, v2
	global_store_short v[0:1], v3, off
.LBB24_424:
	s_mov_b32 s27, 0
.LBB24_425:
	s_andn2_b32 vcc_lo, exec_lo, s27
	s_cbranch_vccnz .LBB24_430
; %bb.426:
	s_cmp_gt_i32 s26, 0
	s_mov_b32 s26, -1
	s_cbranch_scc0 .LBB24_428
; %bb.427:
	v_cvt_i16_f16_e32 v3, v2
	s_mov_b32 s26, 0
	global_store_byte v[0:1], v3, off
.LBB24_428:
	s_andn2_b32 vcc_lo, exec_lo, s26
	s_cbranch_vccnz .LBB24_430
; %bb.429:
	v_cvt_f32_f16_e32 v2, v2
	v_cvt_i32_f32_e32 v2, v2
	global_store_byte v[0:1], v2, off
.LBB24_430:
	s_mov_b32 s43, -1
.LBB24_431:
	s_andn2_b32 vcc_lo, exec_lo, s43
	s_cbranch_vccnz .LBB24_433
; %bb.432:
	v_add_nc_u32_e32 v8, 0x80, v8
	s_mov_b32 s26, -1
	s_branch .LBB24_546
.LBB24_433:
	s_mov_b32 s26, 0
	s_branch .LBB24_545
.LBB24_434:
	s_mov_b32 s1, -1
                                        ; implicit-def: $vgpr3
.LBB24_435:
	s_mov_b32 s27, 0
.LBB24_436:
	s_and_b32 vcc_lo, exec_lo, s27
	s_cbranch_vccz .LBB24_440
; %bb.437:
	s_cmp_eq_u32 s0, 29
	s_cbranch_scc0 .LBB24_439
; %bb.438:
	global_load_dwordx2 v[3:4], v[1:2], off
	s_mov_b32 s26, -1
	s_mov_b32 s1, 0
	s_mov_b32 s27, 0
	s_waitcnt vmcnt(0)
	v_ffbh_u32_e32 v5, v4
	v_min_u32_e32 v5, 32, v5
	v_lshlrev_b64 v[3:4], v5, v[3:4]
	v_min_u32_e32 v3, 1, v3
	v_or_b32_e32 v3, v4, v3
	v_sub_nc_u32_e32 v4, 32, v5
	v_cvt_f32_u32_e32 v3, v3
	v_ldexp_f32 v3, v3, v4
	v_cvt_f16_f32_e32 v3, v3
	s_branch .LBB24_441
.LBB24_439:
	s_mov_b32 s1, -1
                                        ; implicit-def: $vgpr3
.LBB24_440:
	s_mov_b32 s27, 0
.LBB24_441:
	s_and_b32 vcc_lo, exec_lo, s27
	s_cbranch_vccz .LBB24_459
; %bb.442:
	s_cmp_lt_i32 s0, 27
	s_cbranch_scc1 .LBB24_445
; %bb.443:
	s_cmp_gt_i32 s0, 27
	s_cbranch_scc0 .LBB24_446
; %bb.444:
	global_load_dword v3, v[1:2], off
	s_mov_b32 s26, 0
	s_waitcnt vmcnt(0)
	v_cvt_f32_u32_e32 v3, v3
	v_cvt_f16_f32_e32 v3, v3
	s_branch .LBB24_447
.LBB24_445:
	s_mov_b32 s26, -1
                                        ; implicit-def: $vgpr3
	s_branch .LBB24_450
.LBB24_446:
	s_mov_b32 s26, -1
                                        ; implicit-def: $vgpr3
.LBB24_447:
	s_andn2_b32 vcc_lo, exec_lo, s26
	s_cbranch_vccnz .LBB24_449
; %bb.448:
	global_load_ushort v3, v[1:2], off
	s_waitcnt vmcnt(0)
	v_cvt_f16_u16_e32 v3, v3
.LBB24_449:
	s_mov_b32 s26, 0
.LBB24_450:
	s_andn2_b32 vcc_lo, exec_lo, s26
	s_cbranch_vccnz .LBB24_458
; %bb.451:
	global_load_ubyte v4, v[1:2], off
	s_mov_b32 s26, 0
	s_mov_b32 s27, exec_lo
	s_waitcnt vmcnt(0)
	v_cmpx_lt_i16_e32 0x7f, v4
	s_xor_b32 s27, exec_lo, s27
	s_cbranch_execz .LBB24_472
; %bb.452:
	s_mov_b32 s26, -1
	s_mov_b32 s43, exec_lo
	v_cmpx_eq_u16_e32 0x80, v4
; %bb.453:
	s_xor_b32 s26, exec_lo, -1
; %bb.454:
	s_or_b32 exec_lo, exec_lo, s43
	s_and_b32 s26, s26, exec_lo
	s_or_saveexec_b32 s27, s27
	v_mov_b32_e32 v3, 0x7e00
	s_xor_b32 exec_lo, exec_lo, s27
	s_cbranch_execnz .LBB24_473
.LBB24_455:
	s_or_b32 exec_lo, exec_lo, s27
	s_and_saveexec_b32 s27, s26
	s_cbranch_execz .LBB24_457
.LBB24_456:
	v_and_b32_e32 v3, 0xffff, v4
	v_lshlrev_b32_e32 v4, 24, v4
	v_and_b32_e32 v5, 7, v3
	v_bfe_u32 v9, v3, 3, 4
	v_and_b32_e32 v4, 0x80000000, v4
	v_ffbh_u32_e32 v6, v5
	v_cmp_eq_u32_e32 vcc_lo, 0, v9
	v_min_u32_e32 v6, 32, v6
	v_subrev_nc_u32_e32 v7, 28, v6
	v_sub_nc_u32_e32 v6, 29, v6
	v_lshlrev_b32_e32 v3, v7, v3
	v_cndmask_b32_e32 v6, v9, v6, vcc_lo
	v_and_b32_e32 v3, 7, v3
	v_cndmask_b32_e32 v3, v5, v3, vcc_lo
	v_lshl_add_u32 v5, v6, 23, 0x3b800000
	v_lshlrev_b32_e32 v3, 20, v3
	v_or3_b32 v3, v4, v5, v3
	v_cvt_f16_f32_e32 v3, v3
.LBB24_457:
	s_or_b32 exec_lo, exec_lo, s27
.LBB24_458:
	s_mov_b32 s26, -1
.LBB24_459:
	s_mov_b32 s27, 0
.LBB24_460:
	s_and_b32 vcc_lo, exec_lo, s27
	s_cbranch_vccz .LBB24_495
; %bb.461:
	s_cmp_gt_i32 s0, 22
	s_cbranch_scc0 .LBB24_471
; %bb.462:
	s_cmp_lt_i32 s0, 24
	s_cbranch_scc1 .LBB24_474
; %bb.463:
	s_cmp_gt_i32 s0, 24
	s_cbranch_scc0 .LBB24_475
; %bb.464:
	global_load_ubyte v4, v[1:2], off
	s_mov_b32 s26, 0
	s_mov_b32 s27, exec_lo
	s_waitcnt vmcnt(0)
	v_cmpx_lt_i16_e32 0x7f, v4
	s_xor_b32 s27, exec_lo, s27
	s_cbranch_execz .LBB24_487
; %bb.465:
	s_mov_b32 s26, -1
	s_mov_b32 s43, exec_lo
	v_cmpx_eq_u16_e32 0x80, v4
; %bb.466:
	s_xor_b32 s26, exec_lo, -1
; %bb.467:
	s_or_b32 exec_lo, exec_lo, s43
	s_and_b32 s26, s26, exec_lo
	s_or_saveexec_b32 s27, s27
	v_mov_b32_e32 v3, 0x7e00
	s_xor_b32 exec_lo, exec_lo, s27
	s_cbranch_execnz .LBB24_488
.LBB24_468:
	s_or_b32 exec_lo, exec_lo, s27
	s_and_saveexec_b32 s27, s26
	s_cbranch_execz .LBB24_470
.LBB24_469:
	v_and_b32_e32 v3, 0xffff, v4
	v_lshlrev_b32_e32 v4, 24, v4
	v_and_b32_e32 v5, 3, v3
	v_bfe_u32 v9, v3, 2, 5
	v_and_b32_e32 v4, 0x80000000, v4
	v_ffbh_u32_e32 v6, v5
	v_cmp_eq_u32_e32 vcc_lo, 0, v9
	v_min_u32_e32 v6, 32, v6
	v_subrev_nc_u32_e32 v7, 29, v6
	v_sub_nc_u32_e32 v6, 30, v6
	v_lshlrev_b32_e32 v3, v7, v3
	v_cndmask_b32_e32 v6, v9, v6, vcc_lo
	v_and_b32_e32 v3, 3, v3
	v_cndmask_b32_e32 v3, v5, v3, vcc_lo
	v_lshl_add_u32 v5, v6, 23, 0x37800000
	v_lshlrev_b32_e32 v3, 21, v3
	v_or3_b32 v3, v4, v5, v3
	v_cvt_f16_f32_e32 v3, v3
.LBB24_470:
	s_or_b32 exec_lo, exec_lo, s27
	s_mov_b32 s26, 0
	s_branch .LBB24_476
.LBB24_471:
	s_mov_b32 s27, -1
                                        ; implicit-def: $vgpr3
	s_branch .LBB24_482
.LBB24_472:
	s_or_saveexec_b32 s27, s27
	v_mov_b32_e32 v3, 0x7e00
	s_xor_b32 exec_lo, exec_lo, s27
	s_cbranch_execz .LBB24_455
.LBB24_473:
	v_cmp_ne_u16_e32 vcc_lo, 0, v4
	v_mov_b32_e32 v3, v4
	s_andn2_b32 s26, s26, exec_lo
	s_and_b32 s43, vcc_lo, exec_lo
	s_or_b32 s26, s26, s43
	s_or_b32 exec_lo, exec_lo, s27
	s_and_saveexec_b32 s27, s26
	s_cbranch_execnz .LBB24_456
	s_branch .LBB24_457
.LBB24_474:
	s_mov_b32 s26, -1
                                        ; implicit-def: $vgpr3
	s_branch .LBB24_479
.LBB24_475:
	s_mov_b32 s26, -1
                                        ; implicit-def: $vgpr3
.LBB24_476:
	s_and_b32 vcc_lo, exec_lo, s26
	s_cbranch_vccz .LBB24_478
; %bb.477:
	global_load_ubyte v3, v[1:2], off
	s_waitcnt vmcnt(0)
	v_lshlrev_b32_e32 v3, 24, v3
	v_and_b32_e32 v4, 0x7f000000, v3
	v_ffbh_u32_e32 v5, v4
	v_add_nc_u32_e32 v7, 0x1000000, v4
	v_cmp_ne_u32_e32 vcc_lo, 0, v4
	v_min_u32_e32 v5, 32, v5
	v_sub_nc_u32_e64 v5, v5, 4 clamp
	v_lshlrev_b32_e32 v6, v5, v4
	v_lshlrev_b32_e32 v5, 23, v5
	v_lshrrev_b32_e32 v6, 4, v6
	v_sub_nc_u32_e32 v5, v6, v5
	v_ashrrev_i32_e32 v6, 8, v7
	v_add_nc_u32_e32 v5, 0x3c000000, v5
	v_and_or_b32 v5, 0x7f800000, v6, v5
	v_cndmask_b32_e32 v4, 0, v5, vcc_lo
	v_and_or_b32 v3, 0x80000000, v3, v4
	v_cvt_f16_f32_e32 v3, v3
.LBB24_478:
	s_mov_b32 s26, 0
.LBB24_479:
	s_andn2_b32 vcc_lo, exec_lo, s26
	s_cbranch_vccnz .LBB24_481
; %bb.480:
	global_load_ubyte v3, v[1:2], off
	s_waitcnt vmcnt(0)
	v_lshlrev_b32_e32 v4, 25, v3
	v_lshlrev_b16 v3, 8, v3
	v_lshrrev_b32_e32 v5, 4, v4
	v_and_or_b32 v6, 0x7f00, v3, 0.5
	v_cmp_gt_u32_e32 vcc_lo, 0x8000000, v4
	v_bfe_i32 v3, v3, 0, 16
	v_or_b32_e32 v5, 0x70000000, v5
	v_add_f32_e32 v6, -0.5, v6
	v_mul_f32_e32 v5, 0x7800000, v5
	v_cndmask_b32_e32 v4, v5, v6, vcc_lo
	v_and_or_b32 v3, 0x80000000, v3, v4
	v_cvt_f16_f32_e32 v3, v3
.LBB24_481:
	s_mov_b32 s27, 0
	s_mov_b32 s26, -1
.LBB24_482:
	s_andn2_b32 vcc_lo, exec_lo, s27
	s_cbranch_vccnz .LBB24_495
; %bb.483:
	s_cmp_gt_i32 s0, 14
	s_cbranch_scc0 .LBB24_486
; %bb.484:
	s_cmp_eq_u32 s0, 15
	s_cbranch_scc0 .LBB24_489
; %bb.485:
	global_load_ushort v3, v[1:2], off
	s_mov_b32 s26, -1
	s_mov_b32 s1, 0
	s_waitcnt vmcnt(0)
	v_lshlrev_b32_e32 v3, 16, v3
	v_cvt_f16_f32_e32 v3, v3
	s_branch .LBB24_490
.LBB24_486:
	s_mov_b32 s27, -1
                                        ; implicit-def: $vgpr3
	s_branch .LBB24_491
.LBB24_487:
	s_or_saveexec_b32 s27, s27
	v_mov_b32_e32 v3, 0x7e00
	s_xor_b32 exec_lo, exec_lo, s27
	s_cbranch_execz .LBB24_468
.LBB24_488:
	v_cmp_ne_u16_e32 vcc_lo, 0, v4
	v_mov_b32_e32 v3, v4
	s_andn2_b32 s26, s26, exec_lo
	s_and_b32 s43, vcc_lo, exec_lo
	s_or_b32 s26, s26, s43
	s_or_b32 exec_lo, exec_lo, s27
	s_and_saveexec_b32 s27, s26
	s_cbranch_execnz .LBB24_469
	s_branch .LBB24_470
.LBB24_489:
	s_mov_b32 s1, -1
                                        ; implicit-def: $vgpr3
.LBB24_490:
	s_mov_b32 s27, 0
.LBB24_491:
	s_and_b32 vcc_lo, exec_lo, s27
	s_cbranch_vccz .LBB24_495
; %bb.492:
	s_cmp_eq_u32 s0, 11
	s_cbranch_scc0 .LBB24_494
; %bb.493:
	global_load_ubyte v3, v[1:2], off
	s_mov_b32 s1, 0
	s_mov_b32 s26, -1
	s_waitcnt vmcnt(0)
	v_cmp_ne_u16_e32 vcc_lo, 0, v3
	v_cndmask_b32_e64 v3, 0, 0x3c00, vcc_lo
	s_branch .LBB24_495
.LBB24_494:
	s_mov_b32 s1, -1
                                        ; implicit-def: $vgpr3
.LBB24_495:
	s_branch .LBB24_295
.LBB24_496:
	s_cmp_lt_i32 s0, 5
	s_cbranch_scc1 .LBB24_501
; %bb.497:
	s_cmp_lt_i32 s0, 8
	s_cbranch_scc1 .LBB24_502
; %bb.498:
	;; [unrolled: 3-line block ×3, first 2 shown]
	s_cmp_gt_i32 s0, 9
	s_cbranch_scc0 .LBB24_504
; %bb.500:
	global_load_dwordx2 v[3:4], v[1:2], off
	s_mov_b32 s26, 0
	s_waitcnt vmcnt(0)
	v_and_or_b32 v3, 0x1ff, v4, v3
	v_lshrrev_b32_e32 v5, 8, v4
	v_bfe_u32 v6, v4, 20, 11
	v_lshrrev_b32_e32 v4, 16, v4
	v_cmp_ne_u32_e32 vcc_lo, 0, v3
	v_sub_nc_u32_e32 v7, 0x3f1, v6
	v_add_nc_u32_e32 v6, 0xfffffc10, v6
	v_cndmask_b32_e64 v3, 0, 1, vcc_lo
	v_and_or_b32 v3, 0xffe, v5, v3
	v_med3_i32 v5, v7, 0, 13
	v_or_b32_e32 v7, 0x1000, v3
	v_lshrrev_b32_e32 v9, v5, v7
	v_lshlrev_b32_e32 v5, v5, v9
	v_cmp_ne_u32_e32 vcc_lo, v5, v7
	v_lshl_or_b32 v7, v6, 12, v3
	v_cndmask_b32_e64 v5, 0, 1, vcc_lo
	v_cmp_gt_i32_e32 vcc_lo, 1, v6
	v_or_b32_e32 v5, v9, v5
	v_cndmask_b32_e32 v5, v7, v5, vcc_lo
	v_and_b32_e32 v7, 7, v5
	v_lshrrev_b32_e32 v5, 2, v5
	v_cmp_lt_i32_e32 vcc_lo, 5, v7
	v_cndmask_b32_e64 v9, 0, 1, vcc_lo
	v_cmp_eq_u32_e32 vcc_lo, 3, v7
	v_cndmask_b32_e64 v7, 0, 1, vcc_lo
	v_cmp_ne_u32_e32 vcc_lo, 0, v3
	v_or_b32_e32 v7, v7, v9
	v_mov_b32_e32 v9, 0x7e00
	v_add_nc_u32_e32 v5, v5, v7
	v_cndmask_b32_e32 v3, 0x7c00, v9, vcc_lo
	v_cmp_gt_i32_e32 vcc_lo, 31, v6
	v_cndmask_b32_e32 v5, 0x7c00, v5, vcc_lo
	v_cmp_eq_u32_e32 vcc_lo, 0x40f, v6
	v_cndmask_b32_e32 v3, v5, v3, vcc_lo
	v_and_or_b32 v3, 0x8000, v4, v3
	s_branch .LBB24_505
.LBB24_501:
	s_mov_b32 s26, -1
                                        ; implicit-def: $vgpr3
	s_branch .LBB24_523
.LBB24_502:
	s_mov_b32 s26, -1
                                        ; implicit-def: $vgpr3
	s_branch .LBB24_511
.LBB24_503:
	s_mov_b32 s26, -1
                                        ; implicit-def: $vgpr3
	s_branch .LBB24_508
.LBB24_504:
	s_mov_b32 s26, -1
                                        ; implicit-def: $vgpr3
.LBB24_505:
	s_andn2_b32 vcc_lo, exec_lo, s26
	s_cbranch_vccnz .LBB24_507
; %bb.506:
	global_load_dword v3, v[1:2], off
	s_waitcnt vmcnt(0)
	v_cvt_f16_f32_e32 v3, v3
.LBB24_507:
	s_mov_b32 s26, 0
.LBB24_508:
	s_andn2_b32 vcc_lo, exec_lo, s26
	s_cbranch_vccnz .LBB24_510
; %bb.509:
	global_load_dword v3, v[1:2], off
.LBB24_510:
	s_mov_b32 s26, 0
.LBB24_511:
	s_andn2_b32 vcc_lo, exec_lo, s26
	s_cbranch_vccnz .LBB24_522
; %bb.512:
	s_cmp_lt_i32 s0, 6
	s_cbranch_scc1 .LBB24_515
; %bb.513:
	s_cmp_gt_i32 s0, 6
	s_cbranch_scc0 .LBB24_516
; %bb.514:
	global_load_dwordx2 v[3:4], v[1:2], off
	s_mov_b32 s26, 0
	s_waitcnt vmcnt(0)
	v_and_or_b32 v3, 0x1ff, v4, v3
	v_lshrrev_b32_e32 v5, 8, v4
	v_bfe_u32 v6, v4, 20, 11
	v_lshrrev_b32_e32 v4, 16, v4
	v_cmp_ne_u32_e32 vcc_lo, 0, v3
	v_sub_nc_u32_e32 v7, 0x3f1, v6
	v_add_nc_u32_e32 v6, 0xfffffc10, v6
	v_cndmask_b32_e64 v3, 0, 1, vcc_lo
	v_and_or_b32 v3, 0xffe, v5, v3
	v_med3_i32 v5, v7, 0, 13
	v_or_b32_e32 v7, 0x1000, v3
	v_lshrrev_b32_e32 v9, v5, v7
	v_lshlrev_b32_e32 v5, v5, v9
	v_cmp_ne_u32_e32 vcc_lo, v5, v7
	v_lshl_or_b32 v7, v6, 12, v3
	v_cndmask_b32_e64 v5, 0, 1, vcc_lo
	v_cmp_gt_i32_e32 vcc_lo, 1, v6
	v_or_b32_e32 v5, v9, v5
	v_cndmask_b32_e32 v5, v7, v5, vcc_lo
	v_and_b32_e32 v7, 7, v5
	v_lshrrev_b32_e32 v5, 2, v5
	v_cmp_lt_i32_e32 vcc_lo, 5, v7
	v_cndmask_b32_e64 v9, 0, 1, vcc_lo
	v_cmp_eq_u32_e32 vcc_lo, 3, v7
	v_cndmask_b32_e64 v7, 0, 1, vcc_lo
	v_cmp_ne_u32_e32 vcc_lo, 0, v3
	v_or_b32_e32 v7, v7, v9
	v_mov_b32_e32 v9, 0x7e00
	v_add_nc_u32_e32 v5, v5, v7
	v_cndmask_b32_e32 v3, 0x7c00, v9, vcc_lo
	v_cmp_gt_i32_e32 vcc_lo, 31, v6
	v_cndmask_b32_e32 v5, 0x7c00, v5, vcc_lo
	v_cmp_eq_u32_e32 vcc_lo, 0x40f, v6
	v_cndmask_b32_e32 v3, v5, v3, vcc_lo
	v_and_or_b32 v3, 0x8000, v4, v3
	s_branch .LBB24_517
.LBB24_515:
	s_mov_b32 s26, -1
                                        ; implicit-def: $vgpr3
	s_branch .LBB24_520
.LBB24_516:
	s_mov_b32 s26, -1
                                        ; implicit-def: $vgpr3
.LBB24_517:
	s_andn2_b32 vcc_lo, exec_lo, s26
	s_cbranch_vccnz .LBB24_519
; %bb.518:
	global_load_dword v3, v[1:2], off
	s_waitcnt vmcnt(0)
	v_cvt_f16_f32_e32 v3, v3
.LBB24_519:
	s_mov_b32 s26, 0
.LBB24_520:
	s_andn2_b32 vcc_lo, exec_lo, s26
	s_cbranch_vccnz .LBB24_522
; %bb.521:
	global_load_ushort v3, v[1:2], off
.LBB24_522:
	s_mov_b32 s26, 0
.LBB24_523:
	s_andn2_b32 vcc_lo, exec_lo, s26
	s_cbranch_vccnz .LBB24_543
; %bb.524:
	s_cmp_lt_i32 s0, 2
	s_cbranch_scc1 .LBB24_528
; %bb.525:
	s_cmp_lt_i32 s0, 3
	s_cbranch_scc1 .LBB24_529
; %bb.526:
	s_cmp_gt_i32 s0, 3
	s_cbranch_scc0 .LBB24_530
; %bb.527:
	global_load_dwordx2 v[3:4], v[1:2], off
	s_mov_b32 s26, 0
	s_waitcnt vmcnt(0)
	v_xor_b32_e32 v5, v3, v4
	v_ffbh_i32_e32 v6, v4
	v_ashrrev_i32_e32 v5, 31, v5
	v_add_nc_u32_e32 v6, -1, v6
	v_add_nc_u32_e32 v5, 32, v5
	v_min_u32_e32 v5, v6, v5
	v_lshlrev_b64 v[3:4], v5, v[3:4]
	v_min_u32_e32 v3, 1, v3
	v_or_b32_e32 v3, v4, v3
	v_sub_nc_u32_e32 v4, 32, v5
	v_cvt_f32_i32_e32 v3, v3
	v_ldexp_f32 v3, v3, v4
	v_cvt_f16_f32_e32 v3, v3
	s_branch .LBB24_531
.LBB24_528:
	s_mov_b32 s26, -1
                                        ; implicit-def: $vgpr3
	s_branch .LBB24_537
.LBB24_529:
	s_mov_b32 s26, -1
                                        ; implicit-def: $vgpr3
	s_branch .LBB24_534
.LBB24_530:
	s_mov_b32 s26, -1
                                        ; implicit-def: $vgpr3
.LBB24_531:
	s_andn2_b32 vcc_lo, exec_lo, s26
	s_cbranch_vccnz .LBB24_533
; %bb.532:
	global_load_dword v3, v[1:2], off
	s_waitcnt vmcnt(0)
	v_cvt_f32_i32_e32 v3, v3
	v_cvt_f16_f32_e32 v3, v3
.LBB24_533:
	s_mov_b32 s26, 0
.LBB24_534:
	s_andn2_b32 vcc_lo, exec_lo, s26
	s_cbranch_vccnz .LBB24_536
; %bb.535:
	global_load_ushort v3, v[1:2], off
	s_waitcnt vmcnt(0)
	v_cvt_f16_i16_e32 v3, v3
.LBB24_536:
	s_mov_b32 s26, 0
.LBB24_537:
	s_andn2_b32 vcc_lo, exec_lo, s26
	s_cbranch_vccnz .LBB24_543
; %bb.538:
	s_cmp_gt_i32 s0, 0
	s_mov_b32 s0, 0
	s_cbranch_scc0 .LBB24_540
; %bb.539:
	global_load_sbyte v3, v[1:2], off
	s_waitcnt vmcnt(0)
	v_cvt_f16_i16_e32 v3, v3
	s_branch .LBB24_541
.LBB24_540:
	s_mov_b32 s0, -1
                                        ; implicit-def: $vgpr3
.LBB24_541:
	s_andn2_b32 vcc_lo, exec_lo, s0
	s_cbranch_vccnz .LBB24_543
; %bb.542:
	global_load_ubyte v1, v[1:2], off
	s_waitcnt vmcnt(0)
	v_cvt_f16_u16_e32 v3, v1
.LBB24_543:
	s_branch .LBB24_296
.LBB24_544:
	s_mov_b32 s26, 0
	s_mov_b32 s0, s40
.LBB24_545:
                                        ; implicit-def: $vgpr8
.LBB24_546:
	s_andn2_b32 s27, s40, exec_lo
	s_and_b32 s0, s0, exec_lo
	s_andn2_b32 s43, s41, exec_lo
	s_and_b32 s1, s1, exec_lo
	s_or_b32 s44, s27, s0
	s_or_b32 s43, s43, s1
	s_orn2_b32 s0, s26, exec_lo
.LBB24_547:
	s_or_b32 exec_lo, exec_lo, s45
	s_mov_b32 s1, 0
	s_mov_b32 s27, 0
	;; [unrolled: 1-line block ×3, first 2 shown]
                                        ; implicit-def: $vgpr1_vgpr2
                                        ; implicit-def: $vgpr0
                                        ; implicit-def: $vgpr4
	s_and_saveexec_b32 s45, s0
	s_cbranch_execz .LBB24_926
; %bb.548:
	s_mov_b32 s48, -1
	s_mov_b32 s26, s43
	s_mov_b32 s27, s44
	s_mov_b32 s46, exec_lo
	v_cmpx_gt_i32_e64 s37, v8
	s_cbranch_execz .LBB24_825
; %bb.549:
	s_andn2_b32 vcc_lo, exec_lo, s31
	s_cbranch_vccnz .LBB24_554
; %bb.550:
	s_andn2_b32 vcc_lo, exec_lo, s39
	s_cbranch_vccnz .LBB24_555
; %bb.551:
	s_add_i32 s48, s38, 1
	s_cmp_eq_u32 s29, 2
	s_cbranch_scc1 .LBB24_556
; %bb.552:
	v_mov_b32_e32 v2, 0
	v_mov_b32_e32 v0, 0
	v_mov_b32_e32 v1, v8
	s_and_b32 s47, s48, 28
	s_mov_b32 s49, 0
	s_mov_b64 s[0:1], s[2:3]
	s_mov_b64 s[26:27], s[24:25]
.LBB24_553:                             ; =>This Inner Loop Header: Depth=1
	s_clause 0x1
	s_load_dwordx8 s[52:59], s[0:1], 0x4
	s_load_dwordx4 s[68:71], s[0:1], 0x24
	s_load_dwordx8 s[60:67], s[26:27], 0x0
	s_add_u32 s0, s0, 48
	s_addc_u32 s1, s1, 0
	s_add_i32 s49, s49, 4
	s_add_u32 s26, s26, 32
	s_addc_u32 s27, s27, 0
	s_cmp_eq_u32 s47, s49
	s_waitcnt vmcnt(0) lgkmcnt(0)
	v_mul_hi_u32 v3, s53, v1
	v_add_nc_u32_e32 v3, v1, v3
	v_lshrrev_b32_e32 v3, s54, v3
	v_mul_hi_u32 v4, s56, v3
	v_mul_lo_u32 v6, v3, s52
	v_add_nc_u32_e32 v4, v3, v4
	v_sub_nc_u32_e32 v1, v1, v6
	v_lshrrev_b32_e32 v4, s57, v4
	v_mul_lo_u32 v6, v1, s60
	v_mul_lo_u32 v9, v1, s61
	v_mul_hi_u32 v5, s59, v4
	v_add_nc_u32_e32 v5, v4, v5
	v_lshrrev_b32_e32 v5, s68, v5
	v_mul_hi_u32 v7, s70, v5
	v_mul_lo_u32 v10, v5, s58
	v_add_nc_u32_e32 v1, v5, v7
	v_mul_lo_u32 v7, v4, s55
	v_sub_nc_u32_e32 v4, v4, v10
	v_lshrrev_b32_e32 v1, s71, v1
	v_mul_lo_u32 v10, v4, s64
	v_mul_lo_u32 v4, v4, s65
	v_sub_nc_u32_e32 v3, v3, v7
	v_mul_lo_u32 v11, v1, s69
	v_mul_lo_u32 v7, v3, s62
	;; [unrolled: 1-line block ×3, first 2 shown]
	v_sub_nc_u32_e32 v5, v5, v11
	v_add3_u32 v0, v6, v0, v7
	v_mul_lo_u32 v11, v5, s66
	v_mul_lo_u32 v5, v5, s67
	v_add3_u32 v2, v9, v2, v3
	v_add3_u32 v0, v10, v0, v11
	;; [unrolled: 1-line block ×3, first 2 shown]
	s_cbranch_scc0 .LBB24_553
	s_branch .LBB24_557
.LBB24_554:
	s_mov_b32 s0, -1
                                        ; implicit-def: $vgpr0
                                        ; implicit-def: $vgpr2
	s_branch .LBB24_561
.LBB24_555:
	v_mov_b32_e32 v0, 0
	v_mov_b32_e32 v2, 0
	s_branch .LBB24_560
.LBB24_556:
	v_mov_b32_e32 v0, 0
	v_mov_b32_e32 v2, 0
	;; [unrolled: 1-line block ×3, first 2 shown]
	s_mov_b32 s47, 0
.LBB24_557:
	s_and_b32 s48, s48, 3
	s_cmp_eq_u32 s48, 0
	s_cbranch_scc1 .LBB24_560
; %bb.558:
	s_lshl_b32 s0, s47, 3
	s_mul_i32 s26, s47, 12
	s_add_u32 s0, s2, s0
	s_addc_u32 s1, s3, 0
	s_add_u32 s0, s0, 0xc4
	s_addc_u32 s1, s1, 0
	s_add_u32 s26, s2, s26
	s_addc_u32 s27, s3, 0
	.p2align	6
.LBB24_559:                             ; =>This Inner Loop Header: Depth=1
	s_clause 0x1
	s_load_dwordx2 s[50:51], s[26:27], 0x4
	s_load_dword s47, s[26:27], 0xc
	s_load_dwordx2 s[52:53], s[0:1], 0x0
	s_add_u32 s26, s26, 12
	s_addc_u32 s27, s27, 0
	s_add_u32 s0, s0, 8
	s_addc_u32 s1, s1, 0
	s_add_i32 s48, s48, -1
	s_cmp_lg_u32 s48, 0
	s_waitcnt vmcnt(0) lgkmcnt(0)
	v_mul_hi_u32 v3, s51, v1
	v_add_nc_u32_e32 v3, v1, v3
	v_lshrrev_b32_e32 v4, s47, v3
	v_mul_lo_u32 v3, v4, s50
	v_sub_nc_u32_e32 v3, v1, v3
	v_mad_u64_u32 v[0:1], null, v3, s52, v[0:1]
	v_mad_u64_u32 v[2:3], null, v3, s53, v[2:3]
	v_mov_b32_e32 v1, v4
	s_cbranch_scc1 .LBB24_559
.LBB24_560:
	s_mov_b32 s0, 0
.LBB24_561:
	s_andn2_b32 vcc_lo, exec_lo, s0
	s_cbranch_vccnz .LBB24_564
; %bb.562:
	v_mul_hi_u32 v0, s21, v8
	s_andn2_b32 vcc_lo, exec_lo, s36
	v_add_nc_u32_e32 v0, v8, v0
	v_lshrrev_b32_e32 v1, s22, v0
	v_mul_lo_u32 v0, v1, s20
	v_sub_nc_u32_e32 v2, v8, v0
	v_mul_lo_u32 v0, v2, s16
	v_mul_lo_u32 v2, v2, s17
	s_cbranch_vccnz .LBB24_564
; %bb.563:
	s_waitcnt vmcnt(0)
	v_mul_hi_u32 v3, s6, v1
	v_add_nc_u32_e32 v3, v1, v3
	v_lshrrev_b32_e32 v3, s7, v3
	v_mul_lo_u32 v3, v3, s23
	v_sub_nc_u32_e32 v3, v1, v3
	v_mad_u64_u32 v[0:1], null, v3, s18, v[0:1]
	v_mad_u64_u32 v[2:3], null, v3, s19, v[2:3]
.LBB24_564:
	v_add_co_u32 v1, s0, s10, v2
	v_add_co_ci_u32_e64 v2, null, s11, 0, s0
	s_and_b32 s0, 0xffff, s35
	s_cmp_lt_i32 s0, 11
	s_cbranch_scc1 .LBB24_571
; %bb.565:
	s_cmp_gt_i32 s0, 25
	s_cbranch_scc0 .LBB24_572
; %bb.566:
	s_cmp_gt_i32 s0, 28
	s_cbranch_scc0 .LBB24_573
	;; [unrolled: 3-line block ×4, first 2 shown]
; %bb.569:
	s_cmp_eq_u32 s0, 46
	s_mov_b32 s27, 0
	s_cbranch_scc0 .LBB24_580
; %bb.570:
	global_load_dword v3, v[1:2], off
	s_mov_b32 s26, -1
	s_mov_b32 s1, 0
	s_waitcnt vmcnt(0)
	v_lshlrev_b32_e32 v3, 16, v3
	v_cvt_f16_f32_e32 v3, v3
	s_branch .LBB24_582
.LBB24_571:
	s_mov_b32 s27, -1
	s_mov_b32 s26, 0
	s_mov_b32 s1, s43
                                        ; implicit-def: $vgpr3
	s_branch .LBB24_647
.LBB24_572:
	s_mov_b32 s27, -1
	s_mov_b32 s26, 0
	s_mov_b32 s1, s43
                                        ; implicit-def: $vgpr3
	s_branch .LBB24_611
.LBB24_573:
	s_mov_b32 s27, -1
	s_mov_b32 s26, 0
	s_mov_b32 s1, s43
                                        ; implicit-def: $vgpr3
	s_branch .LBB24_592
.LBB24_574:
	s_mov_b32 s27, -1
	s_mov_b32 s26, 0
	s_mov_b32 s1, s43
                                        ; implicit-def: $vgpr3
	s_branch .LBB24_587
.LBB24_575:
	s_andn2_saveexec_b32 s46, s46
	s_cbranch_execz .LBB24_344
.LBB24_576:
	v_add_f32_e64 v4, 0x46000000, |v3|
	s_andn2_b32 s44, s44, exec_lo
	v_and_b32_e32 v4, 0xff, v4
	v_cmp_ne_u32_e32 vcc_lo, 0, v4
	s_and_b32 s47, vcc_lo, exec_lo
	s_or_b32 s44, s44, s47
	s_or_b32 exec_lo, exec_lo, s46
	v_mov_b32_e32 v5, 0
	s_and_saveexec_b32 s46, s44
	s_cbranch_execnz .LBB24_345
	s_branch .LBB24_346
.LBB24_577:
	s_mov_b32 s27, -1
	s_mov_b32 s26, 0
	s_mov_b32 s1, s43
	s_branch .LBB24_581
.LBB24_578:
	s_andn2_saveexec_b32 s46, s46
	s_cbranch_execz .LBB24_357
.LBB24_579:
	v_add_f32_e64 v4, 0x42800000, |v3|
	s_andn2_b32 s44, s44, exec_lo
	v_and_b32_e32 v4, 0xff, v4
	v_cmp_ne_u32_e32 vcc_lo, 0, v4
	s_and_b32 s47, vcc_lo, exec_lo
	s_or_b32 s44, s44, s47
	s_or_b32 exec_lo, exec_lo, s46
	v_mov_b32_e32 v5, 0
	s_and_saveexec_b32 s46, s44
	s_cbranch_execnz .LBB24_358
	s_branch .LBB24_359
.LBB24_580:
	s_mov_b32 s1, -1
	s_mov_b32 s26, 0
.LBB24_581:
                                        ; implicit-def: $vgpr3
.LBB24_582:
	s_and_b32 vcc_lo, exec_lo, s27
	s_cbranch_vccz .LBB24_586
; %bb.583:
	s_cmp_eq_u32 s0, 44
	s_cbranch_scc0 .LBB24_585
; %bb.584:
	global_load_ubyte v3, v[1:2], off
	s_mov_b32 s1, 0
	s_mov_b32 s26, -1
	s_waitcnt vmcnt(0)
	v_lshlrev_b32_e32 v4, 23, v3
	v_cmp_ne_u32_e32 vcc_lo, 0xff, v3
	v_cvt_f16_f32_e32 v4, v4
	v_cndmask_b32_e32 v4, 0x7e00, v4, vcc_lo
	v_cmp_ne_u32_e32 vcc_lo, 0, v3
	v_cndmask_b32_e32 v3, 0, v4, vcc_lo
	s_branch .LBB24_586
.LBB24_585:
	s_mov_b32 s1, -1
                                        ; implicit-def: $vgpr3
.LBB24_586:
	s_mov_b32 s27, 0
.LBB24_587:
	s_and_b32 vcc_lo, exec_lo, s27
	s_cbranch_vccz .LBB24_591
; %bb.588:
	s_cmp_eq_u32 s0, 29
	s_cbranch_scc0 .LBB24_590
; %bb.589:
	global_load_dwordx2 v[3:4], v[1:2], off
	s_mov_b32 s26, -1
	s_mov_b32 s1, 0
	s_mov_b32 s27, 0
	s_waitcnt vmcnt(0)
	v_ffbh_u32_e32 v5, v4
	v_min_u32_e32 v5, 32, v5
	v_lshlrev_b64 v[3:4], v5, v[3:4]
	v_min_u32_e32 v3, 1, v3
	v_or_b32_e32 v3, v4, v3
	v_sub_nc_u32_e32 v4, 32, v5
	v_cvt_f32_u32_e32 v3, v3
	v_ldexp_f32 v3, v3, v4
	v_cvt_f16_f32_e32 v3, v3
	s_branch .LBB24_592
.LBB24_590:
	s_mov_b32 s1, -1
                                        ; implicit-def: $vgpr3
.LBB24_591:
	s_mov_b32 s27, 0
.LBB24_592:
	s_and_b32 vcc_lo, exec_lo, s27
	s_cbranch_vccz .LBB24_610
; %bb.593:
	s_cmp_lt_i32 s0, 27
	s_cbranch_scc1 .LBB24_596
; %bb.594:
	s_cmp_gt_i32 s0, 27
	s_cbranch_scc0 .LBB24_597
; %bb.595:
	global_load_dword v3, v[1:2], off
	s_mov_b32 s26, 0
	s_waitcnt vmcnt(0)
	v_cvt_f32_u32_e32 v3, v3
	v_cvt_f16_f32_e32 v3, v3
	s_branch .LBB24_598
.LBB24_596:
	s_mov_b32 s26, -1
                                        ; implicit-def: $vgpr3
	s_branch .LBB24_601
.LBB24_597:
	s_mov_b32 s26, -1
                                        ; implicit-def: $vgpr3
.LBB24_598:
	s_andn2_b32 vcc_lo, exec_lo, s26
	s_cbranch_vccnz .LBB24_600
; %bb.599:
	global_load_ushort v3, v[1:2], off
	s_waitcnt vmcnt(0)
	v_cvt_f16_u16_e32 v3, v3
.LBB24_600:
	s_mov_b32 s26, 0
.LBB24_601:
	s_andn2_b32 vcc_lo, exec_lo, s26
	s_cbranch_vccnz .LBB24_609
; %bb.602:
	global_load_ubyte v4, v[1:2], off
	s_mov_b32 s26, 0
	s_mov_b32 s27, exec_lo
	s_waitcnt vmcnt(0)
	v_cmpx_lt_i16_e32 0x7f, v4
	s_xor_b32 s27, exec_lo, s27
	s_cbranch_execz .LBB24_623
; %bb.603:
	s_mov_b32 s26, -1
	s_mov_b32 s47, exec_lo
	v_cmpx_eq_u16_e32 0x80, v4
; %bb.604:
	s_xor_b32 s26, exec_lo, -1
; %bb.605:
	s_or_b32 exec_lo, exec_lo, s47
	s_and_b32 s26, s26, exec_lo
	s_or_saveexec_b32 s27, s27
	v_mov_b32_e32 v3, 0x7e00
	s_xor_b32 exec_lo, exec_lo, s27
	s_cbranch_execnz .LBB24_624
.LBB24_606:
	s_or_b32 exec_lo, exec_lo, s27
	s_and_saveexec_b32 s27, s26
	s_cbranch_execz .LBB24_608
.LBB24_607:
	v_and_b32_e32 v3, 0xffff, v4
	v_lshlrev_b32_e32 v4, 24, v4
	v_and_b32_e32 v5, 7, v3
	v_bfe_u32 v9, v3, 3, 4
	v_and_b32_e32 v4, 0x80000000, v4
	v_ffbh_u32_e32 v6, v5
	v_cmp_eq_u32_e32 vcc_lo, 0, v9
	v_min_u32_e32 v6, 32, v6
	v_subrev_nc_u32_e32 v7, 28, v6
	v_sub_nc_u32_e32 v6, 29, v6
	v_lshlrev_b32_e32 v3, v7, v3
	v_cndmask_b32_e32 v6, v9, v6, vcc_lo
	v_and_b32_e32 v3, 7, v3
	v_cndmask_b32_e32 v3, v5, v3, vcc_lo
	v_lshl_add_u32 v5, v6, 23, 0x3b800000
	v_lshlrev_b32_e32 v3, 20, v3
	v_or3_b32 v3, v4, v5, v3
	v_cvt_f16_f32_e32 v3, v3
.LBB24_608:
	s_or_b32 exec_lo, exec_lo, s27
.LBB24_609:
	s_mov_b32 s26, -1
.LBB24_610:
	s_mov_b32 s27, 0
.LBB24_611:
	s_and_b32 vcc_lo, exec_lo, s27
	s_cbranch_vccz .LBB24_646
; %bb.612:
	s_cmp_gt_i32 s0, 22
	s_cbranch_scc0 .LBB24_622
; %bb.613:
	s_cmp_lt_i32 s0, 24
	s_cbranch_scc1 .LBB24_625
; %bb.614:
	s_cmp_gt_i32 s0, 24
	s_cbranch_scc0 .LBB24_626
; %bb.615:
	global_load_ubyte v4, v[1:2], off
	s_mov_b32 s26, 0
	s_mov_b32 s27, exec_lo
	s_waitcnt vmcnt(0)
	v_cmpx_lt_i16_e32 0x7f, v4
	s_xor_b32 s27, exec_lo, s27
	s_cbranch_execz .LBB24_638
; %bb.616:
	s_mov_b32 s26, -1
	s_mov_b32 s47, exec_lo
	v_cmpx_eq_u16_e32 0x80, v4
; %bb.617:
	s_xor_b32 s26, exec_lo, -1
; %bb.618:
	s_or_b32 exec_lo, exec_lo, s47
	s_and_b32 s26, s26, exec_lo
	s_or_saveexec_b32 s27, s27
	v_mov_b32_e32 v3, 0x7e00
	s_xor_b32 exec_lo, exec_lo, s27
	s_cbranch_execnz .LBB24_639
.LBB24_619:
	s_or_b32 exec_lo, exec_lo, s27
	s_and_saveexec_b32 s27, s26
	s_cbranch_execz .LBB24_621
.LBB24_620:
	v_and_b32_e32 v3, 0xffff, v4
	v_lshlrev_b32_e32 v4, 24, v4
	v_and_b32_e32 v5, 3, v3
	v_bfe_u32 v9, v3, 2, 5
	v_and_b32_e32 v4, 0x80000000, v4
	v_ffbh_u32_e32 v6, v5
	v_cmp_eq_u32_e32 vcc_lo, 0, v9
	v_min_u32_e32 v6, 32, v6
	v_subrev_nc_u32_e32 v7, 29, v6
	v_sub_nc_u32_e32 v6, 30, v6
	v_lshlrev_b32_e32 v3, v7, v3
	v_cndmask_b32_e32 v6, v9, v6, vcc_lo
	v_and_b32_e32 v3, 3, v3
	v_cndmask_b32_e32 v3, v5, v3, vcc_lo
	v_lshl_add_u32 v5, v6, 23, 0x37800000
	v_lshlrev_b32_e32 v3, 21, v3
	v_or3_b32 v3, v4, v5, v3
	v_cvt_f16_f32_e32 v3, v3
.LBB24_621:
	s_or_b32 exec_lo, exec_lo, s27
	s_mov_b32 s26, 0
	s_branch .LBB24_627
.LBB24_622:
	s_mov_b32 s27, -1
                                        ; implicit-def: $vgpr3
	s_branch .LBB24_633
.LBB24_623:
	s_or_saveexec_b32 s27, s27
	v_mov_b32_e32 v3, 0x7e00
	s_xor_b32 exec_lo, exec_lo, s27
	s_cbranch_execz .LBB24_606
.LBB24_624:
	v_cmp_ne_u16_e32 vcc_lo, 0, v4
	v_mov_b32_e32 v3, v4
	s_andn2_b32 s26, s26, exec_lo
	s_and_b32 s47, vcc_lo, exec_lo
	s_or_b32 s26, s26, s47
	s_or_b32 exec_lo, exec_lo, s27
	s_and_saveexec_b32 s27, s26
	s_cbranch_execnz .LBB24_607
	s_branch .LBB24_608
.LBB24_625:
	s_mov_b32 s26, -1
                                        ; implicit-def: $vgpr3
	s_branch .LBB24_630
.LBB24_626:
	s_mov_b32 s26, -1
                                        ; implicit-def: $vgpr3
.LBB24_627:
	s_and_b32 vcc_lo, exec_lo, s26
	s_cbranch_vccz .LBB24_629
; %bb.628:
	global_load_ubyte v3, v[1:2], off
	s_waitcnt vmcnt(0)
	v_lshlrev_b32_e32 v3, 24, v3
	v_and_b32_e32 v4, 0x7f000000, v3
	v_ffbh_u32_e32 v5, v4
	v_add_nc_u32_e32 v7, 0x1000000, v4
	v_cmp_ne_u32_e32 vcc_lo, 0, v4
	v_min_u32_e32 v5, 32, v5
	v_sub_nc_u32_e64 v5, v5, 4 clamp
	v_lshlrev_b32_e32 v6, v5, v4
	v_lshlrev_b32_e32 v5, 23, v5
	v_lshrrev_b32_e32 v6, 4, v6
	v_sub_nc_u32_e32 v5, v6, v5
	v_ashrrev_i32_e32 v6, 8, v7
	v_add_nc_u32_e32 v5, 0x3c000000, v5
	v_and_or_b32 v5, 0x7f800000, v6, v5
	v_cndmask_b32_e32 v4, 0, v5, vcc_lo
	v_and_or_b32 v3, 0x80000000, v3, v4
	v_cvt_f16_f32_e32 v3, v3
.LBB24_629:
	s_mov_b32 s26, 0
.LBB24_630:
	s_andn2_b32 vcc_lo, exec_lo, s26
	s_cbranch_vccnz .LBB24_632
; %bb.631:
	global_load_ubyte v3, v[1:2], off
	s_waitcnt vmcnt(0)
	v_lshlrev_b32_e32 v4, 25, v3
	v_lshlrev_b16 v3, 8, v3
	v_lshrrev_b32_e32 v5, 4, v4
	v_and_or_b32 v6, 0x7f00, v3, 0.5
	v_cmp_gt_u32_e32 vcc_lo, 0x8000000, v4
	v_bfe_i32 v3, v3, 0, 16
	v_or_b32_e32 v5, 0x70000000, v5
	v_add_f32_e32 v6, -0.5, v6
	v_mul_f32_e32 v5, 0x7800000, v5
	v_cndmask_b32_e32 v4, v5, v6, vcc_lo
	v_and_or_b32 v3, 0x80000000, v3, v4
	v_cvt_f16_f32_e32 v3, v3
.LBB24_632:
	s_mov_b32 s27, 0
	s_mov_b32 s26, -1
.LBB24_633:
	s_andn2_b32 vcc_lo, exec_lo, s27
	s_cbranch_vccnz .LBB24_646
; %bb.634:
	s_cmp_gt_i32 s0, 14
	s_cbranch_scc0 .LBB24_637
; %bb.635:
	s_cmp_eq_u32 s0, 15
	s_cbranch_scc0 .LBB24_640
; %bb.636:
	global_load_ushort v3, v[1:2], off
	s_mov_b32 s26, -1
	s_mov_b32 s1, 0
	s_waitcnt vmcnt(0)
	v_lshlrev_b32_e32 v3, 16, v3
	v_cvt_f16_f32_e32 v3, v3
	s_branch .LBB24_641
.LBB24_637:
	s_mov_b32 s27, -1
                                        ; implicit-def: $vgpr3
	s_branch .LBB24_642
.LBB24_638:
	s_or_saveexec_b32 s27, s27
	v_mov_b32_e32 v3, 0x7e00
	s_xor_b32 exec_lo, exec_lo, s27
	s_cbranch_execz .LBB24_619
.LBB24_639:
	v_cmp_ne_u16_e32 vcc_lo, 0, v4
	v_mov_b32_e32 v3, v4
	s_andn2_b32 s26, s26, exec_lo
	s_and_b32 s47, vcc_lo, exec_lo
	s_or_b32 s26, s26, s47
	s_or_b32 exec_lo, exec_lo, s27
	s_and_saveexec_b32 s27, s26
	s_cbranch_execnz .LBB24_620
	s_branch .LBB24_621
.LBB24_640:
	s_mov_b32 s1, -1
                                        ; implicit-def: $vgpr3
.LBB24_641:
	s_mov_b32 s27, 0
.LBB24_642:
	s_and_b32 vcc_lo, exec_lo, s27
	s_cbranch_vccz .LBB24_646
; %bb.643:
	s_cmp_eq_u32 s0, 11
	s_cbranch_scc0 .LBB24_645
; %bb.644:
	global_load_ubyte v3, v[1:2], off
	s_mov_b32 s1, 0
	s_mov_b32 s26, -1
	s_waitcnt vmcnt(0)
	v_cmp_ne_u16_e32 vcc_lo, 0, v3
	v_cndmask_b32_e64 v3, 0, 0x3c00, vcc_lo
	s_branch .LBB24_646
.LBB24_645:
	s_mov_b32 s1, -1
                                        ; implicit-def: $vgpr3
.LBB24_646:
	s_mov_b32 s27, 0
.LBB24_647:
	s_and_b32 vcc_lo, exec_lo, s27
	s_cbranch_vccz .LBB24_696
; %bb.648:
	s_cmp_lt_i32 s0, 5
	s_cbranch_scc1 .LBB24_653
; %bb.649:
	s_cmp_lt_i32 s0, 8
	s_cbranch_scc1 .LBB24_654
	;; [unrolled: 3-line block ×3, first 2 shown]
; %bb.651:
	s_cmp_gt_i32 s0, 9
	s_cbranch_scc0 .LBB24_656
; %bb.652:
	global_load_dwordx2 v[3:4], v[1:2], off
	s_mov_b32 s26, 0
	s_waitcnt vmcnt(0)
	v_and_or_b32 v3, 0x1ff, v4, v3
	v_lshrrev_b32_e32 v5, 8, v4
	v_bfe_u32 v6, v4, 20, 11
	v_lshrrev_b32_e32 v4, 16, v4
	v_cmp_ne_u32_e32 vcc_lo, 0, v3
	v_sub_nc_u32_e32 v7, 0x3f1, v6
	v_add_nc_u32_e32 v6, 0xfffffc10, v6
	v_cndmask_b32_e64 v3, 0, 1, vcc_lo
	v_and_or_b32 v3, 0xffe, v5, v3
	v_med3_i32 v5, v7, 0, 13
	v_or_b32_e32 v7, 0x1000, v3
	v_lshrrev_b32_e32 v9, v5, v7
	v_lshlrev_b32_e32 v5, v5, v9
	v_cmp_ne_u32_e32 vcc_lo, v5, v7
	v_lshl_or_b32 v7, v6, 12, v3
	v_cndmask_b32_e64 v5, 0, 1, vcc_lo
	v_cmp_gt_i32_e32 vcc_lo, 1, v6
	v_or_b32_e32 v5, v9, v5
	v_cndmask_b32_e32 v5, v7, v5, vcc_lo
	v_and_b32_e32 v7, 7, v5
	v_lshrrev_b32_e32 v5, 2, v5
	v_cmp_lt_i32_e32 vcc_lo, 5, v7
	v_cndmask_b32_e64 v9, 0, 1, vcc_lo
	v_cmp_eq_u32_e32 vcc_lo, 3, v7
	v_cndmask_b32_e64 v7, 0, 1, vcc_lo
	v_cmp_ne_u32_e32 vcc_lo, 0, v3
	v_or_b32_e32 v7, v7, v9
	v_mov_b32_e32 v9, 0x7e00
	v_add_nc_u32_e32 v5, v5, v7
	v_cndmask_b32_e32 v3, 0x7c00, v9, vcc_lo
	v_cmp_gt_i32_e32 vcc_lo, 31, v6
	v_cndmask_b32_e32 v5, 0x7c00, v5, vcc_lo
	v_cmp_eq_u32_e32 vcc_lo, 0x40f, v6
	v_cndmask_b32_e32 v3, v5, v3, vcc_lo
	v_and_or_b32 v3, 0x8000, v4, v3
	s_branch .LBB24_657
.LBB24_653:
	s_mov_b32 s26, -1
                                        ; implicit-def: $vgpr3
	s_branch .LBB24_675
.LBB24_654:
	s_mov_b32 s26, -1
                                        ; implicit-def: $vgpr3
	s_branch .LBB24_663
.LBB24_655:
	s_mov_b32 s26, -1
                                        ; implicit-def: $vgpr3
	s_branch .LBB24_660
.LBB24_656:
	s_mov_b32 s26, -1
                                        ; implicit-def: $vgpr3
.LBB24_657:
	s_andn2_b32 vcc_lo, exec_lo, s26
	s_cbranch_vccnz .LBB24_659
; %bb.658:
	global_load_dword v3, v[1:2], off
	s_waitcnt vmcnt(0)
	v_cvt_f16_f32_e32 v3, v3
.LBB24_659:
	s_mov_b32 s26, 0
.LBB24_660:
	s_andn2_b32 vcc_lo, exec_lo, s26
	s_cbranch_vccnz .LBB24_662
; %bb.661:
	global_load_dword v3, v[1:2], off
.LBB24_662:
	s_mov_b32 s26, 0
.LBB24_663:
	s_andn2_b32 vcc_lo, exec_lo, s26
	s_cbranch_vccnz .LBB24_674
; %bb.664:
	s_cmp_lt_i32 s0, 6
	s_cbranch_scc1 .LBB24_667
; %bb.665:
	s_cmp_gt_i32 s0, 6
	s_cbranch_scc0 .LBB24_668
; %bb.666:
	global_load_dwordx2 v[3:4], v[1:2], off
	s_mov_b32 s26, 0
	s_waitcnt vmcnt(0)
	v_and_or_b32 v3, 0x1ff, v4, v3
	v_lshrrev_b32_e32 v5, 8, v4
	v_bfe_u32 v6, v4, 20, 11
	v_lshrrev_b32_e32 v4, 16, v4
	v_cmp_ne_u32_e32 vcc_lo, 0, v3
	v_sub_nc_u32_e32 v7, 0x3f1, v6
	v_add_nc_u32_e32 v6, 0xfffffc10, v6
	v_cndmask_b32_e64 v3, 0, 1, vcc_lo
	v_and_or_b32 v3, 0xffe, v5, v3
	v_med3_i32 v5, v7, 0, 13
	v_or_b32_e32 v7, 0x1000, v3
	v_lshrrev_b32_e32 v9, v5, v7
	v_lshlrev_b32_e32 v5, v5, v9
	v_cmp_ne_u32_e32 vcc_lo, v5, v7
	v_lshl_or_b32 v7, v6, 12, v3
	v_cndmask_b32_e64 v5, 0, 1, vcc_lo
	v_cmp_gt_i32_e32 vcc_lo, 1, v6
	v_or_b32_e32 v5, v9, v5
	v_cndmask_b32_e32 v5, v7, v5, vcc_lo
	v_and_b32_e32 v7, 7, v5
	v_lshrrev_b32_e32 v5, 2, v5
	v_cmp_lt_i32_e32 vcc_lo, 5, v7
	v_cndmask_b32_e64 v9, 0, 1, vcc_lo
	v_cmp_eq_u32_e32 vcc_lo, 3, v7
	v_cndmask_b32_e64 v7, 0, 1, vcc_lo
	v_cmp_ne_u32_e32 vcc_lo, 0, v3
	v_or_b32_e32 v7, v7, v9
	v_mov_b32_e32 v9, 0x7e00
	v_add_nc_u32_e32 v5, v5, v7
	v_cndmask_b32_e32 v3, 0x7c00, v9, vcc_lo
	v_cmp_gt_i32_e32 vcc_lo, 31, v6
	v_cndmask_b32_e32 v5, 0x7c00, v5, vcc_lo
	v_cmp_eq_u32_e32 vcc_lo, 0x40f, v6
	v_cndmask_b32_e32 v3, v5, v3, vcc_lo
	v_and_or_b32 v3, 0x8000, v4, v3
	s_branch .LBB24_669
.LBB24_667:
	s_mov_b32 s26, -1
                                        ; implicit-def: $vgpr3
	s_branch .LBB24_672
.LBB24_668:
	s_mov_b32 s26, -1
                                        ; implicit-def: $vgpr3
.LBB24_669:
	s_andn2_b32 vcc_lo, exec_lo, s26
	s_cbranch_vccnz .LBB24_671
; %bb.670:
	global_load_dword v3, v[1:2], off
	s_waitcnt vmcnt(0)
	v_cvt_f16_f32_e32 v3, v3
.LBB24_671:
	s_mov_b32 s26, 0
.LBB24_672:
	s_andn2_b32 vcc_lo, exec_lo, s26
	s_cbranch_vccnz .LBB24_674
; %bb.673:
	global_load_ushort v3, v[1:2], off
.LBB24_674:
	s_mov_b32 s26, 0
.LBB24_675:
	s_andn2_b32 vcc_lo, exec_lo, s26
	s_cbranch_vccnz .LBB24_695
; %bb.676:
	s_cmp_lt_i32 s0, 2
	s_cbranch_scc1 .LBB24_680
; %bb.677:
	s_cmp_lt_i32 s0, 3
	s_cbranch_scc1 .LBB24_681
; %bb.678:
	s_cmp_gt_i32 s0, 3
	s_cbranch_scc0 .LBB24_682
; %bb.679:
	global_load_dwordx2 v[3:4], v[1:2], off
	s_mov_b32 s26, 0
	s_waitcnt vmcnt(0)
	v_xor_b32_e32 v5, v3, v4
	v_ffbh_i32_e32 v6, v4
	v_ashrrev_i32_e32 v5, 31, v5
	v_add_nc_u32_e32 v6, -1, v6
	v_add_nc_u32_e32 v5, 32, v5
	v_min_u32_e32 v5, v6, v5
	v_lshlrev_b64 v[3:4], v5, v[3:4]
	v_min_u32_e32 v3, 1, v3
	v_or_b32_e32 v3, v4, v3
	v_sub_nc_u32_e32 v4, 32, v5
	v_cvt_f32_i32_e32 v3, v3
	v_ldexp_f32 v3, v3, v4
	v_cvt_f16_f32_e32 v3, v3
	s_branch .LBB24_683
.LBB24_680:
	s_mov_b32 s26, -1
                                        ; implicit-def: $vgpr3
	s_branch .LBB24_689
.LBB24_681:
	s_mov_b32 s26, -1
                                        ; implicit-def: $vgpr3
	s_branch .LBB24_686
.LBB24_682:
	s_mov_b32 s26, -1
                                        ; implicit-def: $vgpr3
.LBB24_683:
	s_andn2_b32 vcc_lo, exec_lo, s26
	s_cbranch_vccnz .LBB24_685
; %bb.684:
	global_load_dword v3, v[1:2], off
	s_waitcnt vmcnt(0)
	v_cvt_f32_i32_e32 v3, v3
	v_cvt_f16_f32_e32 v3, v3
.LBB24_685:
	s_mov_b32 s26, 0
.LBB24_686:
	s_andn2_b32 vcc_lo, exec_lo, s26
	s_cbranch_vccnz .LBB24_688
; %bb.687:
	global_load_ushort v3, v[1:2], off
	s_waitcnt vmcnt(0)
	v_cvt_f16_i16_e32 v3, v3
.LBB24_688:
	s_mov_b32 s26, 0
.LBB24_689:
	s_andn2_b32 vcc_lo, exec_lo, s26
	s_cbranch_vccnz .LBB24_695
; %bb.690:
	s_cmp_gt_i32 s0, 0
	s_mov_b32 s0, 0
	s_cbranch_scc0 .LBB24_692
; %bb.691:
	global_load_sbyte v3, v[1:2], off
	s_waitcnt vmcnt(0)
	v_cvt_f16_i16_e32 v3, v3
	s_branch .LBB24_693
.LBB24_692:
	s_mov_b32 s0, -1
                                        ; implicit-def: $vgpr3
.LBB24_693:
	s_andn2_b32 vcc_lo, exec_lo, s0
	s_cbranch_vccnz .LBB24_695
; %bb.694:
	global_load_ubyte v1, v[1:2], off
	s_waitcnt vmcnt(0)
	v_cvt_f16_u16_e32 v3, v1
.LBB24_695:
	s_mov_b32 s26, -1
.LBB24_696:
	s_andn2_b32 vcc_lo, exec_lo, s26
	s_cbranch_vccnz .LBB24_706
; %bb.697:
	s_waitcnt vmcnt(0)
	v_cvt_f32_f16_e32 v1, v3
	s_mov_b32 s0, exec_lo
	v_cmpx_nlg_f32_e64 0x7f800000, |v1|
	s_cbranch_execz .LBB24_699
; %bb.698:
	v_mov_b32_e32 v2, 0
	v_mov_b32_e32 v4, 1.0
	global_store_dword v2, v4, s[12:13]
.LBB24_699:
	s_or_b32 exec_lo, exec_lo, s0
	v_mov_b32_e32 v2, 0
	v_add_co_u32 v0, s0, s8, v0
	s_and_b32 s26, s34, 0xff
	s_cmp_lt_i32 s26, 11
	global_load_dword v2, v2, s[14:15]
	s_waitcnt vmcnt(0)
	v_fma_mixlo_f16 v4, v2, v1, 0
	v_cmp_eq_f32_e32 vcc_lo, 1.0, v2
	v_add_co_ci_u32_e64 v1, null, s9, 0, s0
	v_cndmask_b32_e32 v2, v4, v3, vcc_lo
	s_cbranch_scc1 .LBB24_707
; %bb.700:
	s_and_b32 s27, 0xffff, s26
	s_cmp_gt_i32 s27, 25
	s_cbranch_scc0 .LBB24_708
; %bb.701:
	s_cmp_gt_i32 s27, 28
	s_cbranch_scc0 .LBB24_709
; %bb.702:
	;; [unrolled: 3-line block ×4, first 2 shown]
	s_mov_b32 s48, 0
	s_mov_b32 s0, -1
	s_cmp_eq_u32 s27, 46
	s_mov_b32 s47, 0
	s_cbranch_scc0 .LBB24_712
; %bb.705:
	v_cvt_f32_f16_e32 v3, v2
	v_cmp_o_f16_e32 vcc_lo, v2, v2
	s_mov_b32 s47, -1
	s_mov_b32 s0, 0
	v_bfe_u32 v4, v3, 16, 1
	v_add3_u32 v3, v3, v4, 0x7fff
	v_mov_b32_e32 v4, 0x7fc0
	v_cndmask_b32_sdwa v3, v4, v3, vcc_lo dst_sel:DWORD dst_unused:UNUSED_PAD src0_sel:DWORD src1_sel:WORD_1
	global_store_dword v[0:1], v3, off
	s_branch .LBB24_712
.LBB24_706:
	s_mov_b32 s47, 0
	s_mov_b32 s0, s44
	s_branch .LBB24_823
.LBB24_707:
	s_mov_b32 s27, -1
	s_mov_b32 s47, 0
	s_mov_b32 s0, s44
	s_branch .LBB24_781
.LBB24_708:
	s_mov_b32 s48, -1
	s_mov_b32 s47, 0
	s_mov_b32 s0, s44
	s_branch .LBB24_739
.LBB24_709:
	s_mov_b32 s48, -1
	s_mov_b32 s47, 0
	s_mov_b32 s0, s44
	s_branch .LBB24_722
.LBB24_710:
	s_mov_b32 s48, -1
	s_mov_b32 s47, 0
	s_mov_b32 s0, s44
	s_branch .LBB24_718
.LBB24_711:
	s_mov_b32 s48, -1
	s_mov_b32 s47, 0
	s_mov_b32 s0, s44
.LBB24_712:
	s_and_b32 vcc_lo, exec_lo, s48
	s_cbranch_vccz .LBB24_717
; %bb.713:
	s_cmp_eq_u32 s27, 44
	s_mov_b32 s0, -1
	s_cbranch_scc0 .LBB24_717
; %bb.714:
	v_cvt_f32_f16_e32 v3, v2
	v_mov_b32_e32 v4, 0xff
	s_mov_b32 s47, exec_lo
	v_bfe_u32 v5, v3, 23, 8
	v_cmpx_ne_u32_e32 0xff, v5
	s_cbranch_execz .LBB24_716
; %bb.715:
	v_and_b32_e32 v4, 0x400000, v3
	v_and_or_b32 v5, 0x3fffff, v3, v5
	v_lshrrev_b32_e32 v3, 23, v3
	v_cmp_ne_u32_e32 vcc_lo, 0, v4
	v_cmp_ne_u32_e64 s0, 0, v5
	s_and_b32 s0, vcc_lo, s0
	v_cndmask_b32_e64 v4, 0, 1, s0
	v_add_nc_u32_e32 v4, v3, v4
.LBB24_716:
	s_or_b32 exec_lo, exec_lo, s47
	s_mov_b32 s47, -1
	s_mov_b32 s0, 0
	global_store_byte v[0:1], v4, off
.LBB24_717:
	s_mov_b32 s48, 0
.LBB24_718:
	s_and_b32 vcc_lo, exec_lo, s48
	s_cbranch_vccz .LBB24_721
; %bb.719:
	s_cmp_eq_u32 s27, 29
	s_mov_b32 s0, -1
	s_cbranch_scc0 .LBB24_721
; %bb.720:
	v_cvt_f32_f16_e32 v3, v2
	v_mov_b32_e32 v4, 0
	s_mov_b32 s47, -1
	s_mov_b32 s0, 0
	s_mov_b32 s48, 0
	v_cvt_u32_f32_e32 v3, v3
	global_store_dwordx2 v[0:1], v[3:4], off
	s_branch .LBB24_722
.LBB24_721:
	s_mov_b32 s48, 0
.LBB24_722:
	s_and_b32 vcc_lo, exec_lo, s48
	s_cbranch_vccz .LBB24_738
; %bb.723:
	s_cmp_lt_i32 s27, 27
	s_mov_b32 s47, -1
	s_cbranch_scc1 .LBB24_729
; %bb.724:
	s_cmp_gt_i32 s27, 27
	s_cbranch_scc0 .LBB24_726
; %bb.725:
	v_cvt_f32_f16_e32 v3, v2
	s_mov_b32 s47, 0
	v_cvt_u32_f32_e32 v3, v3
	global_store_dword v[0:1], v3, off
.LBB24_726:
	s_andn2_b32 vcc_lo, exec_lo, s47
	s_cbranch_vccnz .LBB24_728
; %bb.727:
	v_cvt_u16_f16_e32 v3, v2
	global_store_short v[0:1], v3, off
.LBB24_728:
	s_mov_b32 s47, 0
.LBB24_729:
	s_andn2_b32 vcc_lo, exec_lo, s47
	s_cbranch_vccnz .LBB24_737
; %bb.730:
	v_cvt_f32_f16_e32 v3, v2
	v_mov_b32_e32 v5, 0x80
	s_mov_b32 s47, exec_lo
	v_and_b32_e32 v4, 0x7fffffff, v3
	v_cmpx_gt_u32_e32 0x43800000, v4
	s_cbranch_execz .LBB24_736
; %bb.731:
	v_cmp_lt_u32_e32 vcc_lo, 0x3bffffff, v4
	s_mov_b32 s48, 0
                                        ; implicit-def: $vgpr4
	s_and_saveexec_b32 s49, vcc_lo
	s_xor_b32 s49, exec_lo, s49
	s_cbranch_execz .LBB24_853
; %bb.732:
	v_bfe_u32 v4, v3, 20, 1
	s_mov_b32 s48, exec_lo
	v_add3_u32 v4, v3, v4, 0x487ffff
	v_lshrrev_b32_e32 v4, 20, v4
	s_andn2_saveexec_b32 s49, s49
	s_cbranch_execnz .LBB24_854
.LBB24_733:
	s_or_b32 exec_lo, exec_lo, s49
	v_mov_b32_e32 v5, 0
	s_and_saveexec_b32 s49, s48
.LBB24_734:
	v_lshrrev_b32_e32 v3, 24, v3
	v_and_or_b32 v5, 0x80, v3, v4
.LBB24_735:
	s_or_b32 exec_lo, exec_lo, s49
.LBB24_736:
	s_or_b32 exec_lo, exec_lo, s47
	global_store_byte v[0:1], v5, off
.LBB24_737:
	s_mov_b32 s47, -1
.LBB24_738:
	s_mov_b32 s48, 0
.LBB24_739:
	s_and_b32 vcc_lo, exec_lo, s48
	s_cbranch_vccz .LBB24_780
; %bb.740:
	s_cmp_gt_i32 s27, 22
	s_mov_b32 s48, -1
	s_cbranch_scc0 .LBB24_772
; %bb.741:
	s_cmp_lt_i32 s27, 24
	s_mov_b32 s47, -1
	s_cbranch_scc1 .LBB24_761
; %bb.742:
	s_cmp_gt_i32 s27, 24
	s_cbranch_scc0 .LBB24_750
; %bb.743:
	v_cvt_f32_f16_e32 v3, v2
	v_mov_b32_e32 v5, 0x80
	s_mov_b32 s47, exec_lo
	v_and_b32_e32 v4, 0x7fffffff, v3
	v_cmpx_gt_u32_e32 0x47800000, v4
	s_cbranch_execz .LBB24_749
; %bb.744:
	v_cmp_lt_u32_e32 vcc_lo, 0x37ffffff, v4
	s_mov_b32 s48, 0
                                        ; implicit-def: $vgpr4
	s_and_saveexec_b32 s49, vcc_lo
	s_xor_b32 s49, exec_lo, s49
	s_cbranch_execz .LBB24_856
; %bb.745:
	v_bfe_u32 v4, v3, 21, 1
	s_mov_b32 s48, exec_lo
	v_add3_u32 v4, v3, v4, 0x88fffff
	v_lshrrev_b32_e32 v4, 21, v4
	s_andn2_saveexec_b32 s49, s49
	s_cbranch_execnz .LBB24_857
.LBB24_746:
	s_or_b32 exec_lo, exec_lo, s49
	v_mov_b32_e32 v5, 0
	s_and_saveexec_b32 s49, s48
.LBB24_747:
	v_lshrrev_b32_e32 v3, 24, v3
	v_and_or_b32 v5, 0x80, v3, v4
.LBB24_748:
	s_or_b32 exec_lo, exec_lo, s49
.LBB24_749:
	s_or_b32 exec_lo, exec_lo, s47
	s_mov_b32 s47, 0
	global_store_byte v[0:1], v5, off
.LBB24_750:
	s_and_b32 vcc_lo, exec_lo, s47
	s_cbranch_vccz .LBB24_760
; %bb.751:
	v_cvt_f32_f16_e32 v3, v2
	s_mov_b32 s47, exec_lo
                                        ; implicit-def: $vgpr4
	v_and_b32_e32 v5, 0x7fffffff, v3
	v_cmpx_gt_u32_e32 0x43f00000, v5
	s_xor_b32 s47, exec_lo, s47
	s_cbranch_execz .LBB24_757
; %bb.752:
	s_mov_b32 s48, exec_lo
                                        ; implicit-def: $vgpr4
	v_cmpx_lt_u32_e32 0x3c7fffff, v5
	s_xor_b32 s48, exec_lo, s48
; %bb.753:
	v_bfe_u32 v4, v3, 20, 1
	v_add3_u32 v4, v3, v4, 0x407ffff
	v_and_b32_e32 v5, 0xff00000, v4
	v_lshrrev_b32_e32 v4, 20, v4
	v_cmp_ne_u32_e32 vcc_lo, 0x7f00000, v5
	v_cndmask_b32_e32 v4, 0x7e, v4, vcc_lo
; %bb.754:
	s_andn2_saveexec_b32 s48, s48
; %bb.755:
	v_add_f32_e64 v4, 0x46800000, |v3|
; %bb.756:
	s_or_b32 exec_lo, exec_lo, s48
                                        ; implicit-def: $vgpr5
.LBB24_757:
	s_andn2_saveexec_b32 s47, s47
; %bb.758:
	v_mov_b32_e32 v4, 0x7f
	v_cmp_lt_u32_e32 vcc_lo, 0x7f800000, v5
	v_cndmask_b32_e32 v4, 0x7e, v4, vcc_lo
; %bb.759:
	s_or_b32 exec_lo, exec_lo, s47
	v_lshrrev_b32_e32 v3, 24, v3
	v_and_or_b32 v3, 0x80, v3, v4
	global_store_byte v[0:1], v3, off
.LBB24_760:
	s_mov_b32 s47, 0
.LBB24_761:
	s_andn2_b32 vcc_lo, exec_lo, s47
	s_cbranch_vccnz .LBB24_771
; %bb.762:
	v_cvt_f32_f16_e32 v3, v2
	s_mov_b32 s47, exec_lo
                                        ; implicit-def: $vgpr4
	v_and_b32_e32 v5, 0x7fffffff, v3
	v_cmpx_gt_u32_e32 0x47800000, v5
	s_xor_b32 s47, exec_lo, s47
	s_cbranch_execz .LBB24_768
; %bb.763:
	s_mov_b32 s48, exec_lo
                                        ; implicit-def: $vgpr4
	v_cmpx_lt_u32_e32 0x387fffff, v5
	s_xor_b32 s48, exec_lo, s48
; %bb.764:
	v_bfe_u32 v4, v3, 21, 1
	v_add3_u32 v4, v3, v4, 0x80fffff
	v_lshrrev_b32_e32 v4, 21, v4
; %bb.765:
	s_andn2_saveexec_b32 s48, s48
; %bb.766:
	v_add_f32_e64 v4, 0x43000000, |v3|
; %bb.767:
	s_or_b32 exec_lo, exec_lo, s48
                                        ; implicit-def: $vgpr5
.LBB24_768:
	s_andn2_saveexec_b32 s47, s47
; %bb.769:
	v_mov_b32_e32 v4, 0x7f
	v_cmp_lt_u32_e32 vcc_lo, 0x7f800000, v5
	v_cndmask_b32_e32 v4, 0x7c, v4, vcc_lo
; %bb.770:
	s_or_b32 exec_lo, exec_lo, s47
	v_lshrrev_b32_e32 v3, 24, v3
	v_and_or_b32 v3, 0x80, v3, v4
	global_store_byte v[0:1], v3, off
.LBB24_771:
	s_mov_b32 s48, 0
	s_mov_b32 s47, -1
.LBB24_772:
	s_andn2_b32 vcc_lo, exec_lo, s48
	s_cbranch_vccnz .LBB24_780
; %bb.773:
	s_cmp_gt_i32 s27, 14
	s_mov_b32 s48, -1
	s_cbranch_scc0 .LBB24_777
; %bb.774:
	s_cmp_eq_u32 s27, 15
	s_mov_b32 s0, -1
	s_cbranch_scc0 .LBB24_776
; %bb.775:
	v_cvt_f32_f16_e32 v3, v2
	v_cmp_o_f16_e32 vcc_lo, v2, v2
	s_mov_b32 s47, -1
	s_mov_b32 s0, 0
	v_bfe_u32 v4, v3, 16, 1
	v_add3_u32 v3, v3, v4, 0x7fff
	v_mov_b32_e32 v4, 0x7fc0
	v_cndmask_b32_sdwa v3, v4, v3, vcc_lo dst_sel:DWORD dst_unused:UNUSED_PAD src0_sel:DWORD src1_sel:WORD_1
	global_store_short v[0:1], v3, off
.LBB24_776:
	s_mov_b32 s48, 0
.LBB24_777:
	s_and_b32 vcc_lo, exec_lo, s48
	s_cbranch_vccz .LBB24_780
; %bb.778:
	s_cmp_eq_u32 s27, 11
	s_mov_b32 s0, -1
	s_cbranch_scc0 .LBB24_780
; %bb.779:
	v_and_b32_e32 v3, 0x7fff, v2
	s_mov_b32 s0, 0
	s_mov_b32 s47, -1
	v_cmp_ne_u16_e32 vcc_lo, 0, v3
	v_cndmask_b32_e64 v3, 0, 1, vcc_lo
	global_store_byte v[0:1], v3, off
.LBB24_780:
	s_mov_b32 s27, 0
.LBB24_781:
	s_and_b32 vcc_lo, exec_lo, s27
	s_cbranch_vccz .LBB24_820
; %bb.782:
	s_and_b32 s26, 0xffff, s26
	s_mov_b32 s27, -1
	s_cmp_lt_i32 s26, 5
	s_cbranch_scc1 .LBB24_803
; %bb.783:
	s_cmp_lt_i32 s26, 8
	s_cbranch_scc1 .LBB24_793
; %bb.784:
	;; [unrolled: 3-line block ×3, first 2 shown]
	s_cmp_gt_i32 s26, 9
	s_cbranch_scc0 .LBB24_787
; %bb.786:
	v_cvt_f32_f16_e32 v3, v2
	v_mov_b32_e32 v5, 0
	s_mov_b32 s27, 0
	v_cvt_f64_f32_e32 v[3:4], v3
	v_mov_b32_e32 v6, v5
	global_store_dwordx4 v[0:1], v[3:6], off
.LBB24_787:
	s_andn2_b32 vcc_lo, exec_lo, s27
	s_cbranch_vccnz .LBB24_789
; %bb.788:
	v_cvt_f32_f16_e32 v3, v2
	v_mov_b32_e32 v4, 0
	global_store_dwordx2 v[0:1], v[3:4], off
.LBB24_789:
	s_mov_b32 s27, 0
.LBB24_790:
	s_andn2_b32 vcc_lo, exec_lo, s27
	s_cbranch_vccnz .LBB24_792
; %bb.791:
	v_and_b32_e32 v3, 0xffff, v2
	global_store_dword v[0:1], v3, off
.LBB24_792:
	s_mov_b32 s27, 0
.LBB24_793:
	s_andn2_b32 vcc_lo, exec_lo, s27
	s_cbranch_vccnz .LBB24_802
; %bb.794:
	s_cmp_lt_i32 s26, 6
	s_mov_b32 s27, -1
	s_cbranch_scc1 .LBB24_800
; %bb.795:
	s_cmp_gt_i32 s26, 6
	s_cbranch_scc0 .LBB24_797
; %bb.796:
	v_cvt_f32_f16_e32 v3, v2
	s_mov_b32 s27, 0
	v_cvt_f64_f32_e32 v[3:4], v3
	global_store_dwordx2 v[0:1], v[3:4], off
.LBB24_797:
	s_andn2_b32 vcc_lo, exec_lo, s27
	s_cbranch_vccnz .LBB24_799
; %bb.798:
	v_cvt_f32_f16_e32 v3, v2
	global_store_dword v[0:1], v3, off
.LBB24_799:
	s_mov_b32 s27, 0
.LBB24_800:
	s_andn2_b32 vcc_lo, exec_lo, s27
	s_cbranch_vccnz .LBB24_802
; %bb.801:
	global_store_short v[0:1], v2, off
.LBB24_802:
	s_mov_b32 s27, 0
.LBB24_803:
	s_andn2_b32 vcc_lo, exec_lo, s27
	s_cbranch_vccnz .LBB24_819
; %bb.804:
	s_cmp_lt_i32 s26, 2
	s_mov_b32 s27, -1
	s_cbranch_scc1 .LBB24_814
; %bb.805:
	s_cmp_lt_i32 s26, 3
	s_cbranch_scc1 .LBB24_811
; %bb.806:
	s_cmp_gt_i32 s26, 3
	s_cbranch_scc0 .LBB24_808
; %bb.807:
	v_cvt_f32_f16_e32 v3, v2
	s_mov_b32 s27, 0
	v_cvt_i32_f32_e32 v3, v3
	v_ashrrev_i32_e32 v4, 31, v3
	global_store_dwordx2 v[0:1], v[3:4], off
.LBB24_808:
	s_andn2_b32 vcc_lo, exec_lo, s27
	s_cbranch_vccnz .LBB24_810
; %bb.809:
	v_cvt_f32_f16_e32 v3, v2
	v_cvt_i32_f32_e32 v3, v3
	global_store_dword v[0:1], v3, off
.LBB24_810:
	s_mov_b32 s27, 0
.LBB24_811:
	s_andn2_b32 vcc_lo, exec_lo, s27
	s_cbranch_vccnz .LBB24_813
; %bb.812:
	v_cvt_i16_f16_e32 v3, v2
	global_store_short v[0:1], v3, off
.LBB24_813:
	s_mov_b32 s27, 0
.LBB24_814:
	s_andn2_b32 vcc_lo, exec_lo, s27
	s_cbranch_vccnz .LBB24_819
; %bb.815:
	s_cmp_gt_i32 s26, 0
	s_mov_b32 s26, -1
	s_cbranch_scc0 .LBB24_817
; %bb.816:
	v_cvt_i16_f16_e32 v3, v2
	s_mov_b32 s26, 0
	global_store_byte v[0:1], v3, off
.LBB24_817:
	s_andn2_b32 vcc_lo, exec_lo, s26
	s_cbranch_vccnz .LBB24_819
; %bb.818:
	v_cvt_f32_f16_e32 v2, v2
	v_cvt_i32_f32_e32 v2, v2
	global_store_byte v[0:1], v2, off
.LBB24_819:
	s_mov_b32 s47, -1
.LBB24_820:
	s_andn2_b32 vcc_lo, exec_lo, s47
	s_cbranch_vccnz .LBB24_822
; %bb.821:
	v_add_nc_u32_e32 v8, 0x80, v8
	s_mov_b32 s47, -1
	s_branch .LBB24_824
.LBB24_822:
	s_mov_b32 s47, 0
.LBB24_823:
                                        ; implicit-def: $vgpr8
.LBB24_824:
	s_andn2_b32 s26, s44, exec_lo
	s_and_b32 s0, s0, exec_lo
	s_andn2_b32 s48, s43, exec_lo
	s_and_b32 s1, s1, exec_lo
	s_or_b32 s27, s26, s0
	s_or_b32 s26, s48, s1
	s_orn2_b32 s48, s47, exec_lo
.LBB24_825:
	s_or_b32 exec_lo, exec_lo, s46
	s_mov_b32 s0, 0
	s_mov_b32 s1, 0
	;; [unrolled: 1-line block ×3, first 2 shown]
                                        ; implicit-def: $vgpr1_vgpr2
                                        ; implicit-def: $vgpr0
                                        ; implicit-def: $vgpr4
	s_and_saveexec_b32 s46, s48
	s_cbranch_execz .LBB24_925
; %bb.826:
	v_cmp_gt_i32_e32 vcc_lo, s37, v8
	s_mov_b32 s49, s26
	s_mov_b32 s48, 0
                                        ; implicit-def: $vgpr1_vgpr2
                                        ; implicit-def: $vgpr0
                                        ; implicit-def: $vgpr4
	s_and_saveexec_b32 s37, vcc_lo
	s_cbranch_execz .LBB24_924
; %bb.827:
	s_andn2_b32 vcc_lo, exec_lo, s31
	s_cbranch_vccnz .LBB24_832
; %bb.828:
	s_andn2_b32 vcc_lo, exec_lo, s39
	s_cbranch_vccnz .LBB24_833
; %bb.829:
	s_add_i32 s38, s38, 1
	s_cmp_eq_u32 s29, 2
	s_cbranch_scc1 .LBB24_834
; %bb.830:
	v_mov_b32_e32 v2, 0
	v_mov_b32_e32 v0, 0
	;; [unrolled: 1-line block ×3, first 2 shown]
	s_and_b32 s39, s38, 28
	s_mov_b64 s[0:1], s[2:3]
.LBB24_831:                             ; =>This Inner Loop Header: Depth=1
	s_clause 0x1
	s_load_dwordx8 s[48:55], s[0:1], 0x4
	s_load_dwordx4 s[64:67], s[0:1], 0x24
	s_load_dwordx8 s[56:63], s[24:25], 0x0
	s_add_u32 s0, s0, 48
	s_addc_u32 s1, s1, 0
	s_add_i32 s47, s47, 4
	s_add_u32 s24, s24, 32
	s_addc_u32 s25, s25, 0
	s_cmp_eq_u32 s39, s47
	s_waitcnt vmcnt(0) lgkmcnt(0)
	v_mul_hi_u32 v3, s49, v1
	v_add_nc_u32_e32 v3, v1, v3
	v_lshrrev_b32_e32 v3, s50, v3
	v_mul_hi_u32 v4, s52, v3
	v_mul_lo_u32 v6, v3, s48
	v_add_nc_u32_e32 v4, v3, v4
	v_sub_nc_u32_e32 v1, v1, v6
	v_lshrrev_b32_e32 v4, s53, v4
	v_mul_lo_u32 v6, v1, s56
	v_mul_lo_u32 v9, v1, s57
	v_mul_hi_u32 v5, s55, v4
	v_add_nc_u32_e32 v5, v4, v5
	v_lshrrev_b32_e32 v5, s64, v5
	v_mul_hi_u32 v7, s66, v5
	v_mul_lo_u32 v10, v5, s54
	v_add_nc_u32_e32 v1, v5, v7
	v_mul_lo_u32 v7, v4, s51
	v_sub_nc_u32_e32 v4, v4, v10
	v_lshrrev_b32_e32 v1, s67, v1
	v_mul_lo_u32 v10, v4, s60
	v_mul_lo_u32 v4, v4, s61
	v_sub_nc_u32_e32 v3, v3, v7
	v_mul_lo_u32 v11, v1, s65
	v_mul_lo_u32 v7, v3, s58
	;; [unrolled: 1-line block ×3, first 2 shown]
	v_sub_nc_u32_e32 v5, v5, v11
	v_add3_u32 v0, v6, v0, v7
	v_mul_lo_u32 v11, v5, s62
	v_mul_lo_u32 v5, v5, s63
	v_add3_u32 v2, v9, v2, v3
	v_add3_u32 v0, v10, v0, v11
	;; [unrolled: 1-line block ×3, first 2 shown]
	s_cbranch_scc0 .LBB24_831
	s_branch .LBB24_835
.LBB24_832:
	s_mov_b32 s0, -1
                                        ; implicit-def: $vgpr0
                                        ; implicit-def: $vgpr2
	s_branch .LBB24_839
.LBB24_833:
	v_mov_b32_e32 v0, 0
	v_mov_b32_e32 v2, 0
	s_branch .LBB24_838
.LBB24_834:
	v_mov_b32_e32 v0, 0
	v_mov_b32_e32 v2, 0
	;; [unrolled: 1-line block ×3, first 2 shown]
	s_mov_b32 s39, 0
.LBB24_835:
	s_and_b32 s38, s38, 3
	s_cmp_eq_u32 s38, 0
	s_cbranch_scc1 .LBB24_838
; %bb.836:
	s_lshl_b32 s0, s39, 3
	s_mul_i32 s24, s39, 12
	s_add_u32 s0, s2, s0
	s_addc_u32 s1, s3, 0
	s_add_u32 s0, s0, 0xc4
	s_addc_u32 s1, s1, 0
	;; [unrolled: 2-line block ×3, first 2 shown]
.LBB24_837:                             ; =>This Inner Loop Header: Depth=1
	s_clause 0x1
	s_load_dwordx2 s[48:49], s[24:25], 0x4
	s_load_dword s39, s[24:25], 0xc
	s_load_dwordx2 s[50:51], s[0:1], 0x0
	s_add_u32 s24, s24, 12
	s_addc_u32 s25, s25, 0
	s_add_u32 s0, s0, 8
	s_addc_u32 s1, s1, 0
	s_add_i32 s38, s38, -1
	s_cmp_lg_u32 s38, 0
	s_waitcnt vmcnt(0) lgkmcnt(0)
	v_mul_hi_u32 v3, s49, v1
	v_add_nc_u32_e32 v3, v1, v3
	v_lshrrev_b32_e32 v4, s39, v3
	v_mul_lo_u32 v3, v4, s48
	v_sub_nc_u32_e32 v3, v1, v3
	v_mad_u64_u32 v[0:1], null, v3, s50, v[0:1]
	v_mad_u64_u32 v[2:3], null, v3, s51, v[2:3]
	v_mov_b32_e32 v1, v4
	s_cbranch_scc1 .LBB24_837
.LBB24_838:
	s_mov_b32 s0, 0
.LBB24_839:
	s_andn2_b32 vcc_lo, exec_lo, s0
	s_cbranch_vccnz .LBB24_842
; %bb.840:
	v_mul_hi_u32 v0, s21, v8
	s_andn2_b32 vcc_lo, exec_lo, s36
	v_add_nc_u32_e32 v0, v8, v0
	v_lshrrev_b32_e32 v1, s22, v0
	v_mul_lo_u32 v0, v1, s20
	v_sub_nc_u32_e32 v2, v8, v0
	v_mul_lo_u32 v0, v2, s16
	v_mul_lo_u32 v2, v2, s17
	s_cbranch_vccnz .LBB24_842
; %bb.841:
	s_waitcnt vmcnt(0)
	v_mul_hi_u32 v3, s6, v1
	v_add_nc_u32_e32 v3, v1, v3
	v_lshrrev_b32_e32 v3, s7, v3
	v_mul_lo_u32 v3, v3, s23
	v_sub_nc_u32_e32 v3, v1, v3
	v_mad_u64_u32 v[0:1], null, v3, s18, v[0:1]
	v_mad_u64_u32 v[2:3], null, v3, s19, v[2:3]
.LBB24_842:
	v_add_co_u32 v1, s0, s10, v2
	v_add_co_ci_u32_e64 v2, null, s11, 0, s0
	s_and_b32 s0, 0xffff, s35
	s_cmp_lt_i32 s0, 11
	s_cbranch_scc1 .LBB24_849
; %bb.843:
	s_cmp_gt_i32 s0, 25
	s_mov_b32 s6, 0
	s_cbranch_scc0 .LBB24_850
; %bb.844:
	s_cmp_gt_i32 s0, 28
	s_cbranch_scc0 .LBB24_851
; %bb.845:
	s_cmp_gt_i32 s0, 43
	;; [unrolled: 3-line block ×3, first 2 shown]
	s_cbranch_scc0 .LBB24_855
; %bb.847:
	s_cmp_eq_u32 s0, 46
	s_mov_b32 s10, 0
	s_cbranch_scc0 .LBB24_858
; %bb.848:
	global_load_dword v3, v[1:2], off
	s_mov_b32 s1, 0
	s_mov_b32 s7, -1
	s_waitcnt vmcnt(0)
	v_lshlrev_b32_e32 v3, 16, v3
	v_cvt_f16_f32_e32 v4, v3
	s_branch .LBB24_860
.LBB24_849:
	s_mov_b32 s0, -1
	s_mov_b32 s7, 0
	s_mov_b32 s6, 0
	;; [unrolled: 1-line block ×3, first 2 shown]
                                        ; implicit-def: $vgpr4
	s_branch .LBB24_923
.LBB24_850:
	s_mov_b32 s10, -1
	s_mov_b32 s7, 0
	s_mov_b32 s1, s26
                                        ; implicit-def: $vgpr4
	s_branch .LBB24_889
.LBB24_851:
	s_mov_b32 s10, -1
	s_mov_b32 s7, 0
	s_mov_b32 s1, s26
                                        ; implicit-def: $vgpr4
	s_branch .LBB24_870
.LBB24_852:
	s_mov_b32 s10, -1
	s_mov_b32 s7, 0
	s_mov_b32 s1, s26
                                        ; implicit-def: $vgpr4
	s_branch .LBB24_865
.LBB24_853:
	s_andn2_saveexec_b32 s49, s49
	s_cbranch_execz .LBB24_733
.LBB24_854:
	v_add_f32_e64 v4, 0x46000000, |v3|
	s_andn2_b32 s48, s48, exec_lo
	v_and_b32_e32 v4, 0xff, v4
	v_cmp_ne_u32_e32 vcc_lo, 0, v4
	s_and_b32 s50, vcc_lo, exec_lo
	s_or_b32 s48, s48, s50
	s_or_b32 exec_lo, exec_lo, s49
	v_mov_b32_e32 v5, 0
	s_and_saveexec_b32 s49, s48
	s_cbranch_execnz .LBB24_734
	s_branch .LBB24_735
.LBB24_855:
	s_mov_b32 s10, -1
	s_mov_b32 s7, 0
	s_mov_b32 s1, s26
	s_branch .LBB24_859
.LBB24_856:
	s_andn2_saveexec_b32 s49, s49
	s_cbranch_execz .LBB24_746
.LBB24_857:
	v_add_f32_e64 v4, 0x42800000, |v3|
	s_andn2_b32 s48, s48, exec_lo
	v_and_b32_e32 v4, 0xff, v4
	v_cmp_ne_u32_e32 vcc_lo, 0, v4
	s_and_b32 s50, vcc_lo, exec_lo
	s_or_b32 s48, s48, s50
	s_or_b32 exec_lo, exec_lo, s49
	v_mov_b32_e32 v5, 0
	s_and_saveexec_b32 s49, s48
	s_cbranch_execnz .LBB24_747
	s_branch .LBB24_748
.LBB24_858:
	s_mov_b32 s1, -1
	s_mov_b32 s7, 0
.LBB24_859:
                                        ; implicit-def: $vgpr4
.LBB24_860:
	s_and_b32 vcc_lo, exec_lo, s10
	s_cbranch_vccz .LBB24_864
; %bb.861:
	s_cmp_eq_u32 s0, 44
	s_cbranch_scc0 .LBB24_863
; %bb.862:
	global_load_ubyte v3, v[1:2], off
	s_mov_b32 s1, 0
	s_mov_b32 s7, -1
	s_waitcnt vmcnt(0)
	v_lshlrev_b32_e32 v4, 23, v3
	v_cmp_ne_u32_e32 vcc_lo, 0xff, v3
	v_cvt_f16_f32_e32 v4, v4
	v_cndmask_b32_e32 v4, 0x7e00, v4, vcc_lo
	v_cmp_ne_u32_e32 vcc_lo, 0, v3
	v_cndmask_b32_e32 v4, 0, v4, vcc_lo
	s_branch .LBB24_864
.LBB24_863:
	s_mov_b32 s1, -1
                                        ; implicit-def: $vgpr4
.LBB24_864:
	s_mov_b32 s10, 0
.LBB24_865:
	s_and_b32 vcc_lo, exec_lo, s10
	s_cbranch_vccz .LBB24_869
; %bb.866:
	s_cmp_eq_u32 s0, 29
	s_cbranch_scc0 .LBB24_868
; %bb.867:
	global_load_dwordx2 v[3:4], v[1:2], off
	s_mov_b32 s1, 0
	s_mov_b32 s7, -1
	s_mov_b32 s10, 0
	s_waitcnt vmcnt(0)
	v_ffbh_u32_e32 v5, v4
	v_min_u32_e32 v5, 32, v5
	v_lshlrev_b64 v[3:4], v5, v[3:4]
	v_min_u32_e32 v3, 1, v3
	v_or_b32_e32 v3, v4, v3
	v_sub_nc_u32_e32 v4, 32, v5
	v_cvt_f32_u32_e32 v3, v3
	v_ldexp_f32 v3, v3, v4
	v_cvt_f16_f32_e32 v4, v3
	s_branch .LBB24_870
.LBB24_868:
	s_mov_b32 s1, -1
                                        ; implicit-def: $vgpr4
.LBB24_869:
	s_mov_b32 s10, 0
.LBB24_870:
	s_and_b32 vcc_lo, exec_lo, s10
	s_cbranch_vccz .LBB24_888
; %bb.871:
	s_cmp_lt_i32 s0, 27
	s_cbranch_scc1 .LBB24_874
; %bb.872:
	s_cmp_gt_i32 s0, 27
	s_cbranch_scc0 .LBB24_875
; %bb.873:
	global_load_dword v3, v[1:2], off
	s_mov_b32 s7, 0
	s_waitcnt vmcnt(0)
	v_cvt_f32_u32_e32 v3, v3
	v_cvt_f16_f32_e32 v4, v3
	s_branch .LBB24_876
.LBB24_874:
	s_mov_b32 s7, -1
                                        ; implicit-def: $vgpr4
	s_branch .LBB24_879
.LBB24_875:
	s_mov_b32 s7, -1
                                        ; implicit-def: $vgpr4
.LBB24_876:
	s_andn2_b32 vcc_lo, exec_lo, s7
	s_cbranch_vccnz .LBB24_878
; %bb.877:
	global_load_ushort v3, v[1:2], off
	s_waitcnt vmcnt(0)
	v_cvt_f16_u16_e32 v4, v3
.LBB24_878:
	s_mov_b32 s7, 0
.LBB24_879:
	s_andn2_b32 vcc_lo, exec_lo, s7
	s_cbranch_vccnz .LBB24_887
; %bb.880:
	global_load_ubyte v3, v[1:2], off
	s_mov_b32 s7, 0
	s_mov_b32 s10, exec_lo
	s_waitcnt vmcnt(0)
	v_cmpx_lt_i16_e32 0x7f, v3
	s_xor_b32 s10, exec_lo, s10
	s_cbranch_execz .LBB24_901
; %bb.881:
	s_mov_b32 s7, -1
	s_mov_b32 s11, exec_lo
	v_cmpx_eq_u16_e32 0x80, v3
; %bb.882:
	s_xor_b32 s7, exec_lo, -1
; %bb.883:
	s_or_b32 exec_lo, exec_lo, s11
	s_and_b32 s7, s7, exec_lo
	s_or_saveexec_b32 s10, s10
	v_mov_b32_e32 v4, 0x7e00
	s_xor_b32 exec_lo, exec_lo, s10
	s_cbranch_execnz .LBB24_902
.LBB24_884:
	s_or_b32 exec_lo, exec_lo, s10
	s_and_saveexec_b32 s10, s7
	s_cbranch_execz .LBB24_886
.LBB24_885:
	v_and_b32_e32 v4, 0xffff, v3
	v_lshlrev_b32_e32 v3, 24, v3
	v_and_b32_e32 v5, 7, v4
	v_bfe_u32 v8, v4, 3, 4
	v_and_b32_e32 v3, 0x80000000, v3
	v_ffbh_u32_e32 v6, v5
	v_cmp_eq_u32_e32 vcc_lo, 0, v8
	v_min_u32_e32 v6, 32, v6
	v_subrev_nc_u32_e32 v7, 28, v6
	v_sub_nc_u32_e32 v6, 29, v6
	v_lshlrev_b32_e32 v4, v7, v4
	v_cndmask_b32_e32 v6, v8, v6, vcc_lo
	v_and_b32_e32 v4, 7, v4
	v_cndmask_b32_e32 v4, v5, v4, vcc_lo
	v_lshl_add_u32 v5, v6, 23, 0x3b800000
	v_lshlrev_b32_e32 v4, 20, v4
	v_or3_b32 v3, v3, v5, v4
	v_cvt_f16_f32_e32 v4, v3
.LBB24_886:
	s_or_b32 exec_lo, exec_lo, s10
.LBB24_887:
	s_mov_b32 s7, -1
.LBB24_888:
	s_mov_b32 s10, 0
.LBB24_889:
	s_and_b32 vcc_lo, exec_lo, s10
	s_cbranch_vccz .LBB24_922
; %bb.890:
	s_cmp_gt_i32 s0, 22
	s_cbranch_scc0 .LBB24_900
; %bb.891:
	s_cmp_lt_i32 s0, 24
	s_cbranch_scc1 .LBB24_903
; %bb.892:
	s_cmp_gt_i32 s0, 24
	s_cbranch_scc0 .LBB24_904
; %bb.893:
	global_load_ubyte v3, v[1:2], off
	s_mov_b32 s7, exec_lo
	s_waitcnt vmcnt(0)
	v_cmpx_lt_i16_e32 0x7f, v3
	s_xor_b32 s7, exec_lo, s7
	s_cbranch_execz .LBB24_916
; %bb.894:
	s_mov_b32 s6, -1
	s_mov_b32 s10, exec_lo
	v_cmpx_eq_u16_e32 0x80, v3
; %bb.895:
	s_xor_b32 s6, exec_lo, -1
; %bb.896:
	s_or_b32 exec_lo, exec_lo, s10
	s_and_b32 s6, s6, exec_lo
	s_or_saveexec_b32 s7, s7
	v_mov_b32_e32 v4, 0x7e00
	s_xor_b32 exec_lo, exec_lo, s7
	s_cbranch_execnz .LBB24_917
.LBB24_897:
	s_or_b32 exec_lo, exec_lo, s7
	s_and_saveexec_b32 s7, s6
	s_cbranch_execz .LBB24_899
.LBB24_898:
	v_and_b32_e32 v4, 0xffff, v3
	v_lshlrev_b32_e32 v3, 24, v3
	v_and_b32_e32 v5, 3, v4
	v_bfe_u32 v8, v4, 2, 5
	v_and_b32_e32 v3, 0x80000000, v3
	v_ffbh_u32_e32 v6, v5
	v_cmp_eq_u32_e32 vcc_lo, 0, v8
	v_min_u32_e32 v6, 32, v6
	v_subrev_nc_u32_e32 v7, 29, v6
	v_sub_nc_u32_e32 v6, 30, v6
	v_lshlrev_b32_e32 v4, v7, v4
	v_cndmask_b32_e32 v6, v8, v6, vcc_lo
	v_and_b32_e32 v4, 3, v4
	v_cndmask_b32_e32 v4, v5, v4, vcc_lo
	v_lshl_add_u32 v5, v6, 23, 0x37800000
	v_lshlrev_b32_e32 v4, 21, v4
	v_or3_b32 v3, v3, v5, v4
	v_cvt_f16_f32_e32 v4, v3
.LBB24_899:
	s_or_b32 exec_lo, exec_lo, s7
	s_mov_b32 s6, 0
	s_branch .LBB24_905
.LBB24_900:
	s_mov_b32 s6, -1
                                        ; implicit-def: $vgpr4
	s_branch .LBB24_911
.LBB24_901:
	s_or_saveexec_b32 s10, s10
	v_mov_b32_e32 v4, 0x7e00
	s_xor_b32 exec_lo, exec_lo, s10
	s_cbranch_execz .LBB24_884
.LBB24_902:
	v_cmp_ne_u16_e32 vcc_lo, 0, v3
	v_mov_b32_e32 v4, v3
	s_andn2_b32 s7, s7, exec_lo
	s_and_b32 s11, vcc_lo, exec_lo
	s_or_b32 s7, s7, s11
	s_or_b32 exec_lo, exec_lo, s10
	s_and_saveexec_b32 s10, s7
	s_cbranch_execnz .LBB24_885
	s_branch .LBB24_886
.LBB24_903:
	s_mov_b32 s6, -1
                                        ; implicit-def: $vgpr4
	s_branch .LBB24_908
.LBB24_904:
	s_mov_b32 s6, -1
                                        ; implicit-def: $vgpr4
.LBB24_905:
	s_and_b32 vcc_lo, exec_lo, s6
	s_cbranch_vccz .LBB24_907
; %bb.906:
	global_load_ubyte v3, v[1:2], off
	s_waitcnt vmcnt(0)
	v_lshlrev_b32_e32 v3, 24, v3
	v_and_b32_e32 v4, 0x7f000000, v3
	v_ffbh_u32_e32 v5, v4
	v_add_nc_u32_e32 v7, 0x1000000, v4
	v_cmp_ne_u32_e32 vcc_lo, 0, v4
	v_min_u32_e32 v5, 32, v5
	v_sub_nc_u32_e64 v5, v5, 4 clamp
	v_lshlrev_b32_e32 v6, v5, v4
	v_lshlrev_b32_e32 v5, 23, v5
	v_lshrrev_b32_e32 v6, 4, v6
	v_sub_nc_u32_e32 v5, v6, v5
	v_ashrrev_i32_e32 v6, 8, v7
	v_add_nc_u32_e32 v5, 0x3c000000, v5
	v_and_or_b32 v5, 0x7f800000, v6, v5
	v_cndmask_b32_e32 v4, 0, v5, vcc_lo
	v_and_or_b32 v3, 0x80000000, v3, v4
	v_cvt_f16_f32_e32 v4, v3
.LBB24_907:
	s_mov_b32 s6, 0
.LBB24_908:
	s_andn2_b32 vcc_lo, exec_lo, s6
	s_cbranch_vccnz .LBB24_910
; %bb.909:
	global_load_ubyte v3, v[1:2], off
	s_waitcnt vmcnt(0)
	v_lshlrev_b32_e32 v4, 25, v3
	v_lshlrev_b16 v3, 8, v3
	v_lshrrev_b32_e32 v5, 4, v4
	v_and_or_b32 v6, 0x7f00, v3, 0.5
	v_cmp_gt_u32_e32 vcc_lo, 0x8000000, v4
	v_bfe_i32 v3, v3, 0, 16
	v_or_b32_e32 v5, 0x70000000, v5
	v_add_f32_e32 v6, -0.5, v6
	v_mul_f32_e32 v5, 0x7800000, v5
	v_cndmask_b32_e32 v4, v5, v6, vcc_lo
	v_and_or_b32 v3, 0x80000000, v3, v4
	v_cvt_f16_f32_e32 v4, v3
.LBB24_910:
	s_mov_b32 s6, 0
	s_mov_b32 s7, -1
.LBB24_911:
	s_andn2_b32 vcc_lo, exec_lo, s6
	s_mov_b32 s6, 0
	s_cbranch_vccnz .LBB24_922
; %bb.912:
	s_cmp_gt_i32 s0, 14
	s_cbranch_scc0 .LBB24_915
; %bb.913:
	s_cmp_eq_u32 s0, 15
	s_cbranch_scc0 .LBB24_918
; %bb.914:
	global_load_ushort v3, v[1:2], off
	s_mov_b32 s1, 0
	s_mov_b32 s7, -1
	s_waitcnt vmcnt(0)
	v_lshlrev_b32_e32 v3, 16, v3
	v_cvt_f16_f32_e32 v4, v3
	s_branch .LBB24_920
.LBB24_915:
	s_mov_b32 s6, -1
	s_branch .LBB24_919
.LBB24_916:
	s_or_saveexec_b32 s7, s7
	v_mov_b32_e32 v4, 0x7e00
	s_xor_b32 exec_lo, exec_lo, s7
	s_cbranch_execz .LBB24_897
.LBB24_917:
	v_cmp_ne_u16_e32 vcc_lo, 0, v3
	v_mov_b32_e32 v4, v3
	s_andn2_b32 s6, s6, exec_lo
	s_and_b32 s10, vcc_lo, exec_lo
	s_or_b32 s6, s6, s10
	s_or_b32 exec_lo, exec_lo, s7
	s_and_saveexec_b32 s7, s6
	s_cbranch_execnz .LBB24_898
	s_branch .LBB24_899
.LBB24_918:
	s_mov_b32 s1, -1
.LBB24_919:
                                        ; implicit-def: $vgpr4
.LBB24_920:
	s_and_b32 vcc_lo, exec_lo, s6
	s_mov_b32 s6, 0
	s_cbranch_vccz .LBB24_922
; %bb.921:
	s_cmp_lg_u32 s0, 11
	s_mov_b32 s6, -1
	s_cselect_b32 s0, -1, 0
	s_andn2_b32 s1, s1, exec_lo
	s_and_b32 s0, s0, exec_lo
	s_or_b32 s1, s1, s0
.LBB24_922:
	s_mov_b32 s0, 0
.LBB24_923:
	s_and_b32 s47, s7, exec_lo
	s_andn2_b32 s7, s26, exec_lo
	s_and_b32 s1, s1, exec_lo
	s_and_b32 s48, s0, exec_lo
	;; [unrolled: 1-line block ×3, first 2 shown]
	s_or_b32 s49, s7, s1
.LBB24_924:
	s_or_b32 exec_lo, exec_lo, s37
	s_andn2_b32 s6, s26, exec_lo
	s_and_b32 s7, s49, exec_lo
	s_and_b32 s47, s47, exec_lo
	;; [unrolled: 1-line block ×4, first 2 shown]
	s_or_b32 s26, s6, s7
.LBB24_925:
	s_or_b32 exec_lo, exec_lo, s46
	s_andn2_b32 s6, s44, exec_lo
	s_and_b32 s7, s27, exec_lo
	s_and_b32 s46, s47, exec_lo
	s_or_b32 s44, s6, s7
	s_andn2_b32 s6, s43, exec_lo
	s_and_b32 s7, s26, exec_lo
	s_and_b32 s27, s1, exec_lo
	;; [unrolled: 1-line block ×3, first 2 shown]
	s_or_b32 s43, s6, s7
.LBB24_926:
	s_or_b32 exec_lo, exec_lo, s45
	s_andn2_b32 s0, s40, exec_lo
	s_and_b32 s6, s44, exec_lo
	s_and_b32 s7, s43, exec_lo
	s_or_b32 s40, s0, s6
	s_andn2_b32 s6, s41, exec_lo
	s_and_b32 s0, s46, exec_lo
	s_and_b32 s26, s27, exec_lo
	;; [unrolled: 1-line block ×3, first 2 shown]
	s_or_b32 s41, s6, s7
	s_or_b32 exec_lo, exec_lo, s42
	s_mov_b32 s1, 0
	s_and_saveexec_b32 s6, s41
	s_cbranch_execz .LBB24_276
.LBB24_927:
	s_mov_b32 s1, exec_lo
	s_andn2_b32 s43, s43, exec_lo
	s_trap 2
	s_or_b32 exec_lo, exec_lo, s6
	s_and_saveexec_b32 s6, s43
	s_xor_b32 s6, exec_lo, s6
	s_cbranch_execnz .LBB24_277
.LBB24_928:
	s_or_b32 exec_lo, exec_lo, s6
	s_and_saveexec_b32 s6, s26
	s_cbranch_execz .LBB24_974
.LBB24_929:
	s_sext_i32_i16 s7, s35
	s_cmp_lt_i32 s7, 5
	s_cbranch_scc1 .LBB24_934
; %bb.930:
	s_cmp_lt_i32 s7, 8
	s_cbranch_scc1 .LBB24_935
; %bb.931:
	;; [unrolled: 3-line block ×3, first 2 shown]
	s_cmp_gt_i32 s7, 9
	s_cbranch_scc0 .LBB24_937
; %bb.933:
	global_load_dwordx2 v[3:4], v[1:2], off
	s_mov_b32 s7, 0
	s_waitcnt vmcnt(0)
	v_and_or_b32 v3, 0x1ff, v4, v3
	v_lshrrev_b32_e32 v5, 8, v4
	v_bfe_u32 v6, v4, 20, 11
	v_lshrrev_b32_e32 v4, 16, v4
	v_cmp_ne_u32_e32 vcc_lo, 0, v3
	v_sub_nc_u32_e32 v7, 0x3f1, v6
	v_add_nc_u32_e32 v6, 0xfffffc10, v6
	v_cndmask_b32_e64 v3, 0, 1, vcc_lo
	v_and_or_b32 v3, 0xffe, v5, v3
	v_med3_i32 v5, v7, 0, 13
	v_or_b32_e32 v7, 0x1000, v3
	v_lshrrev_b32_e32 v8, v5, v7
	v_lshlrev_b32_e32 v5, v5, v8
	v_cmp_ne_u32_e32 vcc_lo, v5, v7
	v_lshl_or_b32 v7, v6, 12, v3
	v_cndmask_b32_e64 v5, 0, 1, vcc_lo
	v_cmp_gt_i32_e32 vcc_lo, 1, v6
	v_or_b32_e32 v5, v8, v5
	v_cndmask_b32_e32 v5, v7, v5, vcc_lo
	v_and_b32_e32 v7, 7, v5
	v_lshrrev_b32_e32 v5, 2, v5
	v_cmp_lt_i32_e32 vcc_lo, 5, v7
	v_cndmask_b32_e64 v8, 0, 1, vcc_lo
	v_cmp_eq_u32_e32 vcc_lo, 3, v7
	v_cndmask_b32_e64 v7, 0, 1, vcc_lo
	v_cmp_ne_u32_e32 vcc_lo, 0, v3
	v_or_b32_e32 v7, v7, v8
	v_mov_b32_e32 v8, 0x7e00
	v_add_nc_u32_e32 v5, v5, v7
	v_cndmask_b32_e32 v3, 0x7c00, v8, vcc_lo
	v_cmp_gt_i32_e32 vcc_lo, 31, v6
	v_cndmask_b32_e32 v5, 0x7c00, v5, vcc_lo
	v_cmp_eq_u32_e32 vcc_lo, 0x40f, v6
	v_cndmask_b32_e32 v3, v5, v3, vcc_lo
	v_and_or_b32 v4, 0x8000, v4, v3
	s_branch .LBB24_938
.LBB24_934:
                                        ; implicit-def: $vgpr4
	s_branch .LBB24_955
.LBB24_935:
                                        ; implicit-def: $vgpr4
	s_branch .LBB24_944
.LBB24_936:
	s_mov_b32 s7, -1
                                        ; implicit-def: $vgpr4
	s_branch .LBB24_941
.LBB24_937:
	s_mov_b32 s7, -1
                                        ; implicit-def: $vgpr4
.LBB24_938:
	s_andn2_b32 vcc_lo, exec_lo, s7
	s_cbranch_vccnz .LBB24_940
; %bb.939:
	global_load_dword v3, v[1:2], off
	s_waitcnt vmcnt(0)
	v_cvt_f16_f32_e32 v4, v3
.LBB24_940:
	s_mov_b32 s7, 0
.LBB24_941:
	s_andn2_b32 vcc_lo, exec_lo, s7
	s_cbranch_vccnz .LBB24_943
; %bb.942:
	global_load_dword v4, v[1:2], off
.LBB24_943:
	s_cbranch_execnz .LBB24_954
.LBB24_944:
	s_sext_i32_i16 s7, s35
	s_cmp_lt_i32 s7, 6
	s_cbranch_scc1 .LBB24_947
; %bb.945:
	s_cmp_gt_i32 s7, 6
	s_cbranch_scc0 .LBB24_948
; %bb.946:
	global_load_dwordx2 v[3:4], v[1:2], off
	s_mov_b32 s7, 0
	s_waitcnt vmcnt(0)
	v_and_or_b32 v3, 0x1ff, v4, v3
	v_lshrrev_b32_e32 v5, 8, v4
	v_bfe_u32 v6, v4, 20, 11
	v_lshrrev_b32_e32 v4, 16, v4
	v_cmp_ne_u32_e32 vcc_lo, 0, v3
	v_sub_nc_u32_e32 v7, 0x3f1, v6
	v_add_nc_u32_e32 v6, 0xfffffc10, v6
	v_cndmask_b32_e64 v3, 0, 1, vcc_lo
	v_and_or_b32 v3, 0xffe, v5, v3
	v_med3_i32 v5, v7, 0, 13
	v_or_b32_e32 v7, 0x1000, v3
	v_lshrrev_b32_e32 v8, v5, v7
	v_lshlrev_b32_e32 v5, v5, v8
	v_cmp_ne_u32_e32 vcc_lo, v5, v7
	v_lshl_or_b32 v7, v6, 12, v3
	v_cndmask_b32_e64 v5, 0, 1, vcc_lo
	v_cmp_gt_i32_e32 vcc_lo, 1, v6
	v_or_b32_e32 v5, v8, v5
	v_cndmask_b32_e32 v5, v7, v5, vcc_lo
	v_and_b32_e32 v7, 7, v5
	v_lshrrev_b32_e32 v5, 2, v5
	v_cmp_lt_i32_e32 vcc_lo, 5, v7
	v_cndmask_b32_e64 v8, 0, 1, vcc_lo
	v_cmp_eq_u32_e32 vcc_lo, 3, v7
	v_cndmask_b32_e64 v7, 0, 1, vcc_lo
	v_cmp_ne_u32_e32 vcc_lo, 0, v3
	v_or_b32_e32 v7, v7, v8
	v_mov_b32_e32 v8, 0x7e00
	v_add_nc_u32_e32 v5, v5, v7
	v_cndmask_b32_e32 v3, 0x7c00, v8, vcc_lo
	v_cmp_gt_i32_e32 vcc_lo, 31, v6
	v_cndmask_b32_e32 v5, 0x7c00, v5, vcc_lo
	v_cmp_eq_u32_e32 vcc_lo, 0x40f, v6
	v_cndmask_b32_e32 v3, v5, v3, vcc_lo
	v_and_or_b32 v4, 0x8000, v4, v3
	s_branch .LBB24_949
.LBB24_947:
	s_mov_b32 s7, -1
                                        ; implicit-def: $vgpr4
	s_branch .LBB24_952
.LBB24_948:
	s_mov_b32 s7, -1
                                        ; implicit-def: $vgpr4
.LBB24_949:
	s_andn2_b32 vcc_lo, exec_lo, s7
	s_cbranch_vccnz .LBB24_951
; %bb.950:
	global_load_dword v3, v[1:2], off
	s_waitcnt vmcnt(0)
	v_cvt_f16_f32_e32 v4, v3
.LBB24_951:
	s_mov_b32 s7, 0
.LBB24_952:
	s_andn2_b32 vcc_lo, exec_lo, s7
	s_cbranch_vccnz .LBB24_954
; %bb.953:
	global_load_ushort v4, v[1:2], off
.LBB24_954:
	s_cbranch_execnz .LBB24_973
.LBB24_955:
	s_sext_i32_i16 s7, s35
	s_cmp_lt_i32 s7, 2
	s_cbranch_scc1 .LBB24_959
; %bb.956:
	s_cmp_lt_i32 s7, 3
	s_cbranch_scc1 .LBB24_960
; %bb.957:
	s_cmp_gt_i32 s7, 3
	s_cbranch_scc0 .LBB24_961
; %bb.958:
	global_load_dwordx2 v[3:4], v[1:2], off
	s_mov_b32 s7, 0
	s_waitcnt vmcnt(0)
	v_xor_b32_e32 v5, v3, v4
	v_ffbh_i32_e32 v6, v4
	v_ashrrev_i32_e32 v5, 31, v5
	v_add_nc_u32_e32 v6, -1, v6
	v_add_nc_u32_e32 v5, 32, v5
	v_min_u32_e32 v5, v6, v5
	v_lshlrev_b64 v[3:4], v5, v[3:4]
	v_min_u32_e32 v3, 1, v3
	v_or_b32_e32 v3, v4, v3
	v_sub_nc_u32_e32 v4, 32, v5
	v_cvt_f32_i32_e32 v3, v3
	v_ldexp_f32 v3, v3, v4
	v_cvt_f16_f32_e32 v4, v3
	s_branch .LBB24_962
.LBB24_959:
                                        ; implicit-def: $vgpr4
	s_branch .LBB24_968
.LBB24_960:
	s_mov_b32 s7, -1
                                        ; implicit-def: $vgpr4
	s_branch .LBB24_965
.LBB24_961:
	s_mov_b32 s7, -1
                                        ; implicit-def: $vgpr4
.LBB24_962:
	s_andn2_b32 vcc_lo, exec_lo, s7
	s_cbranch_vccnz .LBB24_964
; %bb.963:
	global_load_dword v3, v[1:2], off
	s_waitcnt vmcnt(0)
	v_cvt_f32_i32_e32 v3, v3
	v_cvt_f16_f32_e32 v4, v3
.LBB24_964:
	s_mov_b32 s7, 0
.LBB24_965:
	s_andn2_b32 vcc_lo, exec_lo, s7
	s_cbranch_vccnz .LBB24_967
; %bb.966:
	global_load_ushort v3, v[1:2], off
	s_waitcnt vmcnt(0)
	v_cvt_f16_i16_e32 v4, v3
.LBB24_967:
	s_cbranch_execnz .LBB24_973
.LBB24_968:
	s_sext_i32_i16 s7, s35
	s_cmp_gt_i32 s7, 0
	s_mov_b32 s7, 0
	s_cbranch_scc0 .LBB24_970
; %bb.969:
	global_load_sbyte v3, v[1:2], off
	s_waitcnt vmcnt(0)
	v_cvt_f16_i16_e32 v4, v3
	s_branch .LBB24_971
.LBB24_970:
	s_mov_b32 s7, -1
                                        ; implicit-def: $vgpr4
.LBB24_971:
	s_andn2_b32 vcc_lo, exec_lo, s7
	s_cbranch_vccnz .LBB24_973
; %bb.972:
	global_load_ubyte v1, v[1:2], off
	s_waitcnt vmcnt(0)
	v_cvt_f16_u16_e32 v4, v1
.LBB24_973:
	s_or_b32 s0, s0, exec_lo
.LBB24_974:
	s_or_b32 exec_lo, exec_lo, s6
	s_mov_b32 s11, 0
	s_mov_b32 s10, 0
                                        ; implicit-def: $sgpr6
                                        ; implicit-def: $vgpr1_vgpr2
                                        ; implicit-def: $vgpr3
	s_and_saveexec_b32 s7, s0
	s_cbranch_execz .LBB24_984
; %bb.975:
	s_waitcnt vmcnt(0)
	v_cvt_f32_f16_e32 v1, v4
	s_mov_b32 s0, exec_lo
	v_cmpx_nlg_f32_e64 0x7f800000, |v1|
	s_cbranch_execz .LBB24_977
; %bb.976:
	v_mov_b32_e32 v2, 0
	v_mov_b32_e32 v3, 1.0
	global_store_dword v2, v3, s[12:13]
.LBB24_977:
	s_or_b32 exec_lo, exec_lo, s0
	v_mov_b32_e32 v2, 0
	s_and_b32 s6, s34, 0xff
	s_cmp_lt_i32 s6, 11
	global_load_dword v3, v2, s[14:15]
	s_waitcnt vmcnt(0)
	v_fma_mixlo_f16 v5, v3, v1, 0
	v_cmp_eq_f32_e32 vcc_lo, 1.0, v3
	v_add_co_u32 v1, s0, s8, v0
	v_add_co_ci_u32_e64 v2, null, s9, 0, s0
	v_cndmask_b32_e32 v3, v5, v4, vcc_lo
	s_cbranch_scc1 .LBB24_987
; %bb.978:
	s_and_b32 s8, 0xffff, s6
	s_mov_b32 s9, -1
	s_cmp_gt_i32 s8, 25
	s_mov_b32 s0, s40
	s_cbranch_scc0 .LBB24_1015
; %bb.979:
	s_cmp_gt_i32 s8, 28
	s_mov_b32 s0, s40
	s_cbranch_scc0 .LBB24_999
; %bb.980:
	;; [unrolled: 4-line block ×4, first 2 shown]
	s_cmp_eq_u32 s8, 46
	s_mov_b32 s0, -1
	s_cbranch_scc0 .LBB24_988
; %bb.983:
	v_cvt_f32_f16_e32 v0, v3
	v_cmp_o_f16_e32 vcc_lo, v3, v3
	s_mov_b32 s0, 0
	s_mov_b32 s9, 0
	v_bfe_u32 v4, v0, 16, 1
	v_add3_u32 v0, v0, v4, 0x7fff
	v_mov_b32_e32 v4, 0x7fc0
	v_cndmask_b32_sdwa v0, v4, v0, vcc_lo dst_sel:DWORD dst_unused:UNUSED_PAD src0_sel:DWORD src1_sel:WORD_1
	global_store_dword v[1:2], v0, off
	s_branch .LBB24_989
.LBB24_984:
	s_or_b32 exec_lo, exec_lo, s7
	s_and_saveexec_b32 s0, s40
	s_cbranch_execnz .LBB24_1057
.LBB24_985:
	s_or_b32 exec_lo, exec_lo, s0
	s_and_saveexec_b32 s0, s11
	s_xor_b32 s0, exec_lo, s0
	s_cbranch_execz .LBB24_1058
.LBB24_986:
	s_waitcnt vmcnt(0)
	v_and_b32_e32 v0, 0x7fff, v3
	v_cmp_ne_u16_e32 vcc_lo, 0, v0
	v_cndmask_b32_e64 v0, 0, 1, vcc_lo
	global_store_byte v[1:2], v0, off
	s_or_b32 exec_lo, exec_lo, s0
	s_and_saveexec_b32 s0, s10
	s_xor_b32 s0, exec_lo, s0
	s_cbranch_execz .LBB24_1096
	s_branch .LBB24_1059
.LBB24_987:
	s_mov_b32 s9, -1
	s_mov_b32 s0, s40
	s_branch .LBB24_1056
.LBB24_988:
	s_mov_b32 s9, 0
.LBB24_989:
	s_and_b32 vcc_lo, exec_lo, s9
	s_cbranch_vccz .LBB24_994
; %bb.990:
	s_cmp_eq_u32 s8, 44
	s_mov_b32 s0, -1
	s_cbranch_scc0 .LBB24_994
; %bb.991:
	v_cvt_f32_f16_e32 v0, v3
	v_mov_b32_e32 v4, 0xff
	s_mov_b32 s9, exec_lo
	v_bfe_u32 v5, v0, 23, 8
	v_cmpx_ne_u32_e32 0xff, v5
	s_cbranch_execz .LBB24_993
; %bb.992:
	v_and_b32_e32 v4, 0x400000, v0
	v_and_or_b32 v5, 0x3fffff, v0, v5
	v_lshrrev_b32_e32 v0, 23, v0
	v_cmp_ne_u32_e32 vcc_lo, 0, v4
	v_cmp_ne_u32_e64 s0, 0, v5
	s_and_b32 s0, vcc_lo, s0
	v_cndmask_b32_e64 v4, 0, 1, s0
	v_add_nc_u32_e32 v4, v0, v4
.LBB24_993:
	s_or_b32 exec_lo, exec_lo, s9
	s_mov_b32 s0, 0
	global_store_byte v[1:2], v4, off
.LBB24_994:
	s_mov_b32 s9, 0
.LBB24_995:
	s_and_b32 vcc_lo, exec_lo, s9
	s_cbranch_vccz .LBB24_998
; %bb.996:
	s_cmp_eq_u32 s8, 29
	s_mov_b32 s0, -1
	s_cbranch_scc0 .LBB24_998
; %bb.997:
	v_cvt_f32_f16_e32 v0, v3
	v_mov_b32_e32 v5, 0
	s_mov_b32 s0, 0
	s_mov_b32 s9, 0
	v_cvt_u32_f32_e32 v4, v0
	global_store_dwordx2 v[1:2], v[4:5], off
	s_branch .LBB24_999
.LBB24_998:
	s_mov_b32 s9, 0
.LBB24_999:
	s_and_b32 vcc_lo, exec_lo, s9
	s_cbranch_vccz .LBB24_1014
; %bb.1000:
	s_cmp_lt_i32 s8, 27
	s_mov_b32 s9, -1
	s_cbranch_scc1 .LBB24_1006
; %bb.1001:
	s_cmp_gt_i32 s8, 27
	s_cbranch_scc0 .LBB24_1003
; %bb.1002:
	v_cvt_f32_f16_e32 v0, v3
	s_mov_b32 s9, 0
	v_cvt_u32_f32_e32 v0, v0
	global_store_dword v[1:2], v0, off
.LBB24_1003:
	s_andn2_b32 vcc_lo, exec_lo, s9
	s_cbranch_vccnz .LBB24_1005
; %bb.1004:
	v_cvt_u16_f16_e32 v0, v3
	global_store_short v[1:2], v0, off
.LBB24_1005:
	s_mov_b32 s9, 0
.LBB24_1006:
	s_andn2_b32 vcc_lo, exec_lo, s9
	s_cbranch_vccnz .LBB24_1014
; %bb.1007:
	v_cvt_f32_f16_e32 v0, v3
	v_mov_b32_e32 v5, 0x80
	s_mov_b32 s9, exec_lo
	v_and_b32_e32 v4, 0x7fffffff, v0
	v_cmpx_gt_u32_e32 0x43800000, v4
	s_cbranch_execz .LBB24_1013
; %bb.1008:
	v_cmp_lt_u32_e32 vcc_lo, 0x3bffffff, v4
                                        ; implicit-def: $vgpr4
	s_and_saveexec_b32 s11, vcc_lo
	s_xor_b32 s11, exec_lo, s11
	s_cbranch_execz .LBB24_1167
; %bb.1009:
	v_bfe_u32 v4, v0, 20, 1
	s_mov_b32 s10, exec_lo
	v_add3_u32 v4, v0, v4, 0x487ffff
	v_lshrrev_b32_e32 v4, 20, v4
	s_andn2_saveexec_b32 s11, s11
	s_cbranch_execnz .LBB24_1168
.LBB24_1010:
	s_or_b32 exec_lo, exec_lo, s11
	v_mov_b32_e32 v5, 0
	s_and_saveexec_b32 s11, s10
.LBB24_1011:
	v_lshrrev_b32_e32 v0, 24, v0
	v_and_or_b32 v5, 0x80, v0, v4
.LBB24_1012:
	s_or_b32 exec_lo, exec_lo, s11
.LBB24_1013:
	s_or_b32 exec_lo, exec_lo, s9
	global_store_byte v[1:2], v5, off
.LBB24_1014:
	s_mov_b32 s9, 0
.LBB24_1015:
	s_and_b32 vcc_lo, exec_lo, s9
	s_mov_b32 s9, 0
	s_cbranch_vccz .LBB24_1055
; %bb.1016:
	s_cmp_gt_i32 s8, 22
	s_mov_b32 s10, -1
	s_cbranch_scc0 .LBB24_1048
; %bb.1017:
	s_cmp_lt_i32 s8, 24
	s_cbranch_scc1 .LBB24_1037
; %bb.1018:
	s_cmp_gt_i32 s8, 24
	s_cbranch_scc0 .LBB24_1026
; %bb.1019:
	v_cvt_f32_f16_e32 v0, v3
	v_mov_b32_e32 v5, 0x80
	s_mov_b32 s10, exec_lo
	v_and_b32_e32 v4, 0x7fffffff, v0
	v_cmpx_gt_u32_e32 0x47800000, v4
	s_cbranch_execz .LBB24_1025
; %bb.1020:
	v_cmp_lt_u32_e32 vcc_lo, 0x37ffffff, v4
	s_mov_b32 s11, 0
                                        ; implicit-def: $vgpr4
	s_and_saveexec_b32 s12, vcc_lo
	s_xor_b32 s12, exec_lo, s12
	s_cbranch_execz .LBB24_1295
; %bb.1021:
	v_bfe_u32 v4, v0, 21, 1
	s_mov_b32 s11, exec_lo
	v_add3_u32 v4, v0, v4, 0x88fffff
	v_lshrrev_b32_e32 v4, 21, v4
	s_andn2_saveexec_b32 s12, s12
	s_cbranch_execnz .LBB24_1296
.LBB24_1022:
	s_or_b32 exec_lo, exec_lo, s12
	v_mov_b32_e32 v5, 0
	s_and_saveexec_b32 s12, s11
.LBB24_1023:
	v_lshrrev_b32_e32 v0, 24, v0
	v_and_or_b32 v5, 0x80, v0, v4
.LBB24_1024:
	s_or_b32 exec_lo, exec_lo, s12
.LBB24_1025:
	s_or_b32 exec_lo, exec_lo, s10
	s_mov_b32 s10, 0
	global_store_byte v[1:2], v5, off
.LBB24_1026:
	s_and_b32 vcc_lo, exec_lo, s10
	s_cbranch_vccz .LBB24_1036
; %bb.1027:
	v_cvt_f32_f16_e32 v0, v3
	s_mov_b32 s10, exec_lo
                                        ; implicit-def: $vgpr4
	v_and_b32_e32 v5, 0x7fffffff, v0
	v_cmpx_gt_u32_e32 0x43f00000, v5
	s_xor_b32 s10, exec_lo, s10
	s_cbranch_execz .LBB24_1033
; %bb.1028:
	s_mov_b32 s11, exec_lo
                                        ; implicit-def: $vgpr4
	v_cmpx_lt_u32_e32 0x3c7fffff, v5
	s_xor_b32 s11, exec_lo, s11
; %bb.1029:
	v_bfe_u32 v4, v0, 20, 1
	v_add3_u32 v4, v0, v4, 0x407ffff
	v_and_b32_e32 v5, 0xff00000, v4
	v_lshrrev_b32_e32 v4, 20, v4
	v_cmp_ne_u32_e32 vcc_lo, 0x7f00000, v5
	v_cndmask_b32_e32 v4, 0x7e, v4, vcc_lo
; %bb.1030:
	s_andn2_saveexec_b32 s11, s11
; %bb.1031:
	v_add_f32_e64 v4, 0x46800000, |v0|
; %bb.1032:
	s_or_b32 exec_lo, exec_lo, s11
                                        ; implicit-def: $vgpr5
.LBB24_1033:
	s_andn2_saveexec_b32 s10, s10
; %bb.1034:
	v_mov_b32_e32 v4, 0x7f
	v_cmp_lt_u32_e32 vcc_lo, 0x7f800000, v5
	v_cndmask_b32_e32 v4, 0x7e, v4, vcc_lo
; %bb.1035:
	s_or_b32 exec_lo, exec_lo, s10
	v_lshrrev_b32_e32 v0, 24, v0
	v_and_or_b32 v0, 0x80, v0, v4
	global_store_byte v[1:2], v0, off
.LBB24_1036:
	s_mov_b32 s10, 0
.LBB24_1037:
	s_andn2_b32 vcc_lo, exec_lo, s10
	s_cbranch_vccnz .LBB24_1047
; %bb.1038:
	v_cvt_f32_f16_e32 v0, v3
	s_mov_b32 s10, exec_lo
                                        ; implicit-def: $vgpr4
	v_and_b32_e32 v5, 0x7fffffff, v0
	v_cmpx_gt_u32_e32 0x47800000, v5
	s_xor_b32 s10, exec_lo, s10
	s_cbranch_execz .LBB24_1044
; %bb.1039:
	s_mov_b32 s11, exec_lo
                                        ; implicit-def: $vgpr4
	v_cmpx_lt_u32_e32 0x387fffff, v5
	s_xor_b32 s11, exec_lo, s11
; %bb.1040:
	v_bfe_u32 v4, v0, 21, 1
	v_add3_u32 v4, v0, v4, 0x80fffff
	v_lshrrev_b32_e32 v4, 21, v4
; %bb.1041:
	s_andn2_saveexec_b32 s11, s11
; %bb.1042:
	v_add_f32_e64 v4, 0x43000000, |v0|
; %bb.1043:
	s_or_b32 exec_lo, exec_lo, s11
                                        ; implicit-def: $vgpr5
.LBB24_1044:
	s_andn2_saveexec_b32 s10, s10
; %bb.1045:
	v_mov_b32_e32 v4, 0x7f
	v_cmp_lt_u32_e32 vcc_lo, 0x7f800000, v5
	v_cndmask_b32_e32 v4, 0x7c, v4, vcc_lo
; %bb.1046:
	s_or_b32 exec_lo, exec_lo, s10
	v_lshrrev_b32_e32 v0, 24, v0
	v_and_or_b32 v0, 0x80, v0, v4
	global_store_byte v[1:2], v0, off
.LBB24_1047:
	s_mov_b32 s10, 0
.LBB24_1048:
	s_andn2_b32 vcc_lo, exec_lo, s10
	s_mov_b32 s11, 0
	s_cbranch_vccnz .LBB24_1056
; %bb.1049:
	s_cmp_gt_i32 s8, 14
	s_mov_b32 s10, -1
	s_cbranch_scc0 .LBB24_1053
; %bb.1050:
	s_cmp_eq_u32 s8, 15
	s_mov_b32 s0, -1
	s_cbranch_scc0 .LBB24_1052
; %bb.1051:
	v_cvt_f32_f16_e32 v0, v3
	v_cmp_o_f16_e32 vcc_lo, v3, v3
	s_mov_b32 s0, 0
	v_bfe_u32 v4, v0, 16, 1
	v_add3_u32 v0, v0, v4, 0x7fff
	v_mov_b32_e32 v4, 0x7fc0
	v_cndmask_b32_sdwa v0, v4, v0, vcc_lo dst_sel:DWORD dst_unused:UNUSED_PAD src0_sel:DWORD src1_sel:WORD_1
	global_store_short v[1:2], v0, off
.LBB24_1052:
	s_mov_b32 s10, 0
.LBB24_1053:
	s_and_b32 vcc_lo, exec_lo, s10
	s_cbranch_vccz .LBB24_1056
; %bb.1054:
	s_cmp_lg_u32 s8, 11
	s_mov_b32 s11, -1
	s_cselect_b32 s8, -1, 0
	s_andn2_b32 s0, s0, exec_lo
	s_and_b32 s8, s8, exec_lo
	s_or_b32 s0, s0, s8
	s_branch .LBB24_1056
.LBB24_1055:
	s_mov_b32 s11, 0
.LBB24_1056:
	s_andn2_b32 s8, s40, exec_lo
	s_and_b32 s0, s0, exec_lo
	s_and_b32 s10, s9, exec_lo
	;; [unrolled: 1-line block ×3, first 2 shown]
	s_or_b32 s40, s8, s0
	s_or_b32 exec_lo, exec_lo, s7
	s_and_saveexec_b32 s0, s40
	s_cbranch_execz .LBB24_985
.LBB24_1057:
	s_or_b32 s1, s1, exec_lo
	s_andn2_b32 s11, s11, exec_lo
	s_trap 2
	s_or_b32 exec_lo, exec_lo, s0
	s_and_saveexec_b32 s0, s11
	s_xor_b32 s0, exec_lo, s0
	s_cbranch_execnz .LBB24_986
.LBB24_1058:
	s_or_b32 exec_lo, exec_lo, s0
	s_and_saveexec_b32 s0, s10
	s_xor_b32 s0, exec_lo, s0
	s_cbranch_execz .LBB24_1096
.LBB24_1059:
	s_sext_i32_i16 s8, s6
	s_mov_b32 s7, -1
	s_cmp_lt_i32 s8, 5
	s_cbranch_scc1 .LBB24_1080
; %bb.1060:
	s_cmp_lt_i32 s8, 8
	s_cbranch_scc1 .LBB24_1070
; %bb.1061:
	;; [unrolled: 3-line block ×3, first 2 shown]
	s_cmp_gt_i32 s8, 9
	s_cbranch_scc0 .LBB24_1064
; %bb.1063:
	s_waitcnt vmcnt(0)
	v_cvt_f32_f16_e32 v0, v3
	v_mov_b32_e32 v6, 0
	s_mov_b32 s7, 0
	v_cvt_f64_f32_e32 v[4:5], v0
	v_mov_b32_e32 v7, v6
	global_store_dwordx4 v[1:2], v[4:7], off
.LBB24_1064:
	s_andn2_b32 vcc_lo, exec_lo, s7
	s_cbranch_vccnz .LBB24_1066
; %bb.1065:
	s_waitcnt vmcnt(0)
	v_cvt_f32_f16_e32 v4, v3
	v_mov_b32_e32 v5, 0
	global_store_dwordx2 v[1:2], v[4:5], off
.LBB24_1066:
	s_mov_b32 s7, 0
.LBB24_1067:
	s_andn2_b32 vcc_lo, exec_lo, s7
	s_cbranch_vccnz .LBB24_1069
; %bb.1068:
	s_waitcnt vmcnt(0)
	v_and_b32_e32 v0, 0xffff, v3
	global_store_dword v[1:2], v0, off
.LBB24_1069:
	s_mov_b32 s7, 0
.LBB24_1070:
	s_andn2_b32 vcc_lo, exec_lo, s7
	s_cbranch_vccnz .LBB24_1079
; %bb.1071:
	s_sext_i32_i16 s8, s6
	s_mov_b32 s7, -1
	s_cmp_lt_i32 s8, 6
	s_cbranch_scc1 .LBB24_1077
; %bb.1072:
	s_cmp_gt_i32 s8, 6
	s_cbranch_scc0 .LBB24_1074
; %bb.1073:
	s_waitcnt vmcnt(0)
	v_cvt_f32_f16_e32 v0, v3
	s_mov_b32 s7, 0
	v_cvt_f64_f32_e32 v[4:5], v0
	global_store_dwordx2 v[1:2], v[4:5], off
.LBB24_1074:
	s_andn2_b32 vcc_lo, exec_lo, s7
	s_cbranch_vccnz .LBB24_1076
; %bb.1075:
	s_waitcnt vmcnt(0)
	v_cvt_f32_f16_e32 v0, v3
	global_store_dword v[1:2], v0, off
.LBB24_1076:
	s_mov_b32 s7, 0
.LBB24_1077:
	s_andn2_b32 vcc_lo, exec_lo, s7
	s_cbranch_vccnz .LBB24_1079
; %bb.1078:
	s_waitcnt vmcnt(0)
	global_store_short v[1:2], v3, off
.LBB24_1079:
	s_mov_b32 s7, 0
.LBB24_1080:
	s_andn2_b32 vcc_lo, exec_lo, s7
	s_cbranch_vccnz .LBB24_1096
; %bb.1081:
	s_sext_i32_i16 s8, s6
	s_mov_b32 s7, -1
	s_cmp_lt_i32 s8, 2
	s_cbranch_scc1 .LBB24_1091
; %bb.1082:
	s_cmp_lt_i32 s8, 3
	s_cbranch_scc1 .LBB24_1088
; %bb.1083:
	s_cmp_gt_i32 s8, 3
	s_cbranch_scc0 .LBB24_1085
; %bb.1084:
	s_waitcnt vmcnt(0)
	v_cvt_f32_f16_e32 v0, v3
	s_mov_b32 s7, 0
	v_cvt_i32_f32_e32 v4, v0
	v_ashrrev_i32_e32 v5, 31, v4
	global_store_dwordx2 v[1:2], v[4:5], off
.LBB24_1085:
	s_andn2_b32 vcc_lo, exec_lo, s7
	s_cbranch_vccnz .LBB24_1087
; %bb.1086:
	s_waitcnt vmcnt(0)
	v_cvt_f32_f16_e32 v0, v3
	v_cvt_i32_f32_e32 v0, v0
	global_store_dword v[1:2], v0, off
.LBB24_1087:
	s_mov_b32 s7, 0
.LBB24_1088:
	s_andn2_b32 vcc_lo, exec_lo, s7
	s_cbranch_vccnz .LBB24_1090
; %bb.1089:
	s_waitcnt vmcnt(0)
	v_cvt_i16_f16_e32 v0, v3
	global_store_short v[1:2], v0, off
.LBB24_1090:
	s_mov_b32 s7, 0
.LBB24_1091:
	s_andn2_b32 vcc_lo, exec_lo, s7
	s_cbranch_vccnz .LBB24_1096
; %bb.1092:
	s_sext_i32_i16 s6, s6
	s_cmp_gt_i32 s6, 0
	s_mov_b32 s6, -1
	s_cbranch_scc0 .LBB24_1094
; %bb.1093:
	s_waitcnt vmcnt(0)
	v_cvt_i16_f16_e32 v0, v3
	s_mov_b32 s6, 0
	global_store_byte v[1:2], v0, off
.LBB24_1094:
	s_andn2_b32 vcc_lo, exec_lo, s6
	s_cbranch_vccnz .LBB24_1096
; %bb.1095:
	s_waitcnt vmcnt(0)
	v_cvt_f32_f16_e32 v0, v3
	v_cvt_i32_f32_e32 v0, v0
	global_store_byte v[1:2], v0, off
.LBB24_1096:
	s_or_b32 exec_lo, exec_lo, s0
	s_and_b32 s16, s1, exec_lo
                                        ; implicit-def: $vgpr15
                                        ; implicit-def: $vgpr8
.LBB24_1097:
	s_or_saveexec_b32 s17, s33
	s_mov_b32 s0, 0
                                        ; implicit-def: $vgpr0_vgpr1
                                        ; implicit-def: $sgpr6
                                        ; implicit-def: $vgpr2
	s_xor_b32 exec_lo, exec_lo, s17
	s_cbranch_execz .LBB24_2113
; %bb.1098:
	v_cndmask_b32_e64 v0, 0, 1, s31
	s_andn2_b32 vcc_lo, exec_lo, s31
	s_cbranch_vccnz .LBB24_1104
; %bb.1099:
	s_cmp_lg_u32 s28, 0
	s_mov_b32 s8, 0
	s_cbranch_scc0 .LBB24_1105
; %bb.1100:
	s_min_u32 s10, s29, 15
	s_add_i32 s10, s10, 1
	s_cmp_eq_u32 s29, 2
	s_cbranch_scc1 .LBB24_1106
; %bb.1101:
	v_mov_b32_e32 v13, 0
	v_mov_b32_e32 v6, 0
	;; [unrolled: 1-line block ×3, first 2 shown]
	s_and_b32 s9, s10, 28
	s_add_u32 s0, s2, 0xc4
	s_addc_u32 s1, s3, 0
	s_mov_b32 s11, 0
	s_mov_b64 s[6:7], s[2:3]
.LBB24_1102:                            ; =>This Inner Loop Header: Depth=1
	s_clause 0x1
	s_load_dwordx8 s[20:27], s[6:7], 0x4
	s_load_dwordx4 s[12:15], s[6:7], 0x24
	s_load_dwordx8 s[36:43], s[0:1], 0x0
	s_add_u32 s6, s6, 48
	s_addc_u32 s7, s7, 0
	s_add_i32 s11, s11, 4
	s_add_u32 s0, s0, 32
	s_addc_u32 s1, s1, 0
	s_cmp_lg_u32 s9, s11
	s_waitcnt lgkmcnt(0)
	v_mul_hi_u32 v2, s21, v1
	v_add_nc_u32_e32 v2, v1, v2
	v_lshrrev_b32_e32 v2, s22, v2
	s_waitcnt vmcnt(0)
	v_mul_hi_u32 v3, s24, v2
	v_mul_lo_u32 v5, v2, s20
	v_add_nc_u32_e32 v3, v2, v3
	v_sub_nc_u32_e32 v1, v1, v5
	v_lshrrev_b32_e32 v3, s25, v3
	v_mul_lo_u32 v5, v1, s36
	v_mul_lo_u32 v9, v1, s37
	v_mul_hi_u32 v4, s27, v3
	v_add_nc_u32_e32 v4, v3, v4
	v_lshrrev_b32_e32 v4, s12, v4
	v_mul_hi_u32 v7, s14, v4
	v_mul_lo_u32 v10, v4, s26
	v_add_nc_u32_e32 v1, v4, v7
	v_mul_lo_u32 v7, v3, s23
	v_sub_nc_u32_e32 v3, v3, v10
	v_lshrrev_b32_e32 v1, s15, v1
	v_mul_lo_u32 v10, v3, s40
	v_mul_lo_u32 v3, v3, s41
	v_sub_nc_u32_e32 v2, v2, v7
	v_mul_lo_u32 v11, v1, s13
	v_mul_lo_u32 v7, v2, s38
	v_mul_lo_u32 v2, v2, s39
	v_sub_nc_u32_e32 v4, v4, v11
	v_add3_u32 v5, v5, v6, v7
	v_mul_lo_u32 v11, v4, s42
	v_mul_lo_u32 v4, v4, s43
	v_add3_u32 v2, v9, v13, v2
	v_add3_u32 v6, v10, v5, v11
	;; [unrolled: 1-line block ×3, first 2 shown]
	s_cbranch_scc1 .LBB24_1102
; %bb.1103:
	s_and_b32 s10, s10, 3
	s_cmp_eq_u32 s10, 0
	s_cbranch_scc0 .LBB24_1107
	s_branch .LBB24_1109
.LBB24_1104:
	s_mov_b32 s8, -1
                                        ; implicit-def: $vgpr6
                                        ; implicit-def: $vgpr13
	s_branch .LBB24_1109
.LBB24_1105:
	v_mov_b32_e32 v6, 0
	v_mov_b32_e32 v13, 0
	s_branch .LBB24_1109
.LBB24_1106:
	v_mov_b32_e32 v6, 0
	v_mov_b32_e32 v13, 0
	;; [unrolled: 1-line block ×3, first 2 shown]
	s_mov_b32 s9, 0
	s_and_b32 s10, s10, 3
	s_cmp_eq_u32 s10, 0
	s_cbranch_scc1 .LBB24_1109
.LBB24_1107:
	s_lshl_b32 s0, s9, 3
	s_mul_i32 s6, s9, 12
	s_add_u32 s0, s2, s0
	s_addc_u32 s1, s3, 0
	s_add_u32 s0, s0, 0xc4
	s_addc_u32 s1, s1, 0
	;; [unrolled: 2-line block ×3, first 2 shown]
	.p2align	6
.LBB24_1108:                            ; =>This Inner Loop Header: Depth=1
	s_clause 0x1
	s_load_dwordx2 s[12:13], s[6:7], 0x4
	s_load_dword s9, s[6:7], 0xc
	s_load_dwordx2 s[14:15], s[0:1], 0x0
	s_add_u32 s6, s6, 12
	s_addc_u32 s7, s7, 0
	s_add_u32 s0, s0, 8
	s_addc_u32 s1, s1, 0
	s_add_i32 s10, s10, -1
	s_cmp_lg_u32 s10, 0
	s_waitcnt lgkmcnt(0)
	v_mul_hi_u32 v2, s13, v1
	v_add_nc_u32_e32 v2, v1, v2
	v_lshrrev_b32_e32 v2, s9, v2
	s_waitcnt vmcnt(0)
	v_mul_lo_u32 v3, v2, s12
	v_sub_nc_u32_e32 v1, v1, v3
	v_mad_u64_u32 v[6:7], null, v1, s14, v[6:7]
	v_mad_u64_u32 v[13:14], null, v1, s15, v[13:14]
	v_mov_b32_e32 v1, v2
	s_cbranch_scc1 .LBB24_1108
.LBB24_1109:
	s_andn2_b32 vcc_lo, exec_lo, s8
	s_cbranch_vccnz .LBB24_1112
; %bb.1110:
	s_clause 0x1
	s_load_dwordx4 s[8:11], s[2:3], 0x4
	s_load_dwordx2 s[0:1], s[2:3], 0xc4
	s_cmp_lt_u32 s28, 2
	s_waitcnt lgkmcnt(0)
	v_mul_hi_u32 v1, s9, v8
	v_add_nc_u32_e32 v1, v8, v1
	v_lshrrev_b32_e32 v1, s10, v1
	v_mul_lo_u32 v2, v1, s8
	v_sub_nc_u32_e32 v2, v8, v2
	v_mul_lo_u32 v6, v2, s0
	v_mul_lo_u32 v13, v2, s1
	s_cbranch_scc1 .LBB24_1112
; %bb.1111:
	s_clause 0x1
	s_load_dwordx4 s[8:11], s[2:3], 0x10
	s_load_dwordx2 s[0:1], s[2:3], 0xcc
	s_waitcnt lgkmcnt(0)
	v_mul_hi_u32 v2, s9, v1
	v_add_nc_u32_e32 v2, v1, v2
	v_lshrrev_b32_e32 v2, s10, v2
	v_mul_lo_u32 v2, v2, s8
	v_sub_nc_u32_e32 v1, v1, v2
	v_mad_u64_u32 v[6:7], null, v1, s0, v[6:7]
	v_mad_u64_u32 v[13:14], null, v1, s1, v[13:14]
.LBB24_1112:
	v_cmp_ne_u32_e32 vcc_lo, 1, v0
	v_add_nc_u32_e32 v1, 0x80, v8
	s_cbranch_vccnz .LBB24_1118
; %bb.1113:
	s_cmp_lg_u32 s28, 0
	s_mov_b32 s8, 0
	s_cbranch_scc0 .LBB24_1119
; %bb.1114:
	s_min_u32 s10, s29, 15
	s_add_i32 s10, s10, 1
	s_cmp_eq_u32 s29, 2
	s_cbranch_scc1 .LBB24_1120
; %bb.1115:
	v_mov_b32_e32 v11, 0
	s_waitcnt vmcnt(0)
	v_mov_b32_e32 v4, 0
	v_mov_b32_e32 v2, v1
	s_and_b32 s9, s10, 28
	s_add_u32 s0, s2, 0xc4
	s_addc_u32 s1, s3, 0
	s_mov_b32 s11, 0
	s_mov_b64 s[6:7], s[2:3]
.LBB24_1116:                            ; =>This Inner Loop Header: Depth=1
	s_clause 0x1
	s_load_dwordx8 s[20:27], s[6:7], 0x4
	s_load_dwordx4 s[12:15], s[6:7], 0x24
	s_load_dwordx8 s[36:43], s[0:1], 0x0
	s_add_u32 s6, s6, 48
	s_addc_u32 s7, s7, 0
	s_add_i32 s11, s11, 4
	s_add_u32 s0, s0, 32
	s_addc_u32 s1, s1, 0
	s_cmp_lg_u32 s9, s11
	s_waitcnt lgkmcnt(0)
	v_mul_hi_u32 v3, s21, v2
	v_add_nc_u32_e32 v3, v2, v3
	v_lshrrev_b32_e32 v3, s22, v3
	v_mul_hi_u32 v5, s24, v3
	v_mul_lo_u32 v9, v3, s20
	v_add_nc_u32_e32 v5, v3, v5
	v_sub_nc_u32_e32 v2, v2, v9
	v_lshrrev_b32_e32 v5, s25, v5
	v_mul_lo_u32 v9, v2, s36
	v_mul_lo_u32 v12, v2, s37
	v_mul_hi_u32 v7, s27, v5
	v_add_nc_u32_e32 v7, v5, v7
	v_lshrrev_b32_e32 v7, s12, v7
	v_mul_hi_u32 v10, s14, v7
	v_mul_lo_u32 v14, v7, s26
	v_add_nc_u32_e32 v2, v7, v10
	v_mul_lo_u32 v10, v5, s23
	v_sub_nc_u32_e32 v5, v5, v14
	v_lshrrev_b32_e32 v2, s15, v2
	v_mul_lo_u32 v14, v5, s40
	v_mul_lo_u32 v5, v5, s41
	v_sub_nc_u32_e32 v3, v3, v10
	v_mul_lo_u32 v16, v2, s13
	v_mul_lo_u32 v10, v3, s38
	;; [unrolled: 1-line block ×3, first 2 shown]
	v_sub_nc_u32_e32 v7, v7, v16
	v_add3_u32 v4, v9, v4, v10
	v_mul_lo_u32 v16, v7, s42
	v_mul_lo_u32 v7, v7, s43
	v_add3_u32 v3, v12, v11, v3
	v_add3_u32 v4, v14, v4, v16
	;; [unrolled: 1-line block ×3, first 2 shown]
	s_cbranch_scc1 .LBB24_1116
; %bb.1117:
	s_and_b32 s10, s10, 3
	s_cmp_eq_u32 s10, 0
	s_cbranch_scc0 .LBB24_1121
	s_branch .LBB24_1123
.LBB24_1118:
	s_mov_b32 s8, -1
                                        ; implicit-def: $vgpr4
                                        ; implicit-def: $vgpr11
	s_branch .LBB24_1123
.LBB24_1119:
	s_waitcnt vmcnt(0)
	v_mov_b32_e32 v4, 0
	v_mov_b32_e32 v11, 0
	s_branch .LBB24_1123
.LBB24_1120:
	s_waitcnt vmcnt(0)
	v_mov_b32_e32 v4, 0
	v_mov_b32_e32 v11, 0
	;; [unrolled: 1-line block ×3, first 2 shown]
	s_mov_b32 s9, 0
	s_and_b32 s10, s10, 3
	s_cmp_eq_u32 s10, 0
	s_cbranch_scc1 .LBB24_1123
.LBB24_1121:
	s_lshl_b32 s0, s9, 3
	s_mul_i32 s6, s9, 12
	s_add_u32 s0, s2, s0
	s_addc_u32 s1, s3, 0
	s_add_u32 s0, s0, 0xc4
	s_addc_u32 s1, s1, 0
	;; [unrolled: 2-line block ×3, first 2 shown]
	.p2align	6
.LBB24_1122:                            ; =>This Inner Loop Header: Depth=1
	s_clause 0x1
	s_load_dwordx2 s[12:13], s[6:7], 0x4
	s_load_dword s9, s[6:7], 0xc
	s_load_dwordx2 s[14:15], s[0:1], 0x0
	s_add_u32 s6, s6, 12
	s_addc_u32 s7, s7, 0
	s_add_u32 s0, s0, 8
	s_addc_u32 s1, s1, 0
	s_add_i32 s10, s10, -1
	s_cmp_lg_u32 s10, 0
	s_waitcnt lgkmcnt(0)
	v_mul_hi_u32 v3, s13, v2
	v_add_nc_u32_e32 v3, v2, v3
	v_lshrrev_b32_e32 v3, s9, v3
	v_mul_lo_u32 v5, v3, s12
	v_sub_nc_u32_e32 v2, v2, v5
	v_mad_u64_u32 v[4:5], null, v2, s14, v[4:5]
	v_mad_u64_u32 v[11:12], null, v2, s15, v[11:12]
	v_mov_b32_e32 v2, v3
	s_cbranch_scc1 .LBB24_1122
.LBB24_1123:
	s_andn2_b32 vcc_lo, exec_lo, s8
	s_cbranch_vccnz .LBB24_1126
; %bb.1124:
	s_clause 0x1
	s_load_dwordx4 s[8:11], s[2:3], 0x4
	s_load_dwordx2 s[0:1], s[2:3], 0xc4
	s_cmp_lt_u32 s28, 2
	s_waitcnt lgkmcnt(0)
	v_mul_hi_u32 v2, s9, v1
	v_add_nc_u32_e32 v2, v1, v2
	v_lshrrev_b32_e32 v2, s10, v2
	s_waitcnt vmcnt(0)
	v_mul_lo_u32 v3, v2, s8
	v_sub_nc_u32_e32 v1, v1, v3
	v_mul_lo_u32 v4, v1, s0
	v_mul_lo_u32 v11, v1, s1
	s_cbranch_scc1 .LBB24_1126
; %bb.1125:
	s_clause 0x1
	s_load_dwordx4 s[8:11], s[2:3], 0x10
	s_load_dwordx2 s[0:1], s[2:3], 0xcc
	s_waitcnt lgkmcnt(0)
	v_mul_hi_u32 v1, s9, v2
	v_add_nc_u32_e32 v1, v2, v1
	v_lshrrev_b32_e32 v1, s10, v1
	v_mul_lo_u32 v1, v1, s8
	v_sub_nc_u32_e32 v1, v2, v1
	v_mad_u64_u32 v[4:5], null, v1, s0, v[4:5]
	v_mad_u64_u32 v[11:12], null, v1, s1, v[11:12]
.LBB24_1126:
	v_cmp_ne_u32_e32 vcc_lo, 1, v0
	v_add_nc_u32_e32 v1, 0x100, v8
	s_cbranch_vccnz .LBB24_1132
; %bb.1127:
	s_cmp_lg_u32 s28, 0
	s_mov_b32 s8, 0
	s_cbranch_scc0 .LBB24_1133
; %bb.1128:
	s_min_u32 s10, s29, 15
	s_add_i32 s10, s10, 1
	s_cmp_eq_u32 s29, 2
	s_cbranch_scc1 .LBB24_1134
; %bb.1129:
	v_mov_b32_e32 v9, 0
	v_mov_b32_e32 v2, 0
	s_waitcnt vmcnt(0)
	v_mov_b32_e32 v3, v1
	s_and_b32 s9, s10, 28
	s_add_u32 s0, s2, 0xc4
	s_addc_u32 s1, s3, 0
	s_mov_b32 s11, 0
	s_mov_b64 s[6:7], s[2:3]
.LBB24_1130:                            ; =>This Inner Loop Header: Depth=1
	s_clause 0x1
	s_load_dwordx8 s[20:27], s[6:7], 0x4
	s_load_dwordx4 s[12:15], s[6:7], 0x24
	s_load_dwordx8 s[36:43], s[0:1], 0x0
	s_add_u32 s6, s6, 48
	s_addc_u32 s7, s7, 0
	s_add_i32 s11, s11, 4
	s_add_u32 s0, s0, 32
	s_addc_u32 s1, s1, 0
	s_cmp_lg_u32 s9, s11
	s_waitcnt lgkmcnt(0)
	v_mul_hi_u32 v5, s21, v3
	v_add_nc_u32_e32 v5, v3, v5
	v_lshrrev_b32_e32 v5, s22, v5
	v_mul_hi_u32 v7, s24, v5
	v_mul_lo_u32 v10, v5, s20
	v_add_nc_u32_e32 v7, v5, v7
	v_sub_nc_u32_e32 v3, v3, v10
	v_lshrrev_b32_e32 v7, s25, v7
	v_mul_lo_u32 v10, v3, s36
	v_mul_lo_u32 v14, v3, s37
	v_mul_hi_u32 v8, s27, v7
	v_add_nc_u32_e32 v8, v7, v8
	v_lshrrev_b32_e32 v8, s12, v8
	v_mul_hi_u32 v12, s14, v8
	v_mul_lo_u32 v16, v8, s26
	v_add_nc_u32_e32 v3, v8, v12
	v_mul_lo_u32 v12, v7, s23
	v_sub_nc_u32_e32 v7, v7, v16
	v_lshrrev_b32_e32 v3, s15, v3
	v_mul_lo_u32 v16, v7, s40
	v_mul_lo_u32 v7, v7, s41
	v_sub_nc_u32_e32 v5, v5, v12
	v_mul_lo_u32 v17, v3, s13
	v_mul_lo_u32 v12, v5, s38
	;; [unrolled: 1-line block ×3, first 2 shown]
	v_sub_nc_u32_e32 v8, v8, v17
	v_add3_u32 v2, v10, v2, v12
	v_mul_lo_u32 v17, v8, s42
	v_mul_lo_u32 v8, v8, s43
	v_add3_u32 v5, v14, v9, v5
	v_add3_u32 v2, v16, v2, v17
	;; [unrolled: 1-line block ×3, first 2 shown]
	s_cbranch_scc1 .LBB24_1130
; %bb.1131:
	s_and_b32 s10, s10, 3
	s_cmp_eq_u32 s10, 0
	s_cbranch_scc0 .LBB24_1135
	s_branch .LBB24_1137
.LBB24_1132:
	s_mov_b32 s8, -1
                                        ; implicit-def: $vgpr2
                                        ; implicit-def: $vgpr9
	s_branch .LBB24_1137
.LBB24_1133:
	v_mov_b32_e32 v2, 0
	v_mov_b32_e32 v9, 0
	s_branch .LBB24_1137
.LBB24_1134:
	v_mov_b32_e32 v2, 0
	v_mov_b32_e32 v9, 0
	s_waitcnt vmcnt(0)
	v_mov_b32_e32 v3, v1
	s_mov_b32 s9, 0
	s_and_b32 s10, s10, 3
	s_cmp_eq_u32 s10, 0
	s_cbranch_scc1 .LBB24_1137
.LBB24_1135:
	s_lshl_b32 s0, s9, 3
	s_mul_i32 s6, s9, 12
	s_add_u32 s0, s2, s0
	s_addc_u32 s1, s3, 0
	s_add_u32 s0, s0, 0xc4
	s_addc_u32 s1, s1, 0
	;; [unrolled: 2-line block ×3, first 2 shown]
	.p2align	6
.LBB24_1136:                            ; =>This Inner Loop Header: Depth=1
	s_clause 0x1
	s_load_dwordx2 s[12:13], s[6:7], 0x4
	s_load_dword s9, s[6:7], 0xc
	s_load_dwordx2 s[14:15], s[0:1], 0x0
	s_add_u32 s6, s6, 12
	s_addc_u32 s7, s7, 0
	s_add_u32 s0, s0, 8
	s_addc_u32 s1, s1, 0
	s_add_i32 s10, s10, -1
	s_cmp_lg_u32 s10, 0
	s_waitcnt lgkmcnt(0)
	v_mul_hi_u32 v5, s13, v3
	v_add_nc_u32_e32 v5, v3, v5
	v_lshrrev_b32_e32 v5, s9, v5
	v_mul_lo_u32 v7, v5, s12
	v_sub_nc_u32_e32 v7, v3, v7
	v_mad_u64_u32 v[2:3], null, v7, s14, v[2:3]
	v_mad_u64_u32 v[9:10], null, v7, s15, v[9:10]
	v_mov_b32_e32 v3, v5
	s_cbranch_scc1 .LBB24_1136
.LBB24_1137:
	s_andn2_b32 vcc_lo, exec_lo, s8
	s_cbranch_vccnz .LBB24_1140
; %bb.1138:
	s_clause 0x1
	s_load_dwordx4 s[8:11], s[2:3], 0x4
	s_load_dwordx2 s[0:1], s[2:3], 0xc4
	s_cmp_lt_u32 s28, 2
	s_waitcnt lgkmcnt(0)
	v_mul_hi_u32 v2, s9, v1
	v_add_nc_u32_e32 v2, v1, v2
	s_waitcnt vmcnt(0)
	v_lshrrev_b32_e32 v3, s10, v2
	v_mul_lo_u32 v2, v3, s8
	v_sub_nc_u32_e32 v1, v1, v2
	v_mul_lo_u32 v2, v1, s0
	v_mul_lo_u32 v9, v1, s1
	s_cbranch_scc1 .LBB24_1140
; %bb.1139:
	s_clause 0x1
	s_load_dwordx4 s[8:11], s[2:3], 0x10
	s_load_dwordx2 s[0:1], s[2:3], 0xcc
	s_waitcnt lgkmcnt(0)
	v_mul_hi_u32 v1, s9, v3
	v_add_nc_u32_e32 v1, v3, v1
	v_lshrrev_b32_e32 v1, s10, v1
	v_mul_lo_u32 v1, v1, s8
	v_sub_nc_u32_e32 v1, v3, v1
	v_mad_u64_u32 v[2:3], null, v1, s0, v[2:3]
	v_mad_u64_u32 v[9:10], null, v1, s1, v[9:10]
.LBB24_1140:
	v_cmp_ne_u32_e32 vcc_lo, 1, v0
	s_cbranch_vccnz .LBB24_1146
; %bb.1141:
	s_cmp_lg_u32 s28, 0
	s_mov_b32 s8, 0
	s_cbranch_scc0 .LBB24_1147
; %bb.1142:
	s_min_u32 s10, s29, 15
	s_add_i32 s10, s10, 1
	s_cmp_eq_u32 s29, 2
	s_cbranch_scc1 .LBB24_1148
; %bb.1143:
	v_mov_b32_e32 v7, 0
	v_mov_b32_e32 v0, 0
	;; [unrolled: 1-line block ×3, first 2 shown]
	s_and_b32 s9, s10, 28
	s_add_u32 s0, s2, 0xc4
	s_addc_u32 s1, s3, 0
	s_mov_b32 s11, 0
	s_mov_b64 s[6:7], s[2:3]
.LBB24_1144:                            ; =>This Inner Loop Header: Depth=1
	s_clause 0x1
	s_load_dwordx8 s[20:27], s[6:7], 0x4
	s_load_dwordx4 s[12:15], s[6:7], 0x24
	s_load_dwordx8 s[36:43], s[0:1], 0x0
	s_add_u32 s6, s6, 48
	s_addc_u32 s7, s7, 0
	s_add_i32 s11, s11, 4
	s_add_u32 s0, s0, 32
	s_addc_u32 s1, s1, 0
	s_cmp_lg_u32 s9, s11
	s_waitcnt vmcnt(0) lgkmcnt(0)
	v_mul_hi_u32 v3, s21, v1
	v_add_nc_u32_e32 v3, v1, v3
	v_lshrrev_b32_e32 v3, s22, v3
	v_mul_hi_u32 v5, s24, v3
	v_mul_lo_u32 v10, v3, s20
	v_add_nc_u32_e32 v5, v3, v5
	v_sub_nc_u32_e32 v1, v1, v10
	v_lshrrev_b32_e32 v5, s25, v5
	v_mul_lo_u32 v10, v1, s36
	v_mul_lo_u32 v14, v1, s37
	v_mul_hi_u32 v8, s27, v5
	v_add_nc_u32_e32 v8, v5, v8
	v_lshrrev_b32_e32 v8, s12, v8
	v_mul_hi_u32 v12, s14, v8
	v_mul_lo_u32 v16, v8, s26
	v_add_nc_u32_e32 v1, v8, v12
	v_mul_lo_u32 v12, v5, s23
	v_sub_nc_u32_e32 v5, v5, v16
	v_lshrrev_b32_e32 v1, s15, v1
	v_mul_lo_u32 v16, v5, s40
	v_mul_lo_u32 v5, v5, s41
	v_sub_nc_u32_e32 v3, v3, v12
	v_mul_lo_u32 v17, v1, s13
	v_mul_lo_u32 v12, v3, s38
	;; [unrolled: 1-line block ×3, first 2 shown]
	v_sub_nc_u32_e32 v8, v8, v17
	v_add3_u32 v0, v10, v0, v12
	v_mul_lo_u32 v17, v8, s42
	v_mul_lo_u32 v8, v8, s43
	v_add3_u32 v3, v14, v7, v3
	v_add3_u32 v0, v16, v0, v17
	;; [unrolled: 1-line block ×3, first 2 shown]
	s_cbranch_scc1 .LBB24_1144
; %bb.1145:
	s_and_b32 s10, s10, 3
	s_cmp_eq_u32 s10, 0
	s_cbranch_scc0 .LBB24_1149
	s_branch .LBB24_1151
.LBB24_1146:
	s_mov_b32 s8, -1
                                        ; implicit-def: $vgpr0
                                        ; implicit-def: $vgpr7
	s_branch .LBB24_1151
.LBB24_1147:
	v_mov_b32_e32 v0, 0
	v_mov_b32_e32 v7, 0
	s_branch .LBB24_1151
.LBB24_1148:
	v_mov_b32_e32 v0, 0
	v_mov_b32_e32 v7, 0
	;; [unrolled: 1-line block ×3, first 2 shown]
	s_mov_b32 s9, 0
	s_and_b32 s10, s10, 3
	s_cmp_eq_u32 s10, 0
	s_cbranch_scc1 .LBB24_1151
.LBB24_1149:
	s_lshl_b32 s0, s9, 3
	s_mul_i32 s6, s9, 12
	s_add_u32 s0, s2, s0
	s_addc_u32 s1, s3, 0
	s_add_u32 s0, s0, 0xc4
	s_addc_u32 s1, s1, 0
	;; [unrolled: 2-line block ×3, first 2 shown]
	.p2align	6
.LBB24_1150:                            ; =>This Inner Loop Header: Depth=1
	s_clause 0x1
	s_load_dwordx2 s[12:13], s[6:7], 0x4
	s_load_dword s9, s[6:7], 0xc
	s_load_dwordx2 s[14:15], s[0:1], 0x0
	s_add_u32 s6, s6, 12
	s_addc_u32 s7, s7, 0
	s_add_u32 s0, s0, 8
	s_addc_u32 s1, s1, 0
	s_add_i32 s10, s10, -1
	s_cmp_lg_u32 s10, 0
	s_waitcnt vmcnt(0) lgkmcnt(0)
	v_mul_hi_u32 v3, s13, v1
	v_add_nc_u32_e32 v3, v1, v3
	v_lshrrev_b32_e32 v3, s9, v3
	v_mul_lo_u32 v5, v3, s12
	v_sub_nc_u32_e32 v5, v1, v5
	v_mad_u64_u32 v[0:1], null, v5, s14, v[0:1]
	v_mad_u64_u32 v[7:8], null, v5, s15, v[7:8]
	v_mov_b32_e32 v1, v3
	s_cbranch_scc1 .LBB24_1150
.LBB24_1151:
	s_andn2_b32 vcc_lo, exec_lo, s8
	s_cbranch_vccnz .LBB24_1154
; %bb.1152:
	s_clause 0x1
	s_load_dwordx4 s[8:11], s[2:3], 0x4
	s_load_dwordx2 s[0:1], s[2:3], 0xc4
	s_cmp_lt_u32 s28, 2
	s_waitcnt lgkmcnt(0)
	v_mul_hi_u32 v0, s9, v15
	v_add_nc_u32_e32 v0, v15, v0
	v_lshrrev_b32_e32 v1, s10, v0
	v_mul_lo_u32 v0, v1, s8
	s_waitcnt vmcnt(0)
	v_sub_nc_u32_e32 v3, v15, v0
	v_mul_lo_u32 v0, v3, s0
	v_mul_lo_u32 v7, v3, s1
	s_cbranch_scc1 .LBB24_1154
; %bb.1153:
	s_clause 0x1
	s_load_dwordx4 s[8:11], s[2:3], 0x10
	s_load_dwordx2 s[0:1], s[2:3], 0xcc
	s_waitcnt lgkmcnt(0)
	v_mul_hi_u32 v3, s9, v1
	v_add_nc_u32_e32 v3, v1, v3
	v_lshrrev_b32_e32 v3, s10, v3
	v_mul_lo_u32 v3, v3, s8
	v_sub_nc_u32_e32 v3, v1, v3
	v_mad_u64_u32 v[0:1], null, v3, s0, v[0:1]
	v_mad_u64_u32 v[7:8], null, v3, s1, v[7:8]
.LBB24_1154:
	s_clause 0x1
	s_load_dwordx8 s[8:15], s[2:3], 0x148
	s_load_dword s0, s[4:5], 0x170
	s_waitcnt lgkmcnt(0)
	v_add_co_u32 v12, s1, s10, v13
	v_add_co_ci_u32_e64 v13, null, s11, 0, s1
	s_bfe_u32 s4, s0, 0x80008
	s_cmp_lt_i32 s4, 11
	s_cbranch_scc1 .LBB24_1161
; %bb.1155:
	s_and_b32 s1, 0xffff, s4
	s_mov_b32 s6, 0
	s_cmp_gt_i32 s1, 25
	s_cbranch_scc0 .LBB24_1163
; %bb.1156:
	s_cmp_gt_i32 s1, 28
	s_cbranch_scc0 .LBB24_1164
; %bb.1157:
	;; [unrolled: 3-line block ×4, first 2 shown]
	s_cmp_eq_u32 s1, 46
	s_mov_b32 s18, 0
	s_cbranch_scc0 .LBB24_1169
; %bb.1160:
	global_load_dword v1, v[12:13], off
	s_mov_b32 s5, 0
	s_mov_b32 s7, -1
	s_waitcnt vmcnt(0)
	v_lshlrev_b32_e32 v1, 16, v1
	v_cvt_f16_f32_e32 v1, v1
	s_branch .LBB24_1171
.LBB24_1161:
	s_mov_b32 s7, 0
	s_mov_b32 s1, s16
                                        ; implicit-def: $vgpr1
	s_cbranch_execnz .LBB24_1234
.LBB24_1162:
	s_andn2_b32 vcc_lo, exec_lo, s7
	s_cbranch_vccz .LBB24_1279
	s_branch .LBB24_2111
.LBB24_1163:
	s_mov_b32 s7, 0
	s_mov_b32 s5, 0
                                        ; implicit-def: $vgpr1
	s_cbranch_execnz .LBB24_1199
	s_branch .LBB24_1230
.LBB24_1164:
	s_mov_b32 s18, -1
	s_mov_b32 s7, 0
	s_mov_b32 s5, 0
                                        ; implicit-def: $vgpr1
	s_branch .LBB24_1180
.LBB24_1165:
	s_mov_b32 s7, 0
	s_mov_b32 s5, 0
                                        ; implicit-def: $vgpr1
	s_cbranch_execnz .LBB24_1176
	s_branch .LBB24_1179
.LBB24_1166:
	s_mov_b32 s18, -1
	s_mov_b32 s7, 0
	s_mov_b32 s5, 0
	s_branch .LBB24_1170
.LBB24_1167:
	s_andn2_saveexec_b32 s11, s11
	s_cbranch_execz .LBB24_1010
.LBB24_1168:
	v_add_f32_e64 v4, 0x46000000, |v0|
	s_andn2_b32 s10, s10, exec_lo
	v_and_b32_e32 v4, 0xff, v4
	v_cmp_ne_u32_e32 vcc_lo, 0, v4
	s_and_b32 s12, vcc_lo, exec_lo
	s_or_b32 s10, s10, s12
	s_or_b32 exec_lo, exec_lo, s11
	v_mov_b32_e32 v5, 0
	s_and_saveexec_b32 s11, s10
	s_cbranch_execnz .LBB24_1011
	s_branch .LBB24_1012
.LBB24_1169:
	s_mov_b32 s5, -1
	s_mov_b32 s7, 0
.LBB24_1170:
                                        ; implicit-def: $vgpr1
.LBB24_1171:
	s_and_b32 vcc_lo, exec_lo, s18
	s_cbranch_vccz .LBB24_1174
; %bb.1172:
	s_cmp_eq_u32 s1, 44
	s_cbranch_scc0 .LBB24_1175
; %bb.1173:
	global_load_ubyte v1, v[12:13], off
	s_mov_b32 s5, 0
	s_mov_b32 s7, -1
	s_waitcnt vmcnt(0)
	v_lshlrev_b32_e32 v3, 23, v1
	v_cmp_ne_u32_e32 vcc_lo, 0xff, v1
	v_cvt_f16_f32_e32 v3, v3
	v_cndmask_b32_e32 v3, 0x7e00, v3, vcc_lo
	v_cmp_ne_u32_e32 vcc_lo, 0, v1
	v_cndmask_b32_e32 v1, 0, v3, vcc_lo
.LBB24_1174:
	s_branch .LBB24_1179
.LBB24_1175:
	s_mov_b32 s5, -1
                                        ; implicit-def: $vgpr1
	s_branch .LBB24_1179
.LBB24_1176:
	s_cmp_eq_u32 s1, 29
	s_cbranch_scc0 .LBB24_1178
; %bb.1177:
	global_load_dwordx2 v[14:15], v[12:13], off
	s_mov_b32 s5, 0
	s_mov_b32 s7, -1
	s_mov_b32 s18, 0
	s_waitcnt vmcnt(0)
	v_ffbh_u32_e32 v1, v15
	v_min_u32_e32 v1, 32, v1
	v_lshlrev_b64 v[14:15], v1, v[14:15]
	v_sub_nc_u32_e32 v1, 32, v1
	v_min_u32_e32 v3, 1, v14
	v_or_b32_e32 v3, v15, v3
	v_cvt_f32_u32_e32 v3, v3
	v_ldexp_f32 v1, v3, v1
	v_cvt_f16_f32_e32 v1, v1
	s_branch .LBB24_1180
.LBB24_1178:
	s_mov_b32 s5, -1
                                        ; implicit-def: $vgpr1
.LBB24_1179:
	s_mov_b32 s18, 0
.LBB24_1180:
	s_and_b32 vcc_lo, exec_lo, s18
	s_cbranch_vccz .LBB24_1198
; %bb.1181:
	s_cmp_lt_i32 s1, 27
	s_cbranch_scc1 .LBB24_1184
; %bb.1182:
	s_cmp_gt_i32 s1, 27
	s_cbranch_scc0 .LBB24_1185
; %bb.1183:
	global_load_dword v1, v[12:13], off
	s_mov_b32 s7, 0
	s_waitcnt vmcnt(0)
	v_cvt_f32_u32_e32 v1, v1
	v_cvt_f16_f32_e32 v1, v1
	s_branch .LBB24_1186
.LBB24_1184:
	s_mov_b32 s7, -1
                                        ; implicit-def: $vgpr1
	s_branch .LBB24_1189
.LBB24_1185:
	s_mov_b32 s7, -1
                                        ; implicit-def: $vgpr1
.LBB24_1186:
	s_andn2_b32 vcc_lo, exec_lo, s7
	s_cbranch_vccnz .LBB24_1188
; %bb.1187:
	global_load_ushort v1, v[12:13], off
	s_waitcnt vmcnt(0)
	v_cvt_f16_u16_e32 v1, v1
.LBB24_1188:
	s_mov_b32 s7, 0
.LBB24_1189:
	s_andn2_b32 vcc_lo, exec_lo, s7
	s_cbranch_vccnz .LBB24_1197
; %bb.1190:
	global_load_ubyte v3, v[12:13], off
	s_mov_b32 s7, 0
	s_mov_b32 s18, exec_lo
	s_waitcnt vmcnt(0)
	v_cmpx_lt_i16_e32 0x7f, v3
	s_xor_b32 s18, exec_lo, s18
	s_cbranch_execz .LBB24_1210
; %bb.1191:
	s_mov_b32 s7, -1
	s_mov_b32 s19, exec_lo
	v_cmpx_eq_u16_e32 0x80, v3
; %bb.1192:
	s_xor_b32 s7, exec_lo, -1
; %bb.1193:
	s_or_b32 exec_lo, exec_lo, s19
	s_and_b32 s7, s7, exec_lo
	s_or_saveexec_b32 s18, s18
	v_mov_b32_e32 v1, 0x7e00
	s_xor_b32 exec_lo, exec_lo, s18
	s_cbranch_execnz .LBB24_1211
.LBB24_1194:
	s_or_b32 exec_lo, exec_lo, s18
	s_and_saveexec_b32 s18, s7
	s_cbranch_execz .LBB24_1196
.LBB24_1195:
	v_and_b32_e32 v1, 0xffff, v3
	v_lshlrev_b32_e32 v3, 24, v3
	v_and_b32_e32 v5, 7, v1
	v_bfe_u32 v14, v1, 3, 4
	v_and_b32_e32 v3, 0x80000000, v3
	v_ffbh_u32_e32 v8, v5
	v_cmp_eq_u32_e32 vcc_lo, 0, v14
	v_min_u32_e32 v8, 32, v8
	v_subrev_nc_u32_e32 v10, 28, v8
	v_sub_nc_u32_e32 v8, 29, v8
	v_lshlrev_b32_e32 v1, v10, v1
	v_cndmask_b32_e32 v8, v14, v8, vcc_lo
	v_and_b32_e32 v1, 7, v1
	v_cndmask_b32_e32 v1, v5, v1, vcc_lo
	v_lshl_add_u32 v5, v8, 23, 0x3b800000
	v_lshlrev_b32_e32 v1, 20, v1
	v_or3_b32 v1, v3, v5, v1
	v_cvt_f16_f32_e32 v1, v1
.LBB24_1196:
	s_or_b32 exec_lo, exec_lo, s18
.LBB24_1197:
	s_mov_b32 s7, -1
.LBB24_1198:
	s_branch .LBB24_1230
.LBB24_1199:
	s_cmp_gt_i32 s1, 22
	s_cbranch_scc0 .LBB24_1209
; %bb.1200:
	s_cmp_lt_i32 s1, 24
	s_cbranch_scc1 .LBB24_1212
; %bb.1201:
	s_cmp_gt_i32 s1, 24
	s_cbranch_scc0 .LBB24_1213
; %bb.1202:
	global_load_ubyte v3, v[12:13], off
	s_mov_b32 s7, exec_lo
	s_waitcnt vmcnt(0)
	v_cmpx_lt_i16_e32 0x7f, v3
	s_xor_b32 s7, exec_lo, s7
	s_cbranch_execz .LBB24_1224
; %bb.1203:
	s_mov_b32 s6, -1
	s_mov_b32 s18, exec_lo
	v_cmpx_eq_u16_e32 0x80, v3
; %bb.1204:
	s_xor_b32 s6, exec_lo, -1
; %bb.1205:
	s_or_b32 exec_lo, exec_lo, s18
	s_and_b32 s6, s6, exec_lo
	s_or_saveexec_b32 s7, s7
	v_mov_b32_e32 v1, 0x7e00
	s_xor_b32 exec_lo, exec_lo, s7
	s_cbranch_execnz .LBB24_1225
.LBB24_1206:
	s_or_b32 exec_lo, exec_lo, s7
	s_and_saveexec_b32 s7, s6
	s_cbranch_execz .LBB24_1208
.LBB24_1207:
	v_and_b32_e32 v1, 0xffff, v3
	v_lshlrev_b32_e32 v3, 24, v3
	v_and_b32_e32 v5, 3, v1
	v_bfe_u32 v14, v1, 2, 5
	v_and_b32_e32 v3, 0x80000000, v3
	v_ffbh_u32_e32 v8, v5
	v_cmp_eq_u32_e32 vcc_lo, 0, v14
	v_min_u32_e32 v8, 32, v8
	v_subrev_nc_u32_e32 v10, 29, v8
	v_sub_nc_u32_e32 v8, 30, v8
	v_lshlrev_b32_e32 v1, v10, v1
	v_cndmask_b32_e32 v8, v14, v8, vcc_lo
	v_and_b32_e32 v1, 3, v1
	v_cndmask_b32_e32 v1, v5, v1, vcc_lo
	v_lshl_add_u32 v5, v8, 23, 0x37800000
	v_lshlrev_b32_e32 v1, 21, v1
	v_or3_b32 v1, v3, v5, v1
	v_cvt_f16_f32_e32 v1, v1
.LBB24_1208:
	s_or_b32 exec_lo, exec_lo, s7
	s_mov_b32 s6, 0
	s_branch .LBB24_1214
.LBB24_1209:
                                        ; implicit-def: $vgpr1
	s_mov_b32 s6, 0
	s_branch .LBB24_1220
.LBB24_1210:
	s_or_saveexec_b32 s18, s18
	v_mov_b32_e32 v1, 0x7e00
	s_xor_b32 exec_lo, exec_lo, s18
	s_cbranch_execz .LBB24_1194
.LBB24_1211:
	v_cmp_ne_u16_e32 vcc_lo, 0, v3
	v_mov_b32_e32 v1, v3
	s_andn2_b32 s7, s7, exec_lo
	s_and_b32 s19, vcc_lo, exec_lo
	s_or_b32 s7, s7, s19
	s_or_b32 exec_lo, exec_lo, s18
	s_and_saveexec_b32 s18, s7
	s_cbranch_execnz .LBB24_1195
	s_branch .LBB24_1196
.LBB24_1212:
	s_mov_b32 s6, -1
                                        ; implicit-def: $vgpr1
	s_branch .LBB24_1217
.LBB24_1213:
	s_mov_b32 s6, -1
                                        ; implicit-def: $vgpr1
.LBB24_1214:
	s_and_b32 vcc_lo, exec_lo, s6
	s_cbranch_vccz .LBB24_1216
; %bb.1215:
	global_load_ubyte v1, v[12:13], off
	s_waitcnt vmcnt(0)
	v_lshlrev_b32_e32 v1, 24, v1
	v_and_b32_e32 v3, 0x7f000000, v1
	v_ffbh_u32_e32 v5, v3
	v_add_nc_u32_e32 v10, 0x1000000, v3
	v_cmp_ne_u32_e32 vcc_lo, 0, v3
	v_min_u32_e32 v5, 32, v5
	v_sub_nc_u32_e64 v5, v5, 4 clamp
	v_lshlrev_b32_e32 v8, v5, v3
	v_lshlrev_b32_e32 v5, 23, v5
	v_lshrrev_b32_e32 v8, 4, v8
	v_sub_nc_u32_e32 v5, v8, v5
	v_ashrrev_i32_e32 v8, 8, v10
	v_add_nc_u32_e32 v5, 0x3c000000, v5
	v_and_or_b32 v5, 0x7f800000, v8, v5
	v_cndmask_b32_e32 v3, 0, v5, vcc_lo
	v_and_or_b32 v1, 0x80000000, v1, v3
	v_cvt_f16_f32_e32 v1, v1
.LBB24_1216:
	s_mov_b32 s6, 0
.LBB24_1217:
	s_andn2_b32 vcc_lo, exec_lo, s6
	s_cbranch_vccnz .LBB24_1219
; %bb.1218:
	global_load_ubyte v1, v[12:13], off
	s_waitcnt vmcnt(0)
	v_lshlrev_b32_e32 v3, 25, v1
	v_lshlrev_b16 v1, 8, v1
	v_lshrrev_b32_e32 v5, 4, v3
	v_and_or_b32 v8, 0x7f00, v1, 0.5
	v_cmp_gt_u32_e32 vcc_lo, 0x8000000, v3
	v_bfe_i32 v1, v1, 0, 16
	v_or_b32_e32 v5, 0x70000000, v5
	v_add_f32_e32 v8, -0.5, v8
	v_mul_f32_e32 v5, 0x7800000, v5
	v_cndmask_b32_e32 v3, v5, v8, vcc_lo
	v_and_or_b32 v1, 0x80000000, v1, v3
	v_cvt_f16_f32_e32 v1, v1
.LBB24_1219:
	s_mov_b32 s7, -1
	s_mov_b32 s6, 0
	s_cbranch_execnz .LBB24_1230
.LBB24_1220:
	s_cmp_gt_i32 s1, 14
	s_cbranch_scc0 .LBB24_1223
; %bb.1221:
	s_cmp_eq_u32 s1, 15
	s_cbranch_scc0 .LBB24_1226
; %bb.1222:
	global_load_ushort v1, v[12:13], off
	s_mov_b32 s5, 0
	s_mov_b32 s7, -1
	s_waitcnt vmcnt(0)
	v_lshlrev_b32_e32 v1, 16, v1
	v_cvt_f16_f32_e32 v1, v1
	s_branch .LBB24_1228
.LBB24_1223:
	s_mov_b32 s6, -1
	s_branch .LBB24_1227
.LBB24_1224:
	s_or_saveexec_b32 s7, s7
	v_mov_b32_e32 v1, 0x7e00
	s_xor_b32 exec_lo, exec_lo, s7
	s_cbranch_execz .LBB24_1206
.LBB24_1225:
	v_cmp_ne_u16_e32 vcc_lo, 0, v3
	v_mov_b32_e32 v1, v3
	s_andn2_b32 s6, s6, exec_lo
	s_and_b32 s18, vcc_lo, exec_lo
	s_or_b32 s6, s6, s18
	s_or_b32 exec_lo, exec_lo, s7
	s_and_saveexec_b32 s7, s6
	s_cbranch_execnz .LBB24_1207
	s_branch .LBB24_1208
.LBB24_1226:
	s_mov_b32 s5, -1
.LBB24_1227:
                                        ; implicit-def: $vgpr1
.LBB24_1228:
	s_and_b32 vcc_lo, exec_lo, s6
	s_mov_b32 s6, 0
	s_cbranch_vccz .LBB24_1230
; %bb.1229:
	s_cmp_lg_u32 s1, 11
	s_mov_b32 s6, -1
	s_cselect_b32 s5, -1, 0
.LBB24_1230:
	s_and_b32 vcc_lo, exec_lo, s5
	s_mov_b32 s1, s16
	s_cbranch_vccnz .LBB24_1293
; %bb.1231:
	s_andn2_b32 vcc_lo, exec_lo, s6
	s_cbranch_vccnz .LBB24_1233
.LBB24_1232:
	global_load_ubyte v1, v[12:13], off
	s_mov_b32 s7, -1
	s_waitcnt vmcnt(0)
	v_cmp_ne_u16_e32 vcc_lo, 0, v1
	v_cndmask_b32_e64 v1, 0, 0x3c00, vcc_lo
.LBB24_1233:
	s_branch .LBB24_1162
.LBB24_1234:
	s_and_b32 s4, 0xffff, s4
	s_cmp_lt_i32 s4, 5
	s_cbranch_scc1 .LBB24_1239
; %bb.1235:
	s_cmp_lt_i32 s4, 8
	s_cbranch_scc1 .LBB24_1240
; %bb.1236:
	;; [unrolled: 3-line block ×3, first 2 shown]
	s_cmp_gt_i32 s4, 9
	s_cbranch_scc0 .LBB24_1242
; %bb.1238:
	global_load_dwordx2 v[14:15], v[12:13], off
	s_mov_b32 s5, 0
	s_waitcnt vmcnt(0)
	v_and_or_b32 v1, 0x1ff, v15, v14
	v_lshrrev_b32_e32 v3, 8, v15
	v_bfe_u32 v5, v15, 20, 11
	v_cmp_ne_u32_e32 vcc_lo, 0, v1
	v_sub_nc_u32_e32 v8, 0x3f1, v5
	v_add_nc_u32_e32 v5, 0xfffffc10, v5
	v_cndmask_b32_e64 v1, 0, 1, vcc_lo
	v_and_or_b32 v1, 0xffe, v3, v1
	v_med3_i32 v3, v8, 0, 13
	v_or_b32_e32 v8, 0x1000, v1
	v_lshrrev_b32_e32 v10, v3, v8
	v_lshlrev_b32_e32 v3, v3, v10
	v_cmp_ne_u32_e32 vcc_lo, v3, v8
	v_lshl_or_b32 v8, v5, 12, v1
	v_cndmask_b32_e64 v3, 0, 1, vcc_lo
	v_cmp_gt_i32_e32 vcc_lo, 1, v5
	v_or_b32_e32 v3, v10, v3
	v_cndmask_b32_e32 v3, v8, v3, vcc_lo
	v_and_b32_e32 v8, 7, v3
	v_lshrrev_b32_e32 v3, 2, v3
	v_cmp_lt_i32_e32 vcc_lo, 5, v8
	v_cndmask_b32_e64 v10, 0, 1, vcc_lo
	v_cmp_eq_u32_e32 vcc_lo, 3, v8
	v_cndmask_b32_e64 v8, 0, 1, vcc_lo
	v_cmp_ne_u32_e32 vcc_lo, 0, v1
	v_or_b32_e32 v8, v8, v10
	v_mov_b32_e32 v10, 0x7e00
	v_add_nc_u32_e32 v3, v3, v8
	v_cndmask_b32_e32 v1, 0x7c00, v10, vcc_lo
	v_cmp_gt_i32_e32 vcc_lo, 31, v5
	v_cndmask_b32_e32 v3, 0x7c00, v3, vcc_lo
	v_cmp_eq_u32_e32 vcc_lo, 0x40f, v5
	v_cndmask_b32_e32 v1, v3, v1, vcc_lo
	v_lshrrev_b32_e32 v3, 16, v15
	v_and_or_b32 v1, 0x8000, v3, v1
	s_branch .LBB24_1243
.LBB24_1239:
                                        ; implicit-def: $vgpr1
	s_branch .LBB24_1260
.LBB24_1240:
                                        ; implicit-def: $vgpr1
	s_branch .LBB24_1249
.LBB24_1241:
	s_mov_b32 s5, -1
                                        ; implicit-def: $vgpr1
	s_branch .LBB24_1246
.LBB24_1242:
	s_mov_b32 s5, -1
                                        ; implicit-def: $vgpr1
.LBB24_1243:
	s_andn2_b32 vcc_lo, exec_lo, s5
	s_cbranch_vccnz .LBB24_1245
; %bb.1244:
	global_load_dword v1, v[12:13], off
	s_waitcnt vmcnt(0)
	v_cvt_f16_f32_e32 v1, v1
.LBB24_1245:
	s_mov_b32 s5, 0
.LBB24_1246:
	s_andn2_b32 vcc_lo, exec_lo, s5
	s_cbranch_vccnz .LBB24_1248
; %bb.1247:
	global_load_dword v1, v[12:13], off
.LBB24_1248:
	s_cbranch_execnz .LBB24_1259
.LBB24_1249:
	s_cmp_lt_i32 s4, 6
	s_cbranch_scc1 .LBB24_1252
; %bb.1250:
	s_cmp_gt_i32 s4, 6
	s_cbranch_scc0 .LBB24_1253
; %bb.1251:
	global_load_dwordx2 v[14:15], v[12:13], off
	s_mov_b32 s5, 0
	s_waitcnt vmcnt(0)
	v_and_or_b32 v1, 0x1ff, v15, v14
	v_lshrrev_b32_e32 v3, 8, v15
	v_bfe_u32 v5, v15, 20, 11
	v_cmp_ne_u32_e32 vcc_lo, 0, v1
	v_sub_nc_u32_e32 v8, 0x3f1, v5
	v_add_nc_u32_e32 v5, 0xfffffc10, v5
	v_cndmask_b32_e64 v1, 0, 1, vcc_lo
	v_and_or_b32 v1, 0xffe, v3, v1
	v_med3_i32 v3, v8, 0, 13
	v_or_b32_e32 v8, 0x1000, v1
	v_lshrrev_b32_e32 v10, v3, v8
	v_lshlrev_b32_e32 v3, v3, v10
	v_cmp_ne_u32_e32 vcc_lo, v3, v8
	v_lshl_or_b32 v8, v5, 12, v1
	v_cndmask_b32_e64 v3, 0, 1, vcc_lo
	v_cmp_gt_i32_e32 vcc_lo, 1, v5
	v_or_b32_e32 v3, v10, v3
	v_cndmask_b32_e32 v3, v8, v3, vcc_lo
	v_and_b32_e32 v8, 7, v3
	v_lshrrev_b32_e32 v3, 2, v3
	v_cmp_lt_i32_e32 vcc_lo, 5, v8
	v_cndmask_b32_e64 v10, 0, 1, vcc_lo
	v_cmp_eq_u32_e32 vcc_lo, 3, v8
	v_cndmask_b32_e64 v8, 0, 1, vcc_lo
	v_cmp_ne_u32_e32 vcc_lo, 0, v1
	v_or_b32_e32 v8, v8, v10
	v_mov_b32_e32 v10, 0x7e00
	v_add_nc_u32_e32 v3, v3, v8
	v_cndmask_b32_e32 v1, 0x7c00, v10, vcc_lo
	v_cmp_gt_i32_e32 vcc_lo, 31, v5
	v_cndmask_b32_e32 v3, 0x7c00, v3, vcc_lo
	v_cmp_eq_u32_e32 vcc_lo, 0x40f, v5
	v_cndmask_b32_e32 v1, v3, v1, vcc_lo
	v_lshrrev_b32_e32 v3, 16, v15
	v_and_or_b32 v1, 0x8000, v3, v1
	s_branch .LBB24_1254
.LBB24_1252:
	s_mov_b32 s5, -1
                                        ; implicit-def: $vgpr1
	s_branch .LBB24_1257
.LBB24_1253:
	s_mov_b32 s5, -1
                                        ; implicit-def: $vgpr1
.LBB24_1254:
	s_andn2_b32 vcc_lo, exec_lo, s5
	s_cbranch_vccnz .LBB24_1256
; %bb.1255:
	global_load_dword v1, v[12:13], off
	s_waitcnt vmcnt(0)
	v_cvt_f16_f32_e32 v1, v1
.LBB24_1256:
	s_mov_b32 s5, 0
.LBB24_1257:
	s_andn2_b32 vcc_lo, exec_lo, s5
	s_cbranch_vccnz .LBB24_1259
; %bb.1258:
	global_load_ushort v1, v[12:13], off
.LBB24_1259:
	s_cbranch_execnz .LBB24_1278
.LBB24_1260:
	s_cmp_lt_i32 s4, 2
	s_cbranch_scc1 .LBB24_1264
; %bb.1261:
	s_cmp_lt_i32 s4, 3
	s_cbranch_scc1 .LBB24_1265
; %bb.1262:
	s_cmp_gt_i32 s4, 3
	s_cbranch_scc0 .LBB24_1266
; %bb.1263:
	global_load_dwordx2 v[14:15], v[12:13], off
	s_mov_b32 s5, 0
	s_waitcnt vmcnt(0)
	v_xor_b32_e32 v1, v14, v15
	v_ffbh_i32_e32 v3, v15
	v_ashrrev_i32_e32 v1, 31, v1
	v_add_nc_u32_e32 v3, -1, v3
	v_add_nc_u32_e32 v1, 32, v1
	v_min_u32_e32 v1, v3, v1
	v_lshlrev_b64 v[14:15], v1, v[14:15]
	v_sub_nc_u32_e32 v1, 32, v1
	v_min_u32_e32 v3, 1, v14
	v_or_b32_e32 v3, v15, v3
	v_cvt_f32_i32_e32 v3, v3
	v_ldexp_f32 v1, v3, v1
	v_cvt_f16_f32_e32 v1, v1
	s_branch .LBB24_1267
.LBB24_1264:
                                        ; implicit-def: $vgpr1
	s_branch .LBB24_1273
.LBB24_1265:
	s_mov_b32 s5, -1
                                        ; implicit-def: $vgpr1
	s_branch .LBB24_1270
.LBB24_1266:
	s_mov_b32 s5, -1
                                        ; implicit-def: $vgpr1
.LBB24_1267:
	s_andn2_b32 vcc_lo, exec_lo, s5
	s_cbranch_vccnz .LBB24_1269
; %bb.1268:
	global_load_dword v1, v[12:13], off
	s_waitcnt vmcnt(0)
	v_cvt_f32_i32_e32 v1, v1
	v_cvt_f16_f32_e32 v1, v1
.LBB24_1269:
	s_mov_b32 s5, 0
.LBB24_1270:
	s_andn2_b32 vcc_lo, exec_lo, s5
	s_cbranch_vccnz .LBB24_1272
; %bb.1271:
	global_load_ushort v1, v[12:13], off
	s_waitcnt vmcnt(0)
	v_cvt_f16_i16_e32 v1, v1
.LBB24_1272:
	s_cbranch_execnz .LBB24_1278
.LBB24_1273:
	s_cmp_gt_i32 s4, 0
	s_mov_b32 s4, 0
	s_cbranch_scc0 .LBB24_1275
; %bb.1274:
	global_load_sbyte v1, v[12:13], off
	s_waitcnt vmcnt(0)
	v_cvt_f16_i16_e32 v1, v1
	s_branch .LBB24_1276
.LBB24_1275:
	s_mov_b32 s4, -1
                                        ; implicit-def: $vgpr1
.LBB24_1276:
	s_andn2_b32 vcc_lo, exec_lo, s4
	s_cbranch_vccnz .LBB24_1278
; %bb.1277:
	global_load_ubyte v1, v[12:13], off
	s_waitcnt vmcnt(0)
	v_cvt_f16_u16_e32 v1, v1
.LBB24_1278:
.LBB24_1279:
	s_waitcnt vmcnt(0)
	v_cvt_f32_f16_e32 v5, v1
	s_mov_b32 s4, exec_lo
	v_cmpx_nlg_f32_e64 0x7f800000, |v5|
	s_cbranch_execz .LBB24_1281
; %bb.1280:
	v_mov_b32_e32 v3, 0
	v_mov_b32_e32 v8, 1.0
	global_store_dword v3, v8, s[12:13]
.LBB24_1281:
	s_or_b32 exec_lo, exec_lo, s4
	v_mov_b32_e32 v3, 0
	v_add_co_u32 v10, s4, s10, v11
	s_lshr_b32 s0, s0, 8
	v_add_co_ci_u32_e64 v11, null, s11, 0, s4
	global_load_dword v12, v3, s[14:15]
	s_and_b32 s0, s0, 0xff
	s_cmp_lt_i32 s0, 11
	s_cbranch_scc1 .LBB24_1288
; %bb.1282:
	s_and_b32 s4, 0xffff, s0
	s_mov_b32 s6, 0
	s_cmp_gt_i32 s4, 25
	s_cbranch_scc0 .LBB24_1290
; %bb.1283:
	s_cmp_gt_i32 s4, 28
	s_cbranch_scc0 .LBB24_1291
; %bb.1284:
	;; [unrolled: 3-line block ×4, first 2 shown]
	s_cmp_eq_u32 s4, 46
	s_mov_b32 s18, 0
	s_cbranch_scc0 .LBB24_1297
; %bb.1287:
	global_load_dword v3, v[10:11], off
	s_mov_b32 s5, 0
	s_mov_b32 s7, -1
	s_waitcnt vmcnt(0)
	v_lshlrev_b32_e32 v3, 16, v3
	v_cvt_f16_f32_e32 v3, v3
	s_branch .LBB24_1299
.LBB24_1288:
	s_mov_b32 s7, 0
                                        ; implicit-def: $vgpr3
	s_cbranch_execnz .LBB24_1364
.LBB24_1289:
	s_andn2_b32 vcc_lo, exec_lo, s7
	s_cbranch_vccnz .LBB24_2111
	s_branch .LBB24_1411
.LBB24_1290:
	s_mov_b32 s7, 0
	s_mov_b32 s5, 0
                                        ; implicit-def: $vgpr3
	s_cbranch_execnz .LBB24_1328
	s_branch .LBB24_1360
.LBB24_1291:
	s_mov_b32 s18, -1
	s_mov_b32 s7, 0
	s_mov_b32 s5, 0
                                        ; implicit-def: $vgpr3
	s_branch .LBB24_1309
.LBB24_1292:
	s_mov_b32 s18, -1
	s_mov_b32 s7, 0
	s_mov_b32 s5, 0
                                        ; implicit-def: $vgpr3
	s_branch .LBB24_1304
.LBB24_1293:
	s_or_b32 s1, s16, exec_lo
	s_trap 2
	s_cbranch_execz .LBB24_1232
	s_branch .LBB24_1233
.LBB24_1294:
	s_mov_b32 s18, -1
	s_mov_b32 s7, 0
	s_mov_b32 s5, 0
	s_branch .LBB24_1298
.LBB24_1295:
	s_andn2_saveexec_b32 s12, s12
	s_cbranch_execz .LBB24_1022
.LBB24_1296:
	v_add_f32_e64 v4, 0x42800000, |v0|
	s_andn2_b32 s11, s11, exec_lo
	v_and_b32_e32 v4, 0xff, v4
	v_cmp_ne_u32_e32 vcc_lo, 0, v4
	s_and_b32 s13, vcc_lo, exec_lo
	s_or_b32 s11, s11, s13
	s_or_b32 exec_lo, exec_lo, s12
	v_mov_b32_e32 v5, 0
	s_and_saveexec_b32 s12, s11
	s_cbranch_execnz .LBB24_1023
	s_branch .LBB24_1024
.LBB24_1297:
	s_mov_b32 s5, -1
	s_mov_b32 s7, 0
.LBB24_1298:
                                        ; implicit-def: $vgpr3
.LBB24_1299:
	s_and_b32 vcc_lo, exec_lo, s18
	s_cbranch_vccz .LBB24_1303
; %bb.1300:
	s_cmp_eq_u32 s4, 44
	s_cbranch_scc0 .LBB24_1302
; %bb.1301:
	global_load_ubyte v3, v[10:11], off
	s_mov_b32 s5, 0
	s_mov_b32 s7, -1
	s_waitcnt vmcnt(0)
	v_lshlrev_b32_e32 v8, 23, v3
	v_cmp_ne_u32_e32 vcc_lo, 0xff, v3
	v_cvt_f16_f32_e32 v8, v8
	v_cndmask_b32_e32 v8, 0x7e00, v8, vcc_lo
	v_cmp_ne_u32_e32 vcc_lo, 0, v3
	v_cndmask_b32_e32 v3, 0, v8, vcc_lo
	s_branch .LBB24_1303
.LBB24_1302:
	s_mov_b32 s5, -1
                                        ; implicit-def: $vgpr3
.LBB24_1303:
	s_mov_b32 s18, 0
.LBB24_1304:
	s_and_b32 vcc_lo, exec_lo, s18
	s_cbranch_vccz .LBB24_1308
; %bb.1305:
	s_cmp_eq_u32 s4, 29
	s_cbranch_scc0 .LBB24_1307
; %bb.1306:
	global_load_dwordx2 v[13:14], v[10:11], off
	s_mov_b32 s5, 0
	s_mov_b32 s7, -1
	s_mov_b32 s18, 0
	s_waitcnt vmcnt(0)
	v_ffbh_u32_e32 v3, v14
	v_min_u32_e32 v3, 32, v3
	v_lshlrev_b64 v[13:14], v3, v[13:14]
	v_sub_nc_u32_e32 v3, 32, v3
	v_min_u32_e32 v8, 1, v13
	v_or_b32_e32 v8, v14, v8
	v_cvt_f32_u32_e32 v8, v8
	v_ldexp_f32 v3, v8, v3
	v_cvt_f16_f32_e32 v3, v3
	s_branch .LBB24_1309
.LBB24_1307:
	s_mov_b32 s5, -1
                                        ; implicit-def: $vgpr3
.LBB24_1308:
	s_mov_b32 s18, 0
.LBB24_1309:
	s_and_b32 vcc_lo, exec_lo, s18
	s_cbranch_vccz .LBB24_1327
; %bb.1310:
	s_cmp_lt_i32 s4, 27
	s_cbranch_scc1 .LBB24_1313
; %bb.1311:
	s_cmp_gt_i32 s4, 27
	s_cbranch_scc0 .LBB24_1314
; %bb.1312:
	global_load_dword v3, v[10:11], off
	s_mov_b32 s7, 0
	s_waitcnt vmcnt(0)
	v_cvt_f32_u32_e32 v3, v3
	v_cvt_f16_f32_e32 v3, v3
	s_branch .LBB24_1315
.LBB24_1313:
	s_mov_b32 s7, -1
                                        ; implicit-def: $vgpr3
	s_branch .LBB24_1318
.LBB24_1314:
	s_mov_b32 s7, -1
                                        ; implicit-def: $vgpr3
.LBB24_1315:
	s_andn2_b32 vcc_lo, exec_lo, s7
	s_cbranch_vccnz .LBB24_1317
; %bb.1316:
	global_load_ushort v3, v[10:11], off
	s_waitcnt vmcnt(0)
	v_cvt_f16_u16_e32 v3, v3
.LBB24_1317:
	s_mov_b32 s7, 0
.LBB24_1318:
	s_andn2_b32 vcc_lo, exec_lo, s7
	s_cbranch_vccnz .LBB24_1326
; %bb.1319:
	global_load_ubyte v8, v[10:11], off
	s_mov_b32 s7, 0
	s_mov_b32 s18, exec_lo
	s_waitcnt vmcnt(0)
	v_cmpx_lt_i16_e32 0x7f, v8
	s_xor_b32 s18, exec_lo, s18
	s_cbranch_execz .LBB24_1339
; %bb.1320:
	s_mov_b32 s7, -1
	s_mov_b32 s19, exec_lo
	v_cmpx_eq_u16_e32 0x80, v8
; %bb.1321:
	s_xor_b32 s7, exec_lo, -1
; %bb.1322:
	s_or_b32 exec_lo, exec_lo, s19
	s_and_b32 s7, s7, exec_lo
	s_or_saveexec_b32 s18, s18
	v_mov_b32_e32 v3, 0x7e00
	s_xor_b32 exec_lo, exec_lo, s18
	s_cbranch_execnz .LBB24_1340
.LBB24_1323:
	s_or_b32 exec_lo, exec_lo, s18
	s_and_saveexec_b32 s18, s7
	s_cbranch_execz .LBB24_1325
.LBB24_1324:
	v_and_b32_e32 v3, 0xffff, v8
	v_lshlrev_b32_e32 v8, 24, v8
	v_and_b32_e32 v13, 7, v3
	v_bfe_u32 v16, v3, 3, 4
	v_and_b32_e32 v8, 0x80000000, v8
	v_ffbh_u32_e32 v14, v13
	v_cmp_eq_u32_e32 vcc_lo, 0, v16
	v_min_u32_e32 v14, 32, v14
	v_subrev_nc_u32_e32 v15, 28, v14
	v_sub_nc_u32_e32 v14, 29, v14
	v_lshlrev_b32_e32 v3, v15, v3
	v_cndmask_b32_e32 v14, v16, v14, vcc_lo
	v_and_b32_e32 v3, 7, v3
	v_cndmask_b32_e32 v3, v13, v3, vcc_lo
	v_lshl_add_u32 v13, v14, 23, 0x3b800000
	v_lshlrev_b32_e32 v3, 20, v3
	v_or3_b32 v3, v8, v13, v3
	v_cvt_f16_f32_e32 v3, v3
.LBB24_1325:
	s_or_b32 exec_lo, exec_lo, s18
.LBB24_1326:
	s_mov_b32 s7, -1
.LBB24_1327:
	s_branch .LBB24_1360
.LBB24_1328:
	s_cmp_gt_i32 s4, 22
	s_cbranch_scc0 .LBB24_1338
; %bb.1329:
	s_cmp_lt_i32 s4, 24
	s_cbranch_scc1 .LBB24_1341
; %bb.1330:
	s_cmp_gt_i32 s4, 24
	s_cbranch_scc0 .LBB24_1342
; %bb.1331:
	global_load_ubyte v8, v[10:11], off
	s_mov_b32 s7, exec_lo
	s_waitcnt vmcnt(0)
	v_cmpx_lt_i16_e32 0x7f, v8
	s_xor_b32 s7, exec_lo, s7
	s_cbranch_execz .LBB24_1354
; %bb.1332:
	s_mov_b32 s6, -1
	s_mov_b32 s18, exec_lo
	v_cmpx_eq_u16_e32 0x80, v8
; %bb.1333:
	s_xor_b32 s6, exec_lo, -1
; %bb.1334:
	s_or_b32 exec_lo, exec_lo, s18
	s_and_b32 s6, s6, exec_lo
	s_or_saveexec_b32 s7, s7
	v_mov_b32_e32 v3, 0x7e00
	s_xor_b32 exec_lo, exec_lo, s7
	s_cbranch_execnz .LBB24_1355
.LBB24_1335:
	s_or_b32 exec_lo, exec_lo, s7
	s_and_saveexec_b32 s7, s6
	s_cbranch_execz .LBB24_1337
.LBB24_1336:
	v_and_b32_e32 v3, 0xffff, v8
	v_lshlrev_b32_e32 v8, 24, v8
	v_and_b32_e32 v13, 3, v3
	v_bfe_u32 v16, v3, 2, 5
	v_and_b32_e32 v8, 0x80000000, v8
	v_ffbh_u32_e32 v14, v13
	v_cmp_eq_u32_e32 vcc_lo, 0, v16
	v_min_u32_e32 v14, 32, v14
	v_subrev_nc_u32_e32 v15, 29, v14
	v_sub_nc_u32_e32 v14, 30, v14
	v_lshlrev_b32_e32 v3, v15, v3
	v_cndmask_b32_e32 v14, v16, v14, vcc_lo
	v_and_b32_e32 v3, 3, v3
	v_cndmask_b32_e32 v3, v13, v3, vcc_lo
	v_lshl_add_u32 v13, v14, 23, 0x37800000
	v_lshlrev_b32_e32 v3, 21, v3
	v_or3_b32 v3, v8, v13, v3
	v_cvt_f16_f32_e32 v3, v3
.LBB24_1337:
	s_or_b32 exec_lo, exec_lo, s7
	s_mov_b32 s6, 0
	s_branch .LBB24_1343
.LBB24_1338:
	s_mov_b32 s6, -1
                                        ; implicit-def: $vgpr3
	s_branch .LBB24_1349
.LBB24_1339:
	s_or_saveexec_b32 s18, s18
	v_mov_b32_e32 v3, 0x7e00
	s_xor_b32 exec_lo, exec_lo, s18
	s_cbranch_execz .LBB24_1323
.LBB24_1340:
	v_cmp_ne_u16_e32 vcc_lo, 0, v8
	v_mov_b32_e32 v3, v8
	s_andn2_b32 s7, s7, exec_lo
	s_and_b32 s19, vcc_lo, exec_lo
	s_or_b32 s7, s7, s19
	s_or_b32 exec_lo, exec_lo, s18
	s_and_saveexec_b32 s18, s7
	s_cbranch_execnz .LBB24_1324
	s_branch .LBB24_1325
.LBB24_1341:
	s_mov_b32 s6, -1
                                        ; implicit-def: $vgpr3
	s_branch .LBB24_1346
.LBB24_1342:
	s_mov_b32 s6, -1
                                        ; implicit-def: $vgpr3
.LBB24_1343:
	s_and_b32 vcc_lo, exec_lo, s6
	s_cbranch_vccz .LBB24_1345
; %bb.1344:
	global_load_ubyte v3, v[10:11], off
	s_waitcnt vmcnt(0)
	v_lshlrev_b32_e32 v3, 24, v3
	v_and_b32_e32 v8, 0x7f000000, v3
	v_ffbh_u32_e32 v13, v8
	v_add_nc_u32_e32 v15, 0x1000000, v8
	v_cmp_ne_u32_e32 vcc_lo, 0, v8
	v_min_u32_e32 v13, 32, v13
	v_sub_nc_u32_e64 v13, v13, 4 clamp
	v_lshlrev_b32_e32 v14, v13, v8
	v_lshlrev_b32_e32 v13, 23, v13
	v_lshrrev_b32_e32 v14, 4, v14
	v_sub_nc_u32_e32 v13, v14, v13
	v_ashrrev_i32_e32 v14, 8, v15
	v_add_nc_u32_e32 v13, 0x3c000000, v13
	v_and_or_b32 v13, 0x7f800000, v14, v13
	v_cndmask_b32_e32 v8, 0, v13, vcc_lo
	v_and_or_b32 v3, 0x80000000, v3, v8
	v_cvt_f16_f32_e32 v3, v3
.LBB24_1345:
	s_mov_b32 s6, 0
.LBB24_1346:
	s_andn2_b32 vcc_lo, exec_lo, s6
	s_cbranch_vccnz .LBB24_1348
; %bb.1347:
	global_load_ubyte v3, v[10:11], off
	s_waitcnt vmcnt(0)
	v_lshlrev_b32_e32 v8, 25, v3
	v_lshlrev_b16 v3, 8, v3
	v_lshrrev_b32_e32 v13, 4, v8
	v_and_or_b32 v14, 0x7f00, v3, 0.5
	v_cmp_gt_u32_e32 vcc_lo, 0x8000000, v8
	v_bfe_i32 v3, v3, 0, 16
	v_or_b32_e32 v13, 0x70000000, v13
	v_add_f32_e32 v14, -0.5, v14
	v_mul_f32_e32 v13, 0x7800000, v13
	v_cndmask_b32_e32 v8, v13, v14, vcc_lo
	v_and_or_b32 v3, 0x80000000, v3, v8
	v_cvt_f16_f32_e32 v3, v3
.LBB24_1348:
	s_mov_b32 s6, 0
	s_mov_b32 s7, -1
.LBB24_1349:
	s_andn2_b32 vcc_lo, exec_lo, s6
	s_mov_b32 s6, 0
	s_cbranch_vccnz .LBB24_1360
; %bb.1350:
	s_cmp_gt_i32 s4, 14
	s_cbranch_scc0 .LBB24_1353
; %bb.1351:
	s_cmp_eq_u32 s4, 15
	s_cbranch_scc0 .LBB24_1356
; %bb.1352:
	global_load_ushort v3, v[10:11], off
	s_mov_b32 s5, 0
	s_mov_b32 s7, -1
	s_waitcnt vmcnt(0)
	v_lshlrev_b32_e32 v3, 16, v3
	v_cvt_f16_f32_e32 v3, v3
	s_branch .LBB24_1358
.LBB24_1353:
	s_mov_b32 s6, -1
	s_branch .LBB24_1357
.LBB24_1354:
	s_or_saveexec_b32 s7, s7
	v_mov_b32_e32 v3, 0x7e00
	s_xor_b32 exec_lo, exec_lo, s7
	s_cbranch_execz .LBB24_1335
.LBB24_1355:
	v_cmp_ne_u16_e32 vcc_lo, 0, v8
	v_mov_b32_e32 v3, v8
	s_andn2_b32 s6, s6, exec_lo
	s_and_b32 s18, vcc_lo, exec_lo
	s_or_b32 s6, s6, s18
	s_or_b32 exec_lo, exec_lo, s7
	s_and_saveexec_b32 s7, s6
	s_cbranch_execnz .LBB24_1336
	s_branch .LBB24_1337
.LBB24_1356:
	s_mov_b32 s5, -1
.LBB24_1357:
                                        ; implicit-def: $vgpr3
.LBB24_1358:
	s_and_b32 vcc_lo, exec_lo, s6
	s_mov_b32 s6, 0
	s_cbranch_vccz .LBB24_1360
; %bb.1359:
	s_cmp_lg_u32 s4, 11
	s_mov_b32 s6, -1
	s_cselect_b32 s5, -1, 0
.LBB24_1360:
	s_and_b32 vcc_lo, exec_lo, s5
	s_cbranch_vccnz .LBB24_1425
; %bb.1361:
	s_andn2_b32 vcc_lo, exec_lo, s6
	s_cbranch_vccnz .LBB24_1363
.LBB24_1362:
	global_load_ubyte v3, v[10:11], off
	s_mov_b32 s7, -1
	s_waitcnt vmcnt(0)
	v_cmp_ne_u16_e32 vcc_lo, 0, v3
	v_cndmask_b32_e64 v3, 0, 0x3c00, vcc_lo
.LBB24_1363:
	s_branch .LBB24_1289
.LBB24_1364:
	s_and_b32 s4, 0xffff, s0
	s_cmp_lt_i32 s4, 5
	s_cbranch_scc1 .LBB24_1369
; %bb.1365:
	s_cmp_lt_i32 s4, 8
	s_cbranch_scc1 .LBB24_1370
; %bb.1366:
	s_cmp_lt_i32 s4, 9
	s_cbranch_scc1 .LBB24_1371
; %bb.1367:
	s_cmp_gt_i32 s4, 9
	s_cbranch_scc0 .LBB24_1372
; %bb.1368:
	global_load_dwordx2 v[13:14], v[10:11], off
	s_mov_b32 s5, 0
	s_waitcnt vmcnt(0)
	v_and_or_b32 v3, 0x1ff, v14, v13
	v_lshrrev_b32_e32 v8, 8, v14
	v_bfe_u32 v13, v14, 20, 11
	v_cmp_ne_u32_e32 vcc_lo, 0, v3
	v_sub_nc_u32_e32 v15, 0x3f1, v13
	v_add_nc_u32_e32 v13, 0xfffffc10, v13
	v_cndmask_b32_e64 v3, 0, 1, vcc_lo
	v_and_or_b32 v3, 0xffe, v8, v3
	v_med3_i32 v8, v15, 0, 13
	v_or_b32_e32 v15, 0x1000, v3
	v_lshrrev_b32_e32 v16, v8, v15
	v_lshlrev_b32_e32 v8, v8, v16
	v_cmp_ne_u32_e32 vcc_lo, v8, v15
	v_lshl_or_b32 v15, v13, 12, v3
	v_cndmask_b32_e64 v8, 0, 1, vcc_lo
	v_cmp_gt_i32_e32 vcc_lo, 1, v13
	v_or_b32_e32 v8, v16, v8
	v_cndmask_b32_e32 v8, v15, v8, vcc_lo
	v_and_b32_e32 v15, 7, v8
	v_lshrrev_b32_e32 v8, 2, v8
	v_cmp_lt_i32_e32 vcc_lo, 5, v15
	v_cndmask_b32_e64 v16, 0, 1, vcc_lo
	v_cmp_eq_u32_e32 vcc_lo, 3, v15
	v_cndmask_b32_e64 v15, 0, 1, vcc_lo
	v_cmp_ne_u32_e32 vcc_lo, 0, v3
	v_or_b32_e32 v15, v15, v16
	v_mov_b32_e32 v16, 0x7e00
	v_add_nc_u32_e32 v8, v8, v15
	v_cndmask_b32_e32 v3, 0x7c00, v16, vcc_lo
	v_cmp_gt_i32_e32 vcc_lo, 31, v13
	v_cndmask_b32_e32 v8, 0x7c00, v8, vcc_lo
	v_cmp_eq_u32_e32 vcc_lo, 0x40f, v13
	v_cndmask_b32_e32 v3, v8, v3, vcc_lo
	v_lshrrev_b32_e32 v8, 16, v14
	v_and_or_b32 v3, 0x8000, v8, v3
	s_branch .LBB24_1373
.LBB24_1369:
                                        ; implicit-def: $vgpr3
	s_branch .LBB24_1391
.LBB24_1370:
	s_mov_b32 s5, -1
                                        ; implicit-def: $vgpr3
	s_branch .LBB24_1379
.LBB24_1371:
	s_mov_b32 s5, -1
                                        ; implicit-def: $vgpr3
	s_branch .LBB24_1376
.LBB24_1372:
	s_mov_b32 s5, -1
                                        ; implicit-def: $vgpr3
.LBB24_1373:
	s_andn2_b32 vcc_lo, exec_lo, s5
	s_cbranch_vccnz .LBB24_1375
; %bb.1374:
	global_load_dword v3, v[10:11], off
	s_waitcnt vmcnt(0)
	v_cvt_f16_f32_e32 v3, v3
.LBB24_1375:
	s_mov_b32 s5, 0
.LBB24_1376:
	s_andn2_b32 vcc_lo, exec_lo, s5
	s_cbranch_vccnz .LBB24_1378
; %bb.1377:
	global_load_dword v3, v[10:11], off
.LBB24_1378:
	s_mov_b32 s5, 0
.LBB24_1379:
	s_andn2_b32 vcc_lo, exec_lo, s5
	s_cbranch_vccnz .LBB24_1390
; %bb.1380:
	s_cmp_lt_i32 s4, 6
	s_cbranch_scc1 .LBB24_1383
; %bb.1381:
	s_cmp_gt_i32 s4, 6
	s_cbranch_scc0 .LBB24_1384
; %bb.1382:
	global_load_dwordx2 v[13:14], v[10:11], off
	s_mov_b32 s5, 0
	s_waitcnt vmcnt(0)
	v_and_or_b32 v3, 0x1ff, v14, v13
	v_lshrrev_b32_e32 v8, 8, v14
	v_bfe_u32 v13, v14, 20, 11
	v_cmp_ne_u32_e32 vcc_lo, 0, v3
	v_sub_nc_u32_e32 v15, 0x3f1, v13
	v_add_nc_u32_e32 v13, 0xfffffc10, v13
	v_cndmask_b32_e64 v3, 0, 1, vcc_lo
	v_and_or_b32 v3, 0xffe, v8, v3
	v_med3_i32 v8, v15, 0, 13
	v_or_b32_e32 v15, 0x1000, v3
	v_lshrrev_b32_e32 v16, v8, v15
	v_lshlrev_b32_e32 v8, v8, v16
	v_cmp_ne_u32_e32 vcc_lo, v8, v15
	v_lshl_or_b32 v15, v13, 12, v3
	v_cndmask_b32_e64 v8, 0, 1, vcc_lo
	v_cmp_gt_i32_e32 vcc_lo, 1, v13
	v_or_b32_e32 v8, v16, v8
	v_cndmask_b32_e32 v8, v15, v8, vcc_lo
	v_and_b32_e32 v15, 7, v8
	v_lshrrev_b32_e32 v8, 2, v8
	v_cmp_lt_i32_e32 vcc_lo, 5, v15
	v_cndmask_b32_e64 v16, 0, 1, vcc_lo
	v_cmp_eq_u32_e32 vcc_lo, 3, v15
	v_cndmask_b32_e64 v15, 0, 1, vcc_lo
	v_cmp_ne_u32_e32 vcc_lo, 0, v3
	v_or_b32_e32 v15, v15, v16
	v_mov_b32_e32 v16, 0x7e00
	v_add_nc_u32_e32 v8, v8, v15
	v_cndmask_b32_e32 v3, 0x7c00, v16, vcc_lo
	v_cmp_gt_i32_e32 vcc_lo, 31, v13
	v_cndmask_b32_e32 v8, 0x7c00, v8, vcc_lo
	v_cmp_eq_u32_e32 vcc_lo, 0x40f, v13
	v_cndmask_b32_e32 v3, v8, v3, vcc_lo
	v_lshrrev_b32_e32 v8, 16, v14
	v_and_or_b32 v3, 0x8000, v8, v3
	s_branch .LBB24_1385
.LBB24_1383:
	s_mov_b32 s5, -1
                                        ; implicit-def: $vgpr3
	s_branch .LBB24_1388
.LBB24_1384:
	s_mov_b32 s5, -1
                                        ; implicit-def: $vgpr3
.LBB24_1385:
	s_andn2_b32 vcc_lo, exec_lo, s5
	s_cbranch_vccnz .LBB24_1387
; %bb.1386:
	global_load_dword v3, v[10:11], off
	s_waitcnt vmcnt(0)
	v_cvt_f16_f32_e32 v3, v3
.LBB24_1387:
	s_mov_b32 s5, 0
.LBB24_1388:
	s_andn2_b32 vcc_lo, exec_lo, s5
	s_cbranch_vccnz .LBB24_1390
; %bb.1389:
	global_load_ushort v3, v[10:11], off
.LBB24_1390:
	s_cbranch_execnz .LBB24_1410
.LBB24_1391:
	s_cmp_lt_i32 s4, 2
	s_cbranch_scc1 .LBB24_1395
; %bb.1392:
	s_cmp_lt_i32 s4, 3
	s_cbranch_scc1 .LBB24_1396
; %bb.1393:
	s_cmp_gt_i32 s4, 3
	s_cbranch_scc0 .LBB24_1397
; %bb.1394:
	global_load_dwordx2 v[13:14], v[10:11], off
	s_mov_b32 s5, 0
	s_waitcnt vmcnt(0)
	v_xor_b32_e32 v3, v13, v14
	v_ffbh_i32_e32 v8, v14
	v_ashrrev_i32_e32 v3, 31, v3
	v_add_nc_u32_e32 v8, -1, v8
	v_add_nc_u32_e32 v3, 32, v3
	v_min_u32_e32 v3, v8, v3
	v_lshlrev_b64 v[13:14], v3, v[13:14]
	v_sub_nc_u32_e32 v3, 32, v3
	v_min_u32_e32 v8, 1, v13
	v_or_b32_e32 v8, v14, v8
	v_cvt_f32_i32_e32 v8, v8
	v_ldexp_f32 v3, v8, v3
	v_cvt_f16_f32_e32 v3, v3
	s_branch .LBB24_1398
.LBB24_1395:
	s_mov_b32 s5, -1
                                        ; implicit-def: $vgpr3
	s_branch .LBB24_1404
.LBB24_1396:
	s_mov_b32 s5, -1
                                        ; implicit-def: $vgpr3
	s_branch .LBB24_1401
.LBB24_1397:
	s_mov_b32 s5, -1
                                        ; implicit-def: $vgpr3
.LBB24_1398:
	s_andn2_b32 vcc_lo, exec_lo, s5
	s_cbranch_vccnz .LBB24_1400
; %bb.1399:
	global_load_dword v3, v[10:11], off
	s_waitcnt vmcnt(0)
	v_cvt_f32_i32_e32 v3, v3
	v_cvt_f16_f32_e32 v3, v3
.LBB24_1400:
	s_mov_b32 s5, 0
.LBB24_1401:
	s_andn2_b32 vcc_lo, exec_lo, s5
	s_cbranch_vccnz .LBB24_1403
; %bb.1402:
	global_load_ushort v3, v[10:11], off
	s_waitcnt vmcnt(0)
	v_cvt_f16_i16_e32 v3, v3
.LBB24_1403:
	s_mov_b32 s5, 0
.LBB24_1404:
	s_andn2_b32 vcc_lo, exec_lo, s5
	s_cbranch_vccnz .LBB24_1410
; %bb.1405:
	s_cmp_gt_i32 s4, 0
	s_mov_b32 s4, 0
	s_cbranch_scc0 .LBB24_1407
; %bb.1406:
	global_load_sbyte v3, v[10:11], off
	s_waitcnt vmcnt(0)
	v_cvt_f16_i16_e32 v3, v3
	s_branch .LBB24_1408
.LBB24_1407:
	s_mov_b32 s4, -1
                                        ; implicit-def: $vgpr3
.LBB24_1408:
	s_andn2_b32 vcc_lo, exec_lo, s4
	s_cbranch_vccnz .LBB24_1410
; %bb.1409:
	global_load_ubyte v3, v[10:11], off
	s_waitcnt vmcnt(0)
	v_cvt_f16_u16_e32 v3, v3
.LBB24_1410:
.LBB24_1411:
	s_waitcnt vmcnt(0)
	v_cvt_f32_f16_e32 v11, v3
	v_mov_b32_e32 v13, v12
	s_mov_b32 s4, exec_lo
	v_cmpx_nlg_f32_e64 0x7f800000, |v11|
	s_cbranch_execz .LBB24_1413
; %bb.1412:
	v_mov_b32_e32 v8, 0
	v_mov_b32_e32 v10, 1.0
	global_store_dword v8, v10, s[12:13]
	global_load_dword v13, v8, s[14:15]
.LBB24_1413:
	s_or_b32 exec_lo, exec_lo, s4
	v_add_co_u32 v8, s4, s10, v9
	v_add_co_ci_u32_e64 v9, null, s11, 0, s4
	s_cmp_lt_i32 s0, 11
	s_cbranch_scc1 .LBB24_1420
; %bb.1414:
	s_and_b32 s4, 0xffff, s0
	s_mov_b32 s6, 0
	s_cmp_gt_i32 s4, 25
	s_cbranch_scc0 .LBB24_1422
; %bb.1415:
	s_cmp_gt_i32 s4, 28
	s_cbranch_scc0 .LBB24_1423
; %bb.1416:
	;; [unrolled: 3-line block ×4, first 2 shown]
	s_cmp_eq_u32 s4, 46
	s_mov_b32 s18, 0
	s_cbranch_scc0 .LBB24_1427
; %bb.1419:
	global_load_dword v10, v[8:9], off
	s_mov_b32 s5, 0
	s_mov_b32 s7, -1
	s_waitcnt vmcnt(0)
	v_lshlrev_b32_e32 v10, 16, v10
	v_cvt_f16_f32_e32 v10, v10
	s_branch .LBB24_1429
.LBB24_1420:
	s_mov_b32 s7, 0
                                        ; implicit-def: $vgpr10
	s_cbranch_execnz .LBB24_1495
.LBB24_1421:
	s_andn2_b32 vcc_lo, exec_lo, s7
	s_cbranch_vccnz .LBB24_2111
	s_branch .LBB24_1543
.LBB24_1422:
	s_mov_b32 s18, -1
	s_mov_b32 s7, 0
	s_mov_b32 s5, 0
                                        ; implicit-def: $vgpr10
	s_branch .LBB24_1458
.LBB24_1423:
	s_mov_b32 s18, -1
	s_mov_b32 s7, 0
	s_mov_b32 s5, 0
                                        ; implicit-def: $vgpr10
	s_branch .LBB24_1439
.LBB24_1424:
	s_mov_b32 s18, -1
	s_mov_b32 s7, 0
	s_mov_b32 s5, 0
                                        ; implicit-def: $vgpr10
	s_branch .LBB24_1434
.LBB24_1425:
	s_or_b32 s1, s1, exec_lo
	s_trap 2
	s_cbranch_execz .LBB24_1362
	s_branch .LBB24_1363
.LBB24_1426:
	s_mov_b32 s18, -1
	s_mov_b32 s7, 0
	s_mov_b32 s5, 0
	s_branch .LBB24_1428
.LBB24_1427:
	s_mov_b32 s5, -1
	s_mov_b32 s7, 0
.LBB24_1428:
                                        ; implicit-def: $vgpr10
.LBB24_1429:
	s_and_b32 vcc_lo, exec_lo, s18
	s_cbranch_vccz .LBB24_1433
; %bb.1430:
	s_cmp_eq_u32 s4, 44
	s_cbranch_scc0 .LBB24_1432
; %bb.1431:
	global_load_ubyte v10, v[8:9], off
	s_mov_b32 s5, 0
	s_mov_b32 s7, -1
	s_waitcnt vmcnt(0)
	v_lshlrev_b32_e32 v14, 23, v10
	v_cmp_ne_u32_e32 vcc_lo, 0xff, v10
	v_cvt_f16_f32_e32 v14, v14
	v_cndmask_b32_e32 v14, 0x7e00, v14, vcc_lo
	v_cmp_ne_u32_e32 vcc_lo, 0, v10
	v_cndmask_b32_e32 v10, 0, v14, vcc_lo
	s_branch .LBB24_1433
.LBB24_1432:
	s_mov_b32 s5, -1
                                        ; implicit-def: $vgpr10
.LBB24_1433:
	s_mov_b32 s18, 0
.LBB24_1434:
	s_and_b32 vcc_lo, exec_lo, s18
	s_cbranch_vccz .LBB24_1438
; %bb.1435:
	s_cmp_eq_u32 s4, 29
	s_cbranch_scc0 .LBB24_1437
; %bb.1436:
	global_load_dwordx2 v[14:15], v[8:9], off
	s_mov_b32 s5, 0
	s_mov_b32 s7, -1
	s_mov_b32 s18, 0
	s_waitcnt vmcnt(0)
	v_ffbh_u32_e32 v10, v15
	v_min_u32_e32 v10, 32, v10
	v_lshlrev_b64 v[14:15], v10, v[14:15]
	v_sub_nc_u32_e32 v10, 32, v10
	v_min_u32_e32 v14, 1, v14
	v_or_b32_e32 v14, v15, v14
	v_cvt_f32_u32_e32 v14, v14
	v_ldexp_f32 v10, v14, v10
	v_cvt_f16_f32_e32 v10, v10
	s_branch .LBB24_1439
.LBB24_1437:
	s_mov_b32 s5, -1
                                        ; implicit-def: $vgpr10
.LBB24_1438:
	s_mov_b32 s18, 0
.LBB24_1439:
	s_and_b32 vcc_lo, exec_lo, s18
	s_cbranch_vccz .LBB24_1457
; %bb.1440:
	s_cmp_lt_i32 s4, 27
	s_cbranch_scc1 .LBB24_1443
; %bb.1441:
	s_cmp_gt_i32 s4, 27
	s_cbranch_scc0 .LBB24_1444
; %bb.1442:
	global_load_dword v10, v[8:9], off
	s_mov_b32 s7, 0
	s_waitcnt vmcnt(0)
	v_cvt_f32_u32_e32 v10, v10
	v_cvt_f16_f32_e32 v10, v10
	s_branch .LBB24_1445
.LBB24_1443:
	s_mov_b32 s7, -1
                                        ; implicit-def: $vgpr10
	s_branch .LBB24_1448
.LBB24_1444:
	s_mov_b32 s7, -1
                                        ; implicit-def: $vgpr10
.LBB24_1445:
	s_andn2_b32 vcc_lo, exec_lo, s7
	s_cbranch_vccnz .LBB24_1447
; %bb.1446:
	global_load_ushort v10, v[8:9], off
	s_waitcnt vmcnt(0)
	v_cvt_f16_u16_e32 v10, v10
.LBB24_1447:
	s_mov_b32 s7, 0
.LBB24_1448:
	s_andn2_b32 vcc_lo, exec_lo, s7
	s_cbranch_vccnz .LBB24_1456
; %bb.1449:
	global_load_ubyte v14, v[8:9], off
	s_mov_b32 s7, 0
	s_mov_b32 s18, exec_lo
	s_waitcnt vmcnt(0)
	v_cmpx_lt_i16_e32 0x7f, v14
	s_xor_b32 s18, exec_lo, s18
	s_cbranch_execz .LBB24_1470
; %bb.1450:
	s_mov_b32 s7, -1
	s_mov_b32 s19, exec_lo
	v_cmpx_eq_u16_e32 0x80, v14
; %bb.1451:
	s_xor_b32 s7, exec_lo, -1
; %bb.1452:
	s_or_b32 exec_lo, exec_lo, s19
	s_and_b32 s7, s7, exec_lo
	s_or_saveexec_b32 s18, s18
	v_mov_b32_e32 v10, 0x7e00
	s_xor_b32 exec_lo, exec_lo, s18
	s_cbranch_execnz .LBB24_1471
.LBB24_1453:
	s_or_b32 exec_lo, exec_lo, s18
	s_and_saveexec_b32 s18, s7
	s_cbranch_execz .LBB24_1455
.LBB24_1454:
	v_and_b32_e32 v10, 0xffff, v14
	v_lshlrev_b32_e32 v14, 24, v14
	v_and_b32_e32 v15, 7, v10
	v_bfe_u32 v18, v10, 3, 4
	v_and_b32_e32 v14, 0x80000000, v14
	v_ffbh_u32_e32 v16, v15
	v_cmp_eq_u32_e32 vcc_lo, 0, v18
	v_min_u32_e32 v16, 32, v16
	v_subrev_nc_u32_e32 v17, 28, v16
	v_sub_nc_u32_e32 v16, 29, v16
	v_lshlrev_b32_e32 v10, v17, v10
	v_cndmask_b32_e32 v16, v18, v16, vcc_lo
	v_and_b32_e32 v10, 7, v10
	v_cndmask_b32_e32 v10, v15, v10, vcc_lo
	v_lshl_add_u32 v15, v16, 23, 0x3b800000
	v_lshlrev_b32_e32 v10, 20, v10
	v_or3_b32 v10, v14, v15, v10
	v_cvt_f16_f32_e32 v10, v10
.LBB24_1455:
	s_or_b32 exec_lo, exec_lo, s18
.LBB24_1456:
	s_mov_b32 s7, -1
.LBB24_1457:
	s_mov_b32 s18, 0
.LBB24_1458:
	s_and_b32 vcc_lo, exec_lo, s18
	s_cbranch_vccz .LBB24_1491
; %bb.1459:
	s_cmp_gt_i32 s4, 22
	s_cbranch_scc0 .LBB24_1469
; %bb.1460:
	s_cmp_lt_i32 s4, 24
	s_cbranch_scc1 .LBB24_1472
; %bb.1461:
	s_cmp_gt_i32 s4, 24
	s_cbranch_scc0 .LBB24_1473
; %bb.1462:
	global_load_ubyte v14, v[8:9], off
	s_mov_b32 s7, exec_lo
	s_waitcnt vmcnt(0)
	v_cmpx_lt_i16_e32 0x7f, v14
	s_xor_b32 s7, exec_lo, s7
	s_cbranch_execz .LBB24_1485
; %bb.1463:
	s_mov_b32 s6, -1
	s_mov_b32 s18, exec_lo
	v_cmpx_eq_u16_e32 0x80, v14
; %bb.1464:
	s_xor_b32 s6, exec_lo, -1
; %bb.1465:
	s_or_b32 exec_lo, exec_lo, s18
	s_and_b32 s6, s6, exec_lo
	s_or_saveexec_b32 s7, s7
	v_mov_b32_e32 v10, 0x7e00
	s_xor_b32 exec_lo, exec_lo, s7
	s_cbranch_execnz .LBB24_1486
.LBB24_1466:
	s_or_b32 exec_lo, exec_lo, s7
	s_and_saveexec_b32 s7, s6
	s_cbranch_execz .LBB24_1468
.LBB24_1467:
	v_and_b32_e32 v10, 0xffff, v14
	v_lshlrev_b32_e32 v14, 24, v14
	v_and_b32_e32 v15, 3, v10
	v_bfe_u32 v18, v10, 2, 5
	v_and_b32_e32 v14, 0x80000000, v14
	v_ffbh_u32_e32 v16, v15
	v_cmp_eq_u32_e32 vcc_lo, 0, v18
	v_min_u32_e32 v16, 32, v16
	v_subrev_nc_u32_e32 v17, 29, v16
	v_sub_nc_u32_e32 v16, 30, v16
	v_lshlrev_b32_e32 v10, v17, v10
	v_cndmask_b32_e32 v16, v18, v16, vcc_lo
	v_and_b32_e32 v10, 3, v10
	v_cndmask_b32_e32 v10, v15, v10, vcc_lo
	v_lshl_add_u32 v15, v16, 23, 0x37800000
	v_lshlrev_b32_e32 v10, 21, v10
	v_or3_b32 v10, v14, v15, v10
	v_cvt_f16_f32_e32 v10, v10
.LBB24_1468:
	s_or_b32 exec_lo, exec_lo, s7
	s_mov_b32 s6, 0
	s_branch .LBB24_1474
.LBB24_1469:
	s_mov_b32 s6, -1
                                        ; implicit-def: $vgpr10
	s_branch .LBB24_1480
.LBB24_1470:
	s_or_saveexec_b32 s18, s18
	v_mov_b32_e32 v10, 0x7e00
	s_xor_b32 exec_lo, exec_lo, s18
	s_cbranch_execz .LBB24_1453
.LBB24_1471:
	v_cmp_ne_u16_e32 vcc_lo, 0, v14
	v_mov_b32_e32 v10, v14
	s_andn2_b32 s7, s7, exec_lo
	s_and_b32 s19, vcc_lo, exec_lo
	s_or_b32 s7, s7, s19
	s_or_b32 exec_lo, exec_lo, s18
	s_and_saveexec_b32 s18, s7
	s_cbranch_execnz .LBB24_1454
	s_branch .LBB24_1455
.LBB24_1472:
	s_mov_b32 s6, -1
                                        ; implicit-def: $vgpr10
	s_branch .LBB24_1477
.LBB24_1473:
	s_mov_b32 s6, -1
                                        ; implicit-def: $vgpr10
.LBB24_1474:
	s_and_b32 vcc_lo, exec_lo, s6
	s_cbranch_vccz .LBB24_1476
; %bb.1475:
	global_load_ubyte v10, v[8:9], off
	s_waitcnt vmcnt(0)
	v_lshlrev_b32_e32 v10, 24, v10
	v_and_b32_e32 v14, 0x7f000000, v10
	v_ffbh_u32_e32 v15, v14
	v_add_nc_u32_e32 v17, 0x1000000, v14
	v_cmp_ne_u32_e32 vcc_lo, 0, v14
	v_min_u32_e32 v15, 32, v15
	v_sub_nc_u32_e64 v15, v15, 4 clamp
	v_lshlrev_b32_e32 v16, v15, v14
	v_lshlrev_b32_e32 v15, 23, v15
	v_lshrrev_b32_e32 v16, 4, v16
	v_sub_nc_u32_e32 v15, v16, v15
	v_ashrrev_i32_e32 v16, 8, v17
	v_add_nc_u32_e32 v15, 0x3c000000, v15
	v_and_or_b32 v15, 0x7f800000, v16, v15
	v_cndmask_b32_e32 v14, 0, v15, vcc_lo
	v_and_or_b32 v10, 0x80000000, v10, v14
	v_cvt_f16_f32_e32 v10, v10
.LBB24_1476:
	s_mov_b32 s6, 0
.LBB24_1477:
	s_andn2_b32 vcc_lo, exec_lo, s6
	s_cbranch_vccnz .LBB24_1479
; %bb.1478:
	global_load_ubyte v10, v[8:9], off
	s_waitcnt vmcnt(0)
	v_lshlrev_b32_e32 v14, 25, v10
	v_lshlrev_b16 v10, 8, v10
	v_lshrrev_b32_e32 v15, 4, v14
	v_and_or_b32 v16, 0x7f00, v10, 0.5
	v_cmp_gt_u32_e32 vcc_lo, 0x8000000, v14
	v_bfe_i32 v10, v10, 0, 16
	v_or_b32_e32 v15, 0x70000000, v15
	v_add_f32_e32 v16, -0.5, v16
	v_mul_f32_e32 v15, 0x7800000, v15
	v_cndmask_b32_e32 v14, v15, v16, vcc_lo
	v_and_or_b32 v10, 0x80000000, v10, v14
	v_cvt_f16_f32_e32 v10, v10
.LBB24_1479:
	s_mov_b32 s6, 0
	s_mov_b32 s7, -1
.LBB24_1480:
	s_andn2_b32 vcc_lo, exec_lo, s6
	s_mov_b32 s6, 0
	s_cbranch_vccnz .LBB24_1491
; %bb.1481:
	s_cmp_gt_i32 s4, 14
	s_cbranch_scc0 .LBB24_1484
; %bb.1482:
	s_cmp_eq_u32 s4, 15
	s_cbranch_scc0 .LBB24_1487
; %bb.1483:
	global_load_ushort v10, v[8:9], off
	s_mov_b32 s5, 0
	s_mov_b32 s7, -1
	s_waitcnt vmcnt(0)
	v_lshlrev_b32_e32 v10, 16, v10
	v_cvt_f16_f32_e32 v10, v10
	s_branch .LBB24_1489
.LBB24_1484:
	s_mov_b32 s6, -1
	s_branch .LBB24_1488
.LBB24_1485:
	s_or_saveexec_b32 s7, s7
	v_mov_b32_e32 v10, 0x7e00
	s_xor_b32 exec_lo, exec_lo, s7
	s_cbranch_execz .LBB24_1466
.LBB24_1486:
	v_cmp_ne_u16_e32 vcc_lo, 0, v14
	v_mov_b32_e32 v10, v14
	s_andn2_b32 s6, s6, exec_lo
	s_and_b32 s18, vcc_lo, exec_lo
	s_or_b32 s6, s6, s18
	s_or_b32 exec_lo, exec_lo, s7
	s_and_saveexec_b32 s7, s6
	s_cbranch_execnz .LBB24_1467
	s_branch .LBB24_1468
.LBB24_1487:
	s_mov_b32 s5, -1
.LBB24_1488:
                                        ; implicit-def: $vgpr10
.LBB24_1489:
	s_and_b32 vcc_lo, exec_lo, s6
	s_mov_b32 s6, 0
	s_cbranch_vccz .LBB24_1491
; %bb.1490:
	s_cmp_lg_u32 s4, 11
	s_mov_b32 s6, -1
	s_cselect_b32 s5, -1, 0
.LBB24_1491:
	s_and_b32 vcc_lo, exec_lo, s5
	s_cbranch_vccnz .LBB24_1556
; %bb.1492:
	s_andn2_b32 vcc_lo, exec_lo, s6
	s_cbranch_vccnz .LBB24_1494
.LBB24_1493:
	global_load_ubyte v10, v[8:9], off
	s_mov_b32 s7, -1
	s_waitcnt vmcnt(0)
	v_cmp_ne_u16_e32 vcc_lo, 0, v10
	v_cndmask_b32_e64 v10, 0, 0x3c00, vcc_lo
.LBB24_1494:
	s_branch .LBB24_1421
.LBB24_1495:
	s_and_b32 s4, 0xffff, s0
	s_cmp_lt_i32 s4, 5
	s_cbranch_scc1 .LBB24_1500
; %bb.1496:
	s_cmp_lt_i32 s4, 8
	s_cbranch_scc1 .LBB24_1501
; %bb.1497:
	;; [unrolled: 3-line block ×3, first 2 shown]
	s_cmp_gt_i32 s4, 9
	s_cbranch_scc0 .LBB24_1503
; %bb.1499:
	global_load_dwordx2 v[14:15], v[8:9], off
	s_mov_b32 s5, 0
	s_waitcnt vmcnt(0)
	v_and_or_b32 v10, 0x1ff, v15, v14
	v_lshrrev_b32_e32 v14, 8, v15
	v_bfe_u32 v16, v15, 20, 11
	v_cmp_ne_u32_e32 vcc_lo, 0, v10
	v_sub_nc_u32_e32 v17, 0x3f1, v16
	v_add_nc_u32_e32 v16, 0xfffffc10, v16
	v_cndmask_b32_e64 v10, 0, 1, vcc_lo
	v_and_or_b32 v10, 0xffe, v14, v10
	v_med3_i32 v14, v17, 0, 13
	v_or_b32_e32 v17, 0x1000, v10
	v_lshrrev_b32_e32 v18, v14, v17
	v_lshlrev_b32_e32 v14, v14, v18
	v_cmp_ne_u32_e32 vcc_lo, v14, v17
	v_lshl_or_b32 v17, v16, 12, v10
	v_cndmask_b32_e64 v14, 0, 1, vcc_lo
	v_cmp_gt_i32_e32 vcc_lo, 1, v16
	v_or_b32_e32 v14, v18, v14
	v_cndmask_b32_e32 v14, v17, v14, vcc_lo
	v_and_b32_e32 v17, 7, v14
	v_lshrrev_b32_e32 v14, 2, v14
	v_cmp_lt_i32_e32 vcc_lo, 5, v17
	v_cndmask_b32_e64 v18, 0, 1, vcc_lo
	v_cmp_eq_u32_e32 vcc_lo, 3, v17
	v_cndmask_b32_e64 v17, 0, 1, vcc_lo
	v_cmp_ne_u32_e32 vcc_lo, 0, v10
	v_or_b32_e32 v17, v17, v18
	v_mov_b32_e32 v18, 0x7e00
	v_add_nc_u32_e32 v14, v14, v17
	v_cndmask_b32_e32 v10, 0x7c00, v18, vcc_lo
	v_cmp_gt_i32_e32 vcc_lo, 31, v16
	v_cndmask_b32_e32 v14, 0x7c00, v14, vcc_lo
	v_cmp_eq_u32_e32 vcc_lo, 0x40f, v16
	v_cndmask_b32_e32 v10, v14, v10, vcc_lo
	v_lshrrev_b32_e32 v14, 16, v15
	v_and_or_b32 v10, 0x8000, v14, v10
	s_branch .LBB24_1504
.LBB24_1500:
	s_mov_b32 s5, -1
                                        ; implicit-def: $vgpr10
	s_branch .LBB24_1522
.LBB24_1501:
	s_mov_b32 s5, -1
                                        ; implicit-def: $vgpr10
	s_branch .LBB24_1510
.LBB24_1502:
	s_mov_b32 s5, -1
                                        ; implicit-def: $vgpr10
	s_branch .LBB24_1507
.LBB24_1503:
	s_mov_b32 s5, -1
                                        ; implicit-def: $vgpr10
.LBB24_1504:
	s_andn2_b32 vcc_lo, exec_lo, s5
	s_cbranch_vccnz .LBB24_1506
; %bb.1505:
	global_load_dword v10, v[8:9], off
	s_waitcnt vmcnt(0)
	v_cvt_f16_f32_e32 v10, v10
.LBB24_1506:
	s_mov_b32 s5, 0
.LBB24_1507:
	s_andn2_b32 vcc_lo, exec_lo, s5
	s_cbranch_vccnz .LBB24_1509
; %bb.1508:
	global_load_dword v10, v[8:9], off
.LBB24_1509:
	s_mov_b32 s5, 0
.LBB24_1510:
	s_andn2_b32 vcc_lo, exec_lo, s5
	s_cbranch_vccnz .LBB24_1521
; %bb.1511:
	s_cmp_lt_i32 s4, 6
	s_cbranch_scc1 .LBB24_1514
; %bb.1512:
	s_cmp_gt_i32 s4, 6
	s_cbranch_scc0 .LBB24_1515
; %bb.1513:
	global_load_dwordx2 v[14:15], v[8:9], off
	s_mov_b32 s5, 0
	s_waitcnt vmcnt(0)
	v_and_or_b32 v10, 0x1ff, v15, v14
	v_lshrrev_b32_e32 v14, 8, v15
	v_bfe_u32 v16, v15, 20, 11
	v_cmp_ne_u32_e32 vcc_lo, 0, v10
	v_sub_nc_u32_e32 v17, 0x3f1, v16
	v_add_nc_u32_e32 v16, 0xfffffc10, v16
	v_cndmask_b32_e64 v10, 0, 1, vcc_lo
	v_and_or_b32 v10, 0xffe, v14, v10
	v_med3_i32 v14, v17, 0, 13
	v_or_b32_e32 v17, 0x1000, v10
	v_lshrrev_b32_e32 v18, v14, v17
	v_lshlrev_b32_e32 v14, v14, v18
	v_cmp_ne_u32_e32 vcc_lo, v14, v17
	v_lshl_or_b32 v17, v16, 12, v10
	v_cndmask_b32_e64 v14, 0, 1, vcc_lo
	v_cmp_gt_i32_e32 vcc_lo, 1, v16
	v_or_b32_e32 v14, v18, v14
	v_cndmask_b32_e32 v14, v17, v14, vcc_lo
	v_and_b32_e32 v17, 7, v14
	v_lshrrev_b32_e32 v14, 2, v14
	v_cmp_lt_i32_e32 vcc_lo, 5, v17
	v_cndmask_b32_e64 v18, 0, 1, vcc_lo
	v_cmp_eq_u32_e32 vcc_lo, 3, v17
	v_cndmask_b32_e64 v17, 0, 1, vcc_lo
	v_cmp_ne_u32_e32 vcc_lo, 0, v10
	v_or_b32_e32 v17, v17, v18
	v_mov_b32_e32 v18, 0x7e00
	v_add_nc_u32_e32 v14, v14, v17
	v_cndmask_b32_e32 v10, 0x7c00, v18, vcc_lo
	v_cmp_gt_i32_e32 vcc_lo, 31, v16
	v_cndmask_b32_e32 v14, 0x7c00, v14, vcc_lo
	v_cmp_eq_u32_e32 vcc_lo, 0x40f, v16
	v_cndmask_b32_e32 v10, v14, v10, vcc_lo
	v_lshrrev_b32_e32 v14, 16, v15
	v_and_or_b32 v10, 0x8000, v14, v10
	s_branch .LBB24_1516
.LBB24_1514:
	s_mov_b32 s5, -1
                                        ; implicit-def: $vgpr10
	s_branch .LBB24_1519
.LBB24_1515:
	s_mov_b32 s5, -1
                                        ; implicit-def: $vgpr10
.LBB24_1516:
	s_andn2_b32 vcc_lo, exec_lo, s5
	s_cbranch_vccnz .LBB24_1518
; %bb.1517:
	global_load_dword v10, v[8:9], off
	s_waitcnt vmcnt(0)
	v_cvt_f16_f32_e32 v10, v10
.LBB24_1518:
	s_mov_b32 s5, 0
.LBB24_1519:
	s_andn2_b32 vcc_lo, exec_lo, s5
	s_cbranch_vccnz .LBB24_1521
; %bb.1520:
	global_load_ushort v10, v[8:9], off
.LBB24_1521:
	s_mov_b32 s5, 0
.LBB24_1522:
	s_andn2_b32 vcc_lo, exec_lo, s5
	s_cbranch_vccnz .LBB24_1542
; %bb.1523:
	s_cmp_lt_i32 s4, 2
	s_cbranch_scc1 .LBB24_1527
; %bb.1524:
	s_cmp_lt_i32 s4, 3
	s_cbranch_scc1 .LBB24_1528
; %bb.1525:
	s_cmp_gt_i32 s4, 3
	s_cbranch_scc0 .LBB24_1529
; %bb.1526:
	global_load_dwordx2 v[14:15], v[8:9], off
	s_mov_b32 s5, 0
	s_waitcnt vmcnt(0)
	v_xor_b32_e32 v10, v14, v15
	v_ffbh_i32_e32 v16, v15
	v_ashrrev_i32_e32 v10, 31, v10
	v_add_nc_u32_e32 v16, -1, v16
	v_add_nc_u32_e32 v10, 32, v10
	v_min_u32_e32 v10, v16, v10
	v_lshlrev_b64 v[14:15], v10, v[14:15]
	v_sub_nc_u32_e32 v10, 32, v10
	v_min_u32_e32 v14, 1, v14
	v_or_b32_e32 v14, v15, v14
	v_cvt_f32_i32_e32 v14, v14
	v_ldexp_f32 v10, v14, v10
	v_cvt_f16_f32_e32 v10, v10
	s_branch .LBB24_1530
.LBB24_1527:
	s_mov_b32 s5, -1
                                        ; implicit-def: $vgpr10
	s_branch .LBB24_1536
.LBB24_1528:
	s_mov_b32 s5, -1
                                        ; implicit-def: $vgpr10
	s_branch .LBB24_1533
.LBB24_1529:
	s_mov_b32 s5, -1
                                        ; implicit-def: $vgpr10
.LBB24_1530:
	s_andn2_b32 vcc_lo, exec_lo, s5
	s_cbranch_vccnz .LBB24_1532
; %bb.1531:
	global_load_dword v10, v[8:9], off
	s_waitcnt vmcnt(0)
	v_cvt_f32_i32_e32 v10, v10
	v_cvt_f16_f32_e32 v10, v10
.LBB24_1532:
	s_mov_b32 s5, 0
.LBB24_1533:
	s_andn2_b32 vcc_lo, exec_lo, s5
	s_cbranch_vccnz .LBB24_1535
; %bb.1534:
	global_load_ushort v10, v[8:9], off
	s_waitcnt vmcnt(0)
	v_cvt_f16_i16_e32 v10, v10
.LBB24_1535:
	s_mov_b32 s5, 0
.LBB24_1536:
	s_andn2_b32 vcc_lo, exec_lo, s5
	s_cbranch_vccnz .LBB24_1542
; %bb.1537:
	s_cmp_gt_i32 s4, 0
	s_mov_b32 s4, 0
	s_cbranch_scc0 .LBB24_1539
; %bb.1538:
	global_load_sbyte v10, v[8:9], off
	s_waitcnt vmcnt(0)
	v_cvt_f16_i16_e32 v10, v10
	s_branch .LBB24_1540
.LBB24_1539:
	s_mov_b32 s4, -1
                                        ; implicit-def: $vgpr10
.LBB24_1540:
	s_andn2_b32 vcc_lo, exec_lo, s4
	s_cbranch_vccnz .LBB24_1542
; %bb.1541:
	global_load_ubyte v8, v[8:9], off
	s_waitcnt vmcnt(0)
	v_cvt_f16_u16_e32 v10, v8
.LBB24_1542:
.LBB24_1543:
	s_waitcnt vmcnt(0)
	v_cvt_f32_f16_e32 v14, v10
	v_mov_b32_e32 v15, v13
	s_mov_b32 s4, exec_lo
	v_cmpx_nlg_f32_e64 0x7f800000, |v14|
	s_cbranch_execz .LBB24_1545
; %bb.1544:
	v_mov_b32_e32 v8, 0
	v_mov_b32_e32 v9, 1.0
	global_store_dword v8, v9, s[12:13]
	global_load_dword v15, v8, s[14:15]
.LBB24_1545:
	s_or_b32 exec_lo, exec_lo, s4
	v_add_co_u32 v7, s4, s10, v7
	v_add_co_ci_u32_e64 v8, null, s11, 0, s4
	s_cmp_lt_i32 s0, 11
	s_cbranch_scc1 .LBB24_1552
; %bb.1546:
	s_and_b32 s4, 0xffff, s0
	s_mov_b32 s6, 0
	s_cmp_gt_i32 s4, 25
	s_cbranch_scc0 .LBB24_1553
; %bb.1547:
	s_cmp_gt_i32 s4, 28
	s_cbranch_scc0 .LBB24_1554
; %bb.1548:
	;; [unrolled: 3-line block ×4, first 2 shown]
	s_cmp_eq_u32 s4, 46
	s_mov_b32 s10, 0
	s_cbranch_scc0 .LBB24_1558
; %bb.1551:
	global_load_dword v9, v[7:8], off
	s_mov_b32 s5, 0
	s_mov_b32 s7, -1
	s_waitcnt vmcnt(0)
	v_lshlrev_b32_e32 v9, 16, v9
	v_cvt_f16_f32_e32 v9, v9
	s_branch .LBB24_1560
.LBB24_1552:
	s_mov_b32 s4, -1
	s_mov_b32 s7, 0
                                        ; implicit-def: $vgpr9
	s_branch .LBB24_1626
.LBB24_1553:
	s_mov_b32 s10, -1
	s_mov_b32 s7, 0
	s_mov_b32 s5, 0
                                        ; implicit-def: $vgpr9
	s_branch .LBB24_1589
.LBB24_1554:
	s_mov_b32 s10, -1
	s_mov_b32 s7, 0
	s_mov_b32 s5, 0
                                        ; implicit-def: $vgpr9
	s_branch .LBB24_1570
.LBB24_1555:
	s_mov_b32 s10, -1
	s_mov_b32 s7, 0
	s_mov_b32 s5, 0
                                        ; implicit-def: $vgpr9
	s_branch .LBB24_1565
.LBB24_1556:
	s_or_b32 s1, s1, exec_lo
	s_trap 2
	s_cbranch_execz .LBB24_1493
	s_branch .LBB24_1494
.LBB24_1557:
	s_mov_b32 s10, -1
	s_mov_b32 s7, 0
	s_mov_b32 s5, 0
	s_branch .LBB24_1559
.LBB24_1558:
	s_mov_b32 s5, -1
	s_mov_b32 s7, 0
.LBB24_1559:
                                        ; implicit-def: $vgpr9
.LBB24_1560:
	s_and_b32 vcc_lo, exec_lo, s10
	s_cbranch_vccz .LBB24_1564
; %bb.1561:
	s_cmp_eq_u32 s4, 44
	s_cbranch_scc0 .LBB24_1563
; %bb.1562:
	global_load_ubyte v9, v[7:8], off
	s_mov_b32 s5, 0
	s_mov_b32 s7, -1
	s_waitcnt vmcnt(0)
	v_lshlrev_b32_e32 v16, 23, v9
	v_cmp_ne_u32_e32 vcc_lo, 0xff, v9
	v_cvt_f16_f32_e32 v16, v16
	v_cndmask_b32_e32 v16, 0x7e00, v16, vcc_lo
	v_cmp_ne_u32_e32 vcc_lo, 0, v9
	v_cndmask_b32_e32 v9, 0, v16, vcc_lo
	s_branch .LBB24_1564
.LBB24_1563:
	s_mov_b32 s5, -1
                                        ; implicit-def: $vgpr9
.LBB24_1564:
	s_mov_b32 s10, 0
.LBB24_1565:
	s_and_b32 vcc_lo, exec_lo, s10
	s_cbranch_vccz .LBB24_1569
; %bb.1566:
	s_cmp_eq_u32 s4, 29
	s_cbranch_scc0 .LBB24_1568
; %bb.1567:
	global_load_dwordx2 v[16:17], v[7:8], off
	s_mov_b32 s5, 0
	s_mov_b32 s7, -1
	s_mov_b32 s10, 0
	s_waitcnt vmcnt(0)
	v_ffbh_u32_e32 v9, v17
	v_min_u32_e32 v9, 32, v9
	v_lshlrev_b64 v[16:17], v9, v[16:17]
	v_sub_nc_u32_e32 v9, 32, v9
	v_min_u32_e32 v16, 1, v16
	v_or_b32_e32 v16, v17, v16
	v_cvt_f32_u32_e32 v16, v16
	v_ldexp_f32 v9, v16, v9
	v_cvt_f16_f32_e32 v9, v9
	s_branch .LBB24_1570
.LBB24_1568:
	s_mov_b32 s5, -1
                                        ; implicit-def: $vgpr9
.LBB24_1569:
	s_mov_b32 s10, 0
.LBB24_1570:
	s_and_b32 vcc_lo, exec_lo, s10
	s_cbranch_vccz .LBB24_1588
; %bb.1571:
	s_cmp_lt_i32 s4, 27
	s_cbranch_scc1 .LBB24_1574
; %bb.1572:
	s_cmp_gt_i32 s4, 27
	s_cbranch_scc0 .LBB24_1575
; %bb.1573:
	global_load_dword v9, v[7:8], off
	s_mov_b32 s7, 0
	s_waitcnt vmcnt(0)
	v_cvt_f32_u32_e32 v9, v9
	v_cvt_f16_f32_e32 v9, v9
	s_branch .LBB24_1576
.LBB24_1574:
	s_mov_b32 s7, -1
                                        ; implicit-def: $vgpr9
	s_branch .LBB24_1579
.LBB24_1575:
	s_mov_b32 s7, -1
                                        ; implicit-def: $vgpr9
.LBB24_1576:
	s_andn2_b32 vcc_lo, exec_lo, s7
	s_cbranch_vccnz .LBB24_1578
; %bb.1577:
	global_load_ushort v9, v[7:8], off
	s_waitcnt vmcnt(0)
	v_cvt_f16_u16_e32 v9, v9
.LBB24_1578:
	s_mov_b32 s7, 0
.LBB24_1579:
	s_andn2_b32 vcc_lo, exec_lo, s7
	s_cbranch_vccnz .LBB24_1587
; %bb.1580:
	global_load_ubyte v16, v[7:8], off
	s_mov_b32 s7, 0
	s_mov_b32 s10, exec_lo
	s_waitcnt vmcnt(0)
	v_cmpx_lt_i16_e32 0x7f, v16
	s_xor_b32 s10, exec_lo, s10
	s_cbranch_execz .LBB24_1601
; %bb.1581:
	s_mov_b32 s7, -1
	s_mov_b32 s11, exec_lo
	v_cmpx_eq_u16_e32 0x80, v16
; %bb.1582:
	s_xor_b32 s7, exec_lo, -1
; %bb.1583:
	s_or_b32 exec_lo, exec_lo, s11
	s_and_b32 s7, s7, exec_lo
	s_or_saveexec_b32 s10, s10
	v_mov_b32_e32 v9, 0x7e00
	s_xor_b32 exec_lo, exec_lo, s10
	s_cbranch_execnz .LBB24_1602
.LBB24_1584:
	s_or_b32 exec_lo, exec_lo, s10
	s_and_saveexec_b32 s10, s7
	s_cbranch_execz .LBB24_1586
.LBB24_1585:
	v_and_b32_e32 v9, 0xffff, v16
	v_lshlrev_b32_e32 v16, 24, v16
	v_and_b32_e32 v17, 7, v9
	v_bfe_u32 v20, v9, 3, 4
	v_and_b32_e32 v16, 0x80000000, v16
	v_ffbh_u32_e32 v18, v17
	v_cmp_eq_u32_e32 vcc_lo, 0, v20
	v_min_u32_e32 v18, 32, v18
	v_subrev_nc_u32_e32 v19, 28, v18
	v_sub_nc_u32_e32 v18, 29, v18
	v_lshlrev_b32_e32 v9, v19, v9
	v_cndmask_b32_e32 v18, v20, v18, vcc_lo
	v_and_b32_e32 v9, 7, v9
	v_cndmask_b32_e32 v9, v17, v9, vcc_lo
	v_lshl_add_u32 v17, v18, 23, 0x3b800000
	v_lshlrev_b32_e32 v9, 20, v9
	v_or3_b32 v9, v16, v17, v9
	v_cvt_f16_f32_e32 v9, v9
.LBB24_1586:
	s_or_b32 exec_lo, exec_lo, s10
.LBB24_1587:
	s_mov_b32 s7, -1
.LBB24_1588:
	s_mov_b32 s10, 0
.LBB24_1589:
	s_and_b32 vcc_lo, exec_lo, s10
	s_cbranch_vccz .LBB24_1622
; %bb.1590:
	s_cmp_gt_i32 s4, 22
	s_cbranch_scc0 .LBB24_1600
; %bb.1591:
	s_cmp_lt_i32 s4, 24
	s_cbranch_scc1 .LBB24_1603
; %bb.1592:
	s_cmp_gt_i32 s4, 24
	s_cbranch_scc0 .LBB24_1604
; %bb.1593:
	global_load_ubyte v16, v[7:8], off
	s_mov_b32 s7, exec_lo
	s_waitcnt vmcnt(0)
	v_cmpx_lt_i16_e32 0x7f, v16
	s_xor_b32 s7, exec_lo, s7
	s_cbranch_execz .LBB24_1616
; %bb.1594:
	s_mov_b32 s6, -1
	s_mov_b32 s10, exec_lo
	v_cmpx_eq_u16_e32 0x80, v16
; %bb.1595:
	s_xor_b32 s6, exec_lo, -1
; %bb.1596:
	s_or_b32 exec_lo, exec_lo, s10
	s_and_b32 s6, s6, exec_lo
	s_or_saveexec_b32 s7, s7
	v_mov_b32_e32 v9, 0x7e00
	s_xor_b32 exec_lo, exec_lo, s7
	s_cbranch_execnz .LBB24_1617
.LBB24_1597:
	s_or_b32 exec_lo, exec_lo, s7
	s_and_saveexec_b32 s7, s6
	s_cbranch_execz .LBB24_1599
.LBB24_1598:
	v_and_b32_e32 v9, 0xffff, v16
	v_lshlrev_b32_e32 v16, 24, v16
	v_and_b32_e32 v17, 3, v9
	v_bfe_u32 v20, v9, 2, 5
	v_and_b32_e32 v16, 0x80000000, v16
	v_ffbh_u32_e32 v18, v17
	v_cmp_eq_u32_e32 vcc_lo, 0, v20
	v_min_u32_e32 v18, 32, v18
	v_subrev_nc_u32_e32 v19, 29, v18
	v_sub_nc_u32_e32 v18, 30, v18
	v_lshlrev_b32_e32 v9, v19, v9
	v_cndmask_b32_e32 v18, v20, v18, vcc_lo
	v_and_b32_e32 v9, 3, v9
	v_cndmask_b32_e32 v9, v17, v9, vcc_lo
	v_lshl_add_u32 v17, v18, 23, 0x37800000
	v_lshlrev_b32_e32 v9, 21, v9
	v_or3_b32 v9, v16, v17, v9
	v_cvt_f16_f32_e32 v9, v9
.LBB24_1599:
	s_or_b32 exec_lo, exec_lo, s7
	s_mov_b32 s6, 0
	s_branch .LBB24_1605
.LBB24_1600:
	s_mov_b32 s6, -1
                                        ; implicit-def: $vgpr9
	s_branch .LBB24_1611
.LBB24_1601:
	s_or_saveexec_b32 s10, s10
	v_mov_b32_e32 v9, 0x7e00
	s_xor_b32 exec_lo, exec_lo, s10
	s_cbranch_execz .LBB24_1584
.LBB24_1602:
	v_cmp_ne_u16_e32 vcc_lo, 0, v16
	v_mov_b32_e32 v9, v16
	s_andn2_b32 s7, s7, exec_lo
	s_and_b32 s11, vcc_lo, exec_lo
	s_or_b32 s7, s7, s11
	s_or_b32 exec_lo, exec_lo, s10
	s_and_saveexec_b32 s10, s7
	s_cbranch_execnz .LBB24_1585
	s_branch .LBB24_1586
.LBB24_1603:
	s_mov_b32 s6, -1
                                        ; implicit-def: $vgpr9
	s_branch .LBB24_1608
.LBB24_1604:
	s_mov_b32 s6, -1
                                        ; implicit-def: $vgpr9
.LBB24_1605:
	s_and_b32 vcc_lo, exec_lo, s6
	s_cbranch_vccz .LBB24_1607
; %bb.1606:
	global_load_ubyte v9, v[7:8], off
	s_waitcnt vmcnt(0)
	v_lshlrev_b32_e32 v9, 24, v9
	v_and_b32_e32 v16, 0x7f000000, v9
	v_ffbh_u32_e32 v17, v16
	v_add_nc_u32_e32 v19, 0x1000000, v16
	v_cmp_ne_u32_e32 vcc_lo, 0, v16
	v_min_u32_e32 v17, 32, v17
	v_sub_nc_u32_e64 v17, v17, 4 clamp
	v_lshlrev_b32_e32 v18, v17, v16
	v_lshlrev_b32_e32 v17, 23, v17
	v_lshrrev_b32_e32 v18, 4, v18
	v_sub_nc_u32_e32 v17, v18, v17
	v_ashrrev_i32_e32 v18, 8, v19
	v_add_nc_u32_e32 v17, 0x3c000000, v17
	v_and_or_b32 v17, 0x7f800000, v18, v17
	v_cndmask_b32_e32 v16, 0, v17, vcc_lo
	v_and_or_b32 v9, 0x80000000, v9, v16
	v_cvt_f16_f32_e32 v9, v9
.LBB24_1607:
	s_mov_b32 s6, 0
.LBB24_1608:
	s_andn2_b32 vcc_lo, exec_lo, s6
	s_cbranch_vccnz .LBB24_1610
; %bb.1609:
	global_load_ubyte v9, v[7:8], off
	s_waitcnt vmcnt(0)
	v_lshlrev_b32_e32 v16, 25, v9
	v_lshlrev_b16 v9, 8, v9
	v_lshrrev_b32_e32 v17, 4, v16
	v_and_or_b32 v18, 0x7f00, v9, 0.5
	v_cmp_gt_u32_e32 vcc_lo, 0x8000000, v16
	v_bfe_i32 v9, v9, 0, 16
	v_or_b32_e32 v17, 0x70000000, v17
	v_add_f32_e32 v18, -0.5, v18
	v_mul_f32_e32 v17, 0x7800000, v17
	v_cndmask_b32_e32 v16, v17, v18, vcc_lo
	v_and_or_b32 v9, 0x80000000, v9, v16
	v_cvt_f16_f32_e32 v9, v9
.LBB24_1610:
	s_mov_b32 s6, 0
	s_mov_b32 s7, -1
.LBB24_1611:
	s_andn2_b32 vcc_lo, exec_lo, s6
	s_mov_b32 s6, 0
	s_cbranch_vccnz .LBB24_1622
; %bb.1612:
	s_cmp_gt_i32 s4, 14
	s_cbranch_scc0 .LBB24_1615
; %bb.1613:
	s_cmp_eq_u32 s4, 15
	s_cbranch_scc0 .LBB24_1618
; %bb.1614:
	global_load_ushort v9, v[7:8], off
	s_mov_b32 s5, 0
	s_mov_b32 s7, -1
	s_waitcnt vmcnt(0)
	v_lshlrev_b32_e32 v9, 16, v9
	v_cvt_f16_f32_e32 v9, v9
	s_branch .LBB24_1620
.LBB24_1615:
	s_mov_b32 s6, -1
	s_branch .LBB24_1619
.LBB24_1616:
	s_or_saveexec_b32 s7, s7
	v_mov_b32_e32 v9, 0x7e00
	s_xor_b32 exec_lo, exec_lo, s7
	s_cbranch_execz .LBB24_1597
.LBB24_1617:
	v_cmp_ne_u16_e32 vcc_lo, 0, v16
	v_mov_b32_e32 v9, v16
	s_andn2_b32 s6, s6, exec_lo
	s_and_b32 s10, vcc_lo, exec_lo
	s_or_b32 s6, s6, s10
	s_or_b32 exec_lo, exec_lo, s7
	s_and_saveexec_b32 s7, s6
	s_cbranch_execnz .LBB24_1598
	s_branch .LBB24_1599
.LBB24_1618:
	s_mov_b32 s5, -1
.LBB24_1619:
                                        ; implicit-def: $vgpr9
.LBB24_1620:
	s_and_b32 vcc_lo, exec_lo, s6
	s_mov_b32 s6, 0
	s_cbranch_vccz .LBB24_1622
; %bb.1621:
	s_cmp_lg_u32 s4, 11
	s_mov_b32 s6, -1
	s_cselect_b32 s5, -1, 0
.LBB24_1622:
	s_and_b32 vcc_lo, exec_lo, s5
	s_cbranch_vccnz .LBB24_2157
; %bb.1623:
	s_andn2_b32 vcc_lo, exec_lo, s6
	s_cbranch_vccnz .LBB24_1625
.LBB24_1624:
	global_load_ubyte v9, v[7:8], off
	s_mov_b32 s7, -1
	s_waitcnt vmcnt(0)
	v_cmp_ne_u16_e32 vcc_lo, 0, v9
	v_cndmask_b32_e64 v9, 0, 0x3c00, vcc_lo
.LBB24_1625:
	s_mov_b32 s4, 0
.LBB24_1626:
	s_and_b32 vcc_lo, exec_lo, s4
	s_cbranch_vccz .LBB24_1675
; %bb.1627:
	s_and_b32 s0, 0xffff, s0
	s_cmp_lt_i32 s0, 5
	s_cbranch_scc1 .LBB24_1632
; %bb.1628:
	s_cmp_lt_i32 s0, 8
	s_cbranch_scc1 .LBB24_1633
; %bb.1629:
	;; [unrolled: 3-line block ×3, first 2 shown]
	s_cmp_gt_i32 s0, 9
	s_cbranch_scc0 .LBB24_1635
; %bb.1631:
	global_load_dwordx2 v[16:17], v[7:8], off
	s_mov_b32 s4, 0
	s_waitcnt vmcnt(0)
	v_and_or_b32 v9, 0x1ff, v17, v16
	v_lshrrev_b32_e32 v16, 8, v17
	v_bfe_u32 v18, v17, 20, 11
	v_cmp_ne_u32_e32 vcc_lo, 0, v9
	v_sub_nc_u32_e32 v19, 0x3f1, v18
	v_add_nc_u32_e32 v18, 0xfffffc10, v18
	v_cndmask_b32_e64 v9, 0, 1, vcc_lo
	v_and_or_b32 v9, 0xffe, v16, v9
	v_med3_i32 v16, v19, 0, 13
	v_or_b32_e32 v19, 0x1000, v9
	v_lshrrev_b32_e32 v20, v16, v19
	v_lshlrev_b32_e32 v16, v16, v20
	v_cmp_ne_u32_e32 vcc_lo, v16, v19
	v_lshl_or_b32 v19, v18, 12, v9
	v_cndmask_b32_e64 v16, 0, 1, vcc_lo
	v_cmp_gt_i32_e32 vcc_lo, 1, v18
	v_or_b32_e32 v16, v20, v16
	v_cndmask_b32_e32 v16, v19, v16, vcc_lo
	v_and_b32_e32 v19, 7, v16
	v_lshrrev_b32_e32 v16, 2, v16
	v_cmp_lt_i32_e32 vcc_lo, 5, v19
	v_cndmask_b32_e64 v20, 0, 1, vcc_lo
	v_cmp_eq_u32_e32 vcc_lo, 3, v19
	v_cndmask_b32_e64 v19, 0, 1, vcc_lo
	v_cmp_ne_u32_e32 vcc_lo, 0, v9
	v_or_b32_e32 v19, v19, v20
	v_mov_b32_e32 v20, 0x7e00
	v_add_nc_u32_e32 v16, v16, v19
	v_cndmask_b32_e32 v9, 0x7c00, v20, vcc_lo
	v_cmp_gt_i32_e32 vcc_lo, 31, v18
	v_cndmask_b32_e32 v16, 0x7c00, v16, vcc_lo
	v_cmp_eq_u32_e32 vcc_lo, 0x40f, v18
	v_cndmask_b32_e32 v9, v16, v9, vcc_lo
	v_lshrrev_b32_e32 v16, 16, v17
	v_and_or_b32 v9, 0x8000, v16, v9
	s_branch .LBB24_1636
.LBB24_1632:
	s_mov_b32 s4, -1
                                        ; implicit-def: $vgpr9
	s_branch .LBB24_1654
.LBB24_1633:
	s_mov_b32 s4, -1
                                        ; implicit-def: $vgpr9
	s_branch .LBB24_1642
.LBB24_1634:
	s_mov_b32 s4, -1
                                        ; implicit-def: $vgpr9
	s_branch .LBB24_1639
.LBB24_1635:
	s_mov_b32 s4, -1
                                        ; implicit-def: $vgpr9
.LBB24_1636:
	s_andn2_b32 vcc_lo, exec_lo, s4
	s_cbranch_vccnz .LBB24_1638
; %bb.1637:
	global_load_dword v9, v[7:8], off
	s_waitcnt vmcnt(0)
	v_cvt_f16_f32_e32 v9, v9
.LBB24_1638:
	s_mov_b32 s4, 0
.LBB24_1639:
	s_andn2_b32 vcc_lo, exec_lo, s4
	s_cbranch_vccnz .LBB24_1641
; %bb.1640:
	global_load_dword v9, v[7:8], off
.LBB24_1641:
	s_mov_b32 s4, 0
.LBB24_1642:
	s_andn2_b32 vcc_lo, exec_lo, s4
	s_cbranch_vccnz .LBB24_1653
; %bb.1643:
	s_cmp_lt_i32 s0, 6
	s_cbranch_scc1 .LBB24_1646
; %bb.1644:
	s_cmp_gt_i32 s0, 6
	s_cbranch_scc0 .LBB24_1647
; %bb.1645:
	global_load_dwordx2 v[16:17], v[7:8], off
	s_mov_b32 s4, 0
	s_waitcnt vmcnt(0)
	v_and_or_b32 v9, 0x1ff, v17, v16
	v_lshrrev_b32_e32 v16, 8, v17
	v_bfe_u32 v18, v17, 20, 11
	v_cmp_ne_u32_e32 vcc_lo, 0, v9
	v_sub_nc_u32_e32 v19, 0x3f1, v18
	v_add_nc_u32_e32 v18, 0xfffffc10, v18
	v_cndmask_b32_e64 v9, 0, 1, vcc_lo
	v_and_or_b32 v9, 0xffe, v16, v9
	v_med3_i32 v16, v19, 0, 13
	v_or_b32_e32 v19, 0x1000, v9
	v_lshrrev_b32_e32 v20, v16, v19
	v_lshlrev_b32_e32 v16, v16, v20
	v_cmp_ne_u32_e32 vcc_lo, v16, v19
	v_lshl_or_b32 v19, v18, 12, v9
	v_cndmask_b32_e64 v16, 0, 1, vcc_lo
	v_cmp_gt_i32_e32 vcc_lo, 1, v18
	v_or_b32_e32 v16, v20, v16
	v_cndmask_b32_e32 v16, v19, v16, vcc_lo
	v_and_b32_e32 v19, 7, v16
	v_lshrrev_b32_e32 v16, 2, v16
	v_cmp_lt_i32_e32 vcc_lo, 5, v19
	v_cndmask_b32_e64 v20, 0, 1, vcc_lo
	v_cmp_eq_u32_e32 vcc_lo, 3, v19
	v_cndmask_b32_e64 v19, 0, 1, vcc_lo
	v_cmp_ne_u32_e32 vcc_lo, 0, v9
	v_or_b32_e32 v19, v19, v20
	v_mov_b32_e32 v20, 0x7e00
	v_add_nc_u32_e32 v16, v16, v19
	v_cndmask_b32_e32 v9, 0x7c00, v20, vcc_lo
	v_cmp_gt_i32_e32 vcc_lo, 31, v18
	v_cndmask_b32_e32 v16, 0x7c00, v16, vcc_lo
	v_cmp_eq_u32_e32 vcc_lo, 0x40f, v18
	v_cndmask_b32_e32 v9, v16, v9, vcc_lo
	v_lshrrev_b32_e32 v16, 16, v17
	v_and_or_b32 v9, 0x8000, v16, v9
	s_branch .LBB24_1648
.LBB24_1646:
	s_mov_b32 s4, -1
                                        ; implicit-def: $vgpr9
	s_branch .LBB24_1651
.LBB24_1647:
	s_mov_b32 s4, -1
                                        ; implicit-def: $vgpr9
.LBB24_1648:
	s_andn2_b32 vcc_lo, exec_lo, s4
	s_cbranch_vccnz .LBB24_1650
; %bb.1649:
	global_load_dword v9, v[7:8], off
	s_waitcnt vmcnt(0)
	v_cvt_f16_f32_e32 v9, v9
.LBB24_1650:
	s_mov_b32 s4, 0
.LBB24_1651:
	s_andn2_b32 vcc_lo, exec_lo, s4
	s_cbranch_vccnz .LBB24_1653
; %bb.1652:
	global_load_ushort v9, v[7:8], off
.LBB24_1653:
	s_mov_b32 s4, 0
.LBB24_1654:
	s_andn2_b32 vcc_lo, exec_lo, s4
	s_cbranch_vccnz .LBB24_1674
; %bb.1655:
	s_cmp_lt_i32 s0, 2
	s_cbranch_scc1 .LBB24_1659
; %bb.1656:
	s_cmp_lt_i32 s0, 3
	s_cbranch_scc1 .LBB24_1660
; %bb.1657:
	s_cmp_gt_i32 s0, 3
	s_cbranch_scc0 .LBB24_1661
; %bb.1658:
	global_load_dwordx2 v[16:17], v[7:8], off
	s_mov_b32 s4, 0
	s_waitcnt vmcnt(0)
	v_xor_b32_e32 v9, v16, v17
	v_ffbh_i32_e32 v18, v17
	v_ashrrev_i32_e32 v9, 31, v9
	v_add_nc_u32_e32 v18, -1, v18
	v_add_nc_u32_e32 v9, 32, v9
	v_min_u32_e32 v9, v18, v9
	v_lshlrev_b64 v[16:17], v9, v[16:17]
	v_sub_nc_u32_e32 v9, 32, v9
	v_min_u32_e32 v16, 1, v16
	v_or_b32_e32 v16, v17, v16
	v_cvt_f32_i32_e32 v16, v16
	v_ldexp_f32 v9, v16, v9
	v_cvt_f16_f32_e32 v9, v9
	s_branch .LBB24_1662
.LBB24_1659:
	s_mov_b32 s4, -1
                                        ; implicit-def: $vgpr9
	s_branch .LBB24_1668
.LBB24_1660:
	s_mov_b32 s4, -1
                                        ; implicit-def: $vgpr9
	s_branch .LBB24_1665
.LBB24_1661:
	s_mov_b32 s4, -1
                                        ; implicit-def: $vgpr9
.LBB24_1662:
	s_andn2_b32 vcc_lo, exec_lo, s4
	s_cbranch_vccnz .LBB24_1664
; %bb.1663:
	global_load_dword v9, v[7:8], off
	s_waitcnt vmcnt(0)
	v_cvt_f32_i32_e32 v9, v9
	v_cvt_f16_f32_e32 v9, v9
.LBB24_1664:
	s_mov_b32 s4, 0
.LBB24_1665:
	s_andn2_b32 vcc_lo, exec_lo, s4
	s_cbranch_vccnz .LBB24_1667
; %bb.1666:
	global_load_ushort v9, v[7:8], off
	s_waitcnt vmcnt(0)
	v_cvt_f16_i16_e32 v9, v9
.LBB24_1667:
	s_mov_b32 s4, 0
.LBB24_1668:
	s_andn2_b32 vcc_lo, exec_lo, s4
	s_cbranch_vccnz .LBB24_1674
; %bb.1669:
	s_cmp_gt_i32 s0, 0
	s_mov_b32 s0, 0
	s_cbranch_scc0 .LBB24_1671
; %bb.1670:
	global_load_sbyte v9, v[7:8], off
	s_waitcnt vmcnt(0)
	v_cvt_f16_i16_e32 v9, v9
	s_branch .LBB24_1672
.LBB24_1671:
	s_mov_b32 s0, -1
                                        ; implicit-def: $vgpr9
.LBB24_1672:
	s_andn2_b32 vcc_lo, exec_lo, s0
	s_cbranch_vccnz .LBB24_1674
; %bb.1673:
	global_load_ubyte v7, v[7:8], off
	s_waitcnt vmcnt(0)
	v_cvt_f16_u16_e32 v9, v7
.LBB24_1674:
	s_mov_b32 s7, -1
.LBB24_1675:
	s_andn2_b32 vcc_lo, exec_lo, s7
	s_cbranch_vccnz .LBB24_2111
; %bb.1676:
	s_waitcnt vmcnt(0)
	v_cvt_f32_f16_e32 v7, v9
	v_mov_b32_e32 v8, v15
	s_mov_b32 s0, exec_lo
	v_cmpx_nlg_f32_e64 0x7f800000, |v7|
	s_cbranch_execz .LBB24_1678
; %bb.1677:
	v_mov_b32_e32 v8, 0
	v_mov_b32_e32 v16, 1.0
	global_store_dword v8, v16, s[12:13]
	global_load_dword v8, v8, s[14:15]
.LBB24_1678:
	s_or_b32 exec_lo, exec_lo, s0
	s_load_dword s0, s[2:3], 0x168
	v_fma_mixlo_f16 v5, v12, v5, 0
	v_cmp_eq_f32_e32 vcc_lo, 1.0, v12
	v_cndmask_b32_e32 v1, v5, v1, vcc_lo
	s_waitcnt lgkmcnt(0)
	s_and_b32 s6, s0, 0xff
	v_add_co_u32 v5, s0, s8, v6
	v_add_co_ci_u32_e64 v6, null, s9, 0, s0
	s_cmp_lt_i32 s6, 11
	s_cbranch_scc1 .LBB24_1756
; %bb.1679:
	s_and_b32 s2, 0xffff, s6
	s_mov_b32 s5, -1
	s_mov_b32 s3, 0
	s_cmp_gt_i32 s2, 25
	s_mov_b32 s4, 0
	s_mov_b32 s0, 0
	s_cbranch_scc0 .LBB24_1712
; %bb.1680:
	s_cmp_gt_i32 s2, 28
	s_cbranch_scc0 .LBB24_1695
; %bb.1681:
	s_cmp_gt_i32 s2, 43
	s_cbranch_scc0 .LBB24_1691
; %bb.1682:
	s_cmp_gt_i32 s2, 45
	s_cbranch_scc0 .LBB24_1685
; %bb.1683:
	s_mov_b32 s0, -1
	s_mov_b32 s5, 0
	s_cmp_eq_u32 s2, 46
	s_cbranch_scc0 .LBB24_1685
; %bb.1684:
	v_cvt_f32_f16_e32 v12, v1
	v_cmp_o_f16_e32 vcc_lo, v1, v1
	s_mov_b32 s0, 0
	s_mov_b32 s4, -1
	v_bfe_u32 v16, v12, 16, 1
	v_add3_u32 v12, v12, v16, 0x7fff
	v_mov_b32_e32 v16, 0x7fc0
	v_cndmask_b32_sdwa v12, v16, v12, vcc_lo dst_sel:DWORD dst_unused:UNUSED_PAD src0_sel:DWORD src1_sel:WORD_1
	global_store_dword v[5:6], v12, off
.LBB24_1685:
	s_and_b32 vcc_lo, exec_lo, s5
	s_cbranch_vccz .LBB24_1690
; %bb.1686:
	s_cmp_eq_u32 s2, 44
	s_mov_b32 s0, -1
	s_cbranch_scc0 .LBB24_1690
; %bb.1687:
	v_cvt_f32_f16_e32 v12, v1
	v_mov_b32_e32 v16, 0xff
	s_mov_b32 s4, exec_lo
	v_bfe_u32 v17, v12, 23, 8
	v_cmpx_ne_u32_e32 0xff, v17
	s_cbranch_execz .LBB24_1689
; %bb.1688:
	v_and_b32_e32 v16, 0x400000, v12
	v_and_or_b32 v17, 0x3fffff, v12, v17
	v_lshrrev_b32_e32 v12, 23, v12
	v_cmp_ne_u32_e32 vcc_lo, 0, v16
	v_cmp_ne_u32_e64 s0, 0, v17
	s_and_b32 s0, vcc_lo, s0
	v_cndmask_b32_e64 v16, 0, 1, s0
	v_add_nc_u32_e32 v16, v12, v16
.LBB24_1689:
	s_or_b32 exec_lo, exec_lo, s4
	s_mov_b32 s0, 0
	s_mov_b32 s4, -1
	global_store_byte v[5:6], v16, off
.LBB24_1690:
	s_mov_b32 s5, 0
.LBB24_1691:
	s_and_b32 vcc_lo, exec_lo, s5
	s_cbranch_vccz .LBB24_1694
; %bb.1692:
	s_cmp_eq_u32 s2, 29
	s_mov_b32 s0, -1
	s_cbranch_scc0 .LBB24_1694
; %bb.1693:
	v_cvt_f32_f16_e32 v12, v1
	v_mov_b32_e32 v17, 0
	s_mov_b32 s0, 0
	s_mov_b32 s4, -1
	v_cvt_u32_f32_e32 v16, v12
	global_store_dwordx2 v[5:6], v[16:17], off
.LBB24_1694:
	s_mov_b32 s5, 0
.LBB24_1695:
	s_and_b32 vcc_lo, exec_lo, s5
	s_cbranch_vccz .LBB24_1711
; %bb.1696:
	s_cmp_lt_i32 s2, 27
	s_mov_b32 s4, -1
	s_cbranch_scc1 .LBB24_1702
; %bb.1697:
	s_cmp_gt_i32 s2, 27
	s_cbranch_scc0 .LBB24_1699
; %bb.1698:
	v_cvt_f32_f16_e32 v12, v1
	s_mov_b32 s4, 0
	v_cvt_u32_f32_e32 v12, v12
	global_store_dword v[5:6], v12, off
.LBB24_1699:
	s_andn2_b32 vcc_lo, exec_lo, s4
	s_cbranch_vccnz .LBB24_1701
; %bb.1700:
	v_cvt_u16_f16_e32 v12, v1
	global_store_short v[5:6], v12, off
.LBB24_1701:
	s_mov_b32 s4, 0
.LBB24_1702:
	s_andn2_b32 vcc_lo, exec_lo, s4
	s_cbranch_vccnz .LBB24_1710
; %bb.1703:
	v_cvt_f32_f16_e32 v12, v1
	v_mov_b32_e32 v17, 0x80
	s_mov_b32 s4, exec_lo
	v_and_b32_e32 v16, 0x7fffffff, v12
	v_cmpx_gt_u32_e32 0x43800000, v16
	s_cbranch_execz .LBB24_1709
; %bb.1704:
	v_cmp_lt_u32_e32 vcc_lo, 0x3bffffff, v16
	s_mov_b32 s5, 0
                                        ; implicit-def: $vgpr16
	s_and_saveexec_b32 s7, vcc_lo
	s_xor_b32 s7, exec_lo, s7
	s_cbranch_execz .LBB24_2158
; %bb.1705:
	v_bfe_u32 v16, v12, 20, 1
	s_mov_b32 s5, exec_lo
	v_add3_u32 v16, v12, v16, 0x487ffff
	v_lshrrev_b32_e32 v16, 20, v16
	s_andn2_saveexec_b32 s7, s7
	s_cbranch_execnz .LBB24_2159
.LBB24_1706:
	s_or_b32 exec_lo, exec_lo, s7
	v_mov_b32_e32 v17, 0
	s_and_saveexec_b32 s7, s5
.LBB24_1707:
	v_lshrrev_b32_e32 v12, 24, v12
	v_and_or_b32 v17, 0x80, v12, v16
.LBB24_1708:
	s_or_b32 exec_lo, exec_lo, s7
.LBB24_1709:
	s_or_b32 exec_lo, exec_lo, s4
	global_store_byte v[5:6], v17, off
.LBB24_1710:
	s_mov_b32 s4, -1
.LBB24_1711:
	s_mov_b32 s5, 0
.LBB24_1712:
	s_and_b32 vcc_lo, exec_lo, s5
	s_cbranch_vccz .LBB24_1752
; %bb.1713:
	s_cmp_gt_i32 s2, 22
	s_mov_b32 s3, -1
	s_cbranch_scc0 .LBB24_1745
; %bb.1714:
	s_cmp_lt_i32 s2, 24
	s_cbranch_scc1 .LBB24_1734
; %bb.1715:
	s_cmp_gt_i32 s2, 24
	s_cbranch_scc0 .LBB24_1723
; %bb.1716:
	v_cvt_f32_f16_e32 v12, v1
	v_mov_b32_e32 v17, 0x80
	s_mov_b32 s3, exec_lo
	v_and_b32_e32 v16, 0x7fffffff, v12
	v_cmpx_gt_u32_e32 0x47800000, v16
	s_cbranch_execz .LBB24_1722
; %bb.1717:
	v_cmp_lt_u32_e32 vcc_lo, 0x37ffffff, v16
	s_mov_b32 s4, 0
                                        ; implicit-def: $vgpr16
	s_and_saveexec_b32 s5, vcc_lo
	s_xor_b32 s5, exec_lo, s5
	s_cbranch_execz .LBB24_2161
; %bb.1718:
	v_bfe_u32 v16, v12, 21, 1
	s_mov_b32 s4, exec_lo
	v_add3_u32 v16, v12, v16, 0x88fffff
	v_lshrrev_b32_e32 v16, 21, v16
	s_andn2_saveexec_b32 s5, s5
	s_cbranch_execnz .LBB24_2162
.LBB24_1719:
	s_or_b32 exec_lo, exec_lo, s5
	v_mov_b32_e32 v17, 0
	s_and_saveexec_b32 s5, s4
.LBB24_1720:
	v_lshrrev_b32_e32 v12, 24, v12
	v_and_or_b32 v17, 0x80, v12, v16
.LBB24_1721:
	s_or_b32 exec_lo, exec_lo, s5
.LBB24_1722:
	s_or_b32 exec_lo, exec_lo, s3
	s_mov_b32 s3, 0
	global_store_byte v[5:6], v17, off
.LBB24_1723:
	s_and_b32 vcc_lo, exec_lo, s3
	s_cbranch_vccz .LBB24_1733
; %bb.1724:
	v_cvt_f32_f16_e32 v12, v1
	s_mov_b32 s3, exec_lo
                                        ; implicit-def: $vgpr16
	v_and_b32_e32 v17, 0x7fffffff, v12
	v_cmpx_gt_u32_e32 0x43f00000, v17
	s_xor_b32 s3, exec_lo, s3
	s_cbranch_execz .LBB24_1730
; %bb.1725:
	s_mov_b32 s4, exec_lo
                                        ; implicit-def: $vgpr16
	v_cmpx_lt_u32_e32 0x3c7fffff, v17
	s_xor_b32 s4, exec_lo, s4
; %bb.1726:
	v_bfe_u32 v16, v12, 20, 1
	v_add3_u32 v16, v12, v16, 0x407ffff
	v_and_b32_e32 v17, 0xff00000, v16
	v_lshrrev_b32_e32 v16, 20, v16
	v_cmp_ne_u32_e32 vcc_lo, 0x7f00000, v17
	v_cndmask_b32_e32 v16, 0x7e, v16, vcc_lo
; %bb.1727:
	s_andn2_saveexec_b32 s4, s4
; %bb.1728:
	v_add_f32_e64 v16, 0x46800000, |v12|
; %bb.1729:
	s_or_b32 exec_lo, exec_lo, s4
                                        ; implicit-def: $vgpr17
.LBB24_1730:
	s_andn2_saveexec_b32 s3, s3
; %bb.1731:
	v_mov_b32_e32 v16, 0x7f
	v_cmp_lt_u32_e32 vcc_lo, 0x7f800000, v17
	v_cndmask_b32_e32 v16, 0x7e, v16, vcc_lo
; %bb.1732:
	s_or_b32 exec_lo, exec_lo, s3
	v_lshrrev_b32_e32 v12, 24, v12
	v_and_or_b32 v12, 0x80, v12, v16
	global_store_byte v[5:6], v12, off
.LBB24_1733:
	s_mov_b32 s3, 0
.LBB24_1734:
	s_andn2_b32 vcc_lo, exec_lo, s3
	s_cbranch_vccnz .LBB24_1744
; %bb.1735:
	v_cvt_f32_f16_e32 v12, v1
	s_mov_b32 s3, exec_lo
                                        ; implicit-def: $vgpr16
	v_and_b32_e32 v17, 0x7fffffff, v12
	v_cmpx_gt_u32_e32 0x47800000, v17
	s_xor_b32 s3, exec_lo, s3
	s_cbranch_execz .LBB24_1741
; %bb.1736:
	s_mov_b32 s4, exec_lo
                                        ; implicit-def: $vgpr16
	v_cmpx_lt_u32_e32 0x387fffff, v17
	s_xor_b32 s4, exec_lo, s4
; %bb.1737:
	v_bfe_u32 v16, v12, 21, 1
	v_add3_u32 v16, v12, v16, 0x80fffff
	v_lshrrev_b32_e32 v16, 21, v16
; %bb.1738:
	s_andn2_saveexec_b32 s4, s4
; %bb.1739:
	v_add_f32_e64 v16, 0x43000000, |v12|
; %bb.1740:
	s_or_b32 exec_lo, exec_lo, s4
                                        ; implicit-def: $vgpr17
.LBB24_1741:
	s_andn2_saveexec_b32 s3, s3
; %bb.1742:
	v_mov_b32_e32 v16, 0x7f
	v_cmp_lt_u32_e32 vcc_lo, 0x7f800000, v17
	v_cndmask_b32_e32 v16, 0x7c, v16, vcc_lo
; %bb.1743:
	s_or_b32 exec_lo, exec_lo, s3
	v_lshrrev_b32_e32 v12, 24, v12
	v_and_or_b32 v12, 0x80, v12, v16
	global_store_byte v[5:6], v12, off
.LBB24_1744:
	s_mov_b32 s3, 0
	s_mov_b32 s4, -1
.LBB24_1745:
	s_andn2_b32 vcc_lo, exec_lo, s3
	s_mov_b32 s3, 0
	s_cbranch_vccnz .LBB24_1752
; %bb.1746:
	s_cmp_gt_i32 s2, 14
	s_mov_b32 s3, -1
	s_cbranch_scc0 .LBB24_1750
; %bb.1747:
	s_cmp_eq_u32 s2, 15
	s_mov_b32 s0, -1
	s_cbranch_scc0 .LBB24_1749
; %bb.1748:
	v_cvt_f32_f16_e32 v12, v1
	v_cmp_o_f16_e32 vcc_lo, v1, v1
	s_mov_b32 s0, 0
	s_mov_b32 s4, -1
	v_bfe_u32 v16, v12, 16, 1
	v_add3_u32 v12, v12, v16, 0x7fff
	v_mov_b32_e32 v16, 0x7fc0
	v_cndmask_b32_sdwa v12, v16, v12, vcc_lo dst_sel:DWORD dst_unused:UNUSED_PAD src0_sel:DWORD src1_sel:WORD_1
	global_store_short v[5:6], v12, off
.LBB24_1749:
	s_mov_b32 s3, 0
.LBB24_1750:
	s_and_b32 vcc_lo, exec_lo, s3
	s_mov_b32 s3, 0
	s_cbranch_vccz .LBB24_1752
; %bb.1751:
	s_cmp_lg_u32 s2, 11
	s_mov_b32 s3, -1
	s_cselect_b32 s0, -1, 0
.LBB24_1752:
	s_and_b32 vcc_lo, exec_lo, s0
	s_cbranch_vccnz .LBB24_2160
; %bb.1753:
	s_andn2_b32 vcc_lo, exec_lo, s3
	s_cbranch_vccnz .LBB24_1755
.LBB24_1754:
	v_and_b32_e32 v12, 0x7fff, v1
	s_mov_b32 s4, -1
	v_cmp_ne_u16_e32 vcc_lo, 0, v12
	v_cndmask_b32_e64 v12, 0, 1, vcc_lo
	global_store_byte v[5:6], v12, off
.LBB24_1755:
	s_mov_b32 s0, 0
	s_branch .LBB24_1757
.LBB24_1756:
	s_mov_b32 s0, -1
	s_mov_b32 s4, 0
.LBB24_1757:
	s_and_b32 vcc_lo, exec_lo, s0
	s_cbranch_vccz .LBB24_1796
; %bb.1758:
	s_and_b32 s0, 0xffff, s6
	s_mov_b32 s2, -1
	s_cmp_lt_i32 s0, 5
	s_cbranch_scc1 .LBB24_1779
; %bb.1759:
	s_cmp_lt_i32 s0, 8
	s_cbranch_scc1 .LBB24_1769
; %bb.1760:
	;; [unrolled: 3-line block ×3, first 2 shown]
	s_cmp_gt_i32 s0, 9
	s_cbranch_scc0 .LBB24_1763
; %bb.1762:
	v_cvt_f32_f16_e32 v12, v1
	v_mov_b32_e32 v18, 0
	s_mov_b32 s2, 0
	v_cvt_f64_f32_e32 v[16:17], v12
	v_mov_b32_e32 v19, v18
	global_store_dwordx4 v[5:6], v[16:19], off
.LBB24_1763:
	s_andn2_b32 vcc_lo, exec_lo, s2
	s_cbranch_vccnz .LBB24_1765
; %bb.1764:
	v_cvt_f32_f16_e32 v16, v1
	v_mov_b32_e32 v17, 0
	global_store_dwordx2 v[5:6], v[16:17], off
.LBB24_1765:
	s_mov_b32 s2, 0
.LBB24_1766:
	s_andn2_b32 vcc_lo, exec_lo, s2
	s_cbranch_vccnz .LBB24_1768
; %bb.1767:
	v_and_b32_e32 v12, 0xffff, v1
	global_store_dword v[5:6], v12, off
.LBB24_1768:
	s_mov_b32 s2, 0
.LBB24_1769:
	s_andn2_b32 vcc_lo, exec_lo, s2
	s_cbranch_vccnz .LBB24_1778
; %bb.1770:
	s_cmp_lt_i32 s0, 6
	s_mov_b32 s2, -1
	s_cbranch_scc1 .LBB24_1776
; %bb.1771:
	s_cmp_gt_i32 s0, 6
	s_cbranch_scc0 .LBB24_1773
; %bb.1772:
	v_cvt_f32_f16_e32 v12, v1
	s_mov_b32 s2, 0
	v_cvt_f64_f32_e32 v[16:17], v12
	global_store_dwordx2 v[5:6], v[16:17], off
.LBB24_1773:
	s_andn2_b32 vcc_lo, exec_lo, s2
	s_cbranch_vccnz .LBB24_1775
; %bb.1774:
	v_cvt_f32_f16_e32 v12, v1
	global_store_dword v[5:6], v12, off
.LBB24_1775:
	s_mov_b32 s2, 0
.LBB24_1776:
	s_andn2_b32 vcc_lo, exec_lo, s2
	s_cbranch_vccnz .LBB24_1778
; %bb.1777:
	global_store_short v[5:6], v1, off
.LBB24_1778:
	s_mov_b32 s2, 0
.LBB24_1779:
	s_andn2_b32 vcc_lo, exec_lo, s2
	s_cbranch_vccnz .LBB24_1795
; %bb.1780:
	s_cmp_lt_i32 s0, 2
	s_mov_b32 s2, -1
	s_cbranch_scc1 .LBB24_1790
; %bb.1781:
	s_cmp_lt_i32 s0, 3
	s_cbranch_scc1 .LBB24_1787
; %bb.1782:
	s_cmp_gt_i32 s0, 3
	s_cbranch_scc0 .LBB24_1784
; %bb.1783:
	v_cvt_f32_f16_e32 v12, v1
	s_mov_b32 s2, 0
	v_cvt_i32_f32_e32 v16, v12
	v_ashrrev_i32_e32 v17, 31, v16
	global_store_dwordx2 v[5:6], v[16:17], off
.LBB24_1784:
	s_andn2_b32 vcc_lo, exec_lo, s2
	s_cbranch_vccnz .LBB24_1786
; %bb.1785:
	v_cvt_f32_f16_e32 v12, v1
	v_cvt_i32_f32_e32 v12, v12
	global_store_dword v[5:6], v12, off
.LBB24_1786:
	s_mov_b32 s2, 0
.LBB24_1787:
	s_andn2_b32 vcc_lo, exec_lo, s2
	s_cbranch_vccnz .LBB24_1789
; %bb.1788:
	v_cvt_i16_f16_e32 v12, v1
	global_store_short v[5:6], v12, off
.LBB24_1789:
	s_mov_b32 s2, 0
.LBB24_1790:
	s_andn2_b32 vcc_lo, exec_lo, s2
	s_cbranch_vccnz .LBB24_1795
; %bb.1791:
	s_cmp_gt_i32 s0, 0
	s_mov_b32 s0, -1
	s_cbranch_scc0 .LBB24_1793
; %bb.1792:
	v_cvt_i16_f16_e32 v12, v1
	s_mov_b32 s0, 0
	global_store_byte v[5:6], v12, off
.LBB24_1793:
	s_andn2_b32 vcc_lo, exec_lo, s0
	s_cbranch_vccnz .LBB24_1795
; %bb.1794:
	v_cvt_f32_f16_e32 v1, v1
	v_cvt_i32_f32_e32 v1, v1
	global_store_byte v[5:6], v1, off
.LBB24_1795:
	s_mov_b32 s4, -1
.LBB24_1796:
	s_andn2_b32 vcc_lo, exec_lo, s4
	s_cbranch_vccnz .LBB24_2111
; %bb.1797:
	v_fma_mixlo_f16 v1, v13, v11, 0
	v_cmp_eq_f32_e32 vcc_lo, 1.0, v13
	s_and_b32 s2, 0xffff, s6
	s_cmp_lt_i32 s2, 11
	v_cndmask_b32_e32 v1, v1, v3, vcc_lo
	v_add_co_u32 v3, s0, s8, v4
	v_add_co_ci_u32_e64 v4, null, s9, 0, s0
	s_cbranch_scc1 .LBB24_1875
; %bb.1798:
	s_mov_b32 s5, -1
	s_mov_b32 s3, 0
	s_cmp_gt_i32 s2, 25
	s_mov_b32 s4, 0
	s_mov_b32 s0, 0
	s_cbranch_scc0 .LBB24_1831
; %bb.1799:
	s_cmp_gt_i32 s2, 28
	s_cbranch_scc0 .LBB24_1814
; %bb.1800:
	s_cmp_gt_i32 s2, 43
	;; [unrolled: 3-line block ×3, first 2 shown]
	s_cbranch_scc0 .LBB24_1804
; %bb.1802:
	s_mov_b32 s0, -1
	s_mov_b32 s5, 0
	s_cmp_eq_u32 s2, 46
	s_cbranch_scc0 .LBB24_1804
; %bb.1803:
	v_cvt_f32_f16_e32 v5, v1
	v_cmp_o_f16_e32 vcc_lo, v1, v1
	s_mov_b32 s0, 0
	s_mov_b32 s4, -1
	v_bfe_u32 v6, v5, 16, 1
	v_add3_u32 v5, v5, v6, 0x7fff
	v_mov_b32_e32 v6, 0x7fc0
	v_cndmask_b32_sdwa v5, v6, v5, vcc_lo dst_sel:DWORD dst_unused:UNUSED_PAD src0_sel:DWORD src1_sel:WORD_1
	global_store_dword v[3:4], v5, off
.LBB24_1804:
	s_and_b32 vcc_lo, exec_lo, s5
	s_cbranch_vccz .LBB24_1809
; %bb.1805:
	s_cmp_eq_u32 s2, 44
	s_mov_b32 s0, -1
	s_cbranch_scc0 .LBB24_1809
; %bb.1806:
	v_cvt_f32_f16_e32 v5, v1
	v_mov_b32_e32 v6, 0xff
	s_mov_b32 s4, exec_lo
	v_bfe_u32 v11, v5, 23, 8
	v_cmpx_ne_u32_e32 0xff, v11
	s_cbranch_execz .LBB24_1808
; %bb.1807:
	v_and_b32_e32 v6, 0x400000, v5
	v_and_or_b32 v11, 0x3fffff, v5, v11
	v_lshrrev_b32_e32 v5, 23, v5
	v_cmp_ne_u32_e32 vcc_lo, 0, v6
	v_cmp_ne_u32_e64 s0, 0, v11
	s_and_b32 s0, vcc_lo, s0
	v_cndmask_b32_e64 v6, 0, 1, s0
	v_add_nc_u32_e32 v6, v5, v6
.LBB24_1808:
	s_or_b32 exec_lo, exec_lo, s4
	s_mov_b32 s0, 0
	s_mov_b32 s4, -1
	global_store_byte v[3:4], v6, off
.LBB24_1809:
	s_mov_b32 s5, 0
.LBB24_1810:
	s_and_b32 vcc_lo, exec_lo, s5
	s_cbranch_vccz .LBB24_1813
; %bb.1811:
	s_cmp_eq_u32 s2, 29
	s_mov_b32 s0, -1
	s_cbranch_scc0 .LBB24_1813
; %bb.1812:
	v_cvt_f32_f16_e32 v5, v1
	v_mov_b32_e32 v6, 0
	s_mov_b32 s0, 0
	s_mov_b32 s4, -1
	v_cvt_u32_f32_e32 v5, v5
	global_store_dwordx2 v[3:4], v[5:6], off
.LBB24_1813:
	s_mov_b32 s5, 0
.LBB24_1814:
	s_and_b32 vcc_lo, exec_lo, s5
	s_cbranch_vccz .LBB24_1830
; %bb.1815:
	s_cmp_lt_i32 s2, 27
	s_mov_b32 s4, -1
	s_cbranch_scc1 .LBB24_1821
; %bb.1816:
	s_cmp_gt_i32 s2, 27
	s_cbranch_scc0 .LBB24_1818
; %bb.1817:
	v_cvt_f32_f16_e32 v5, v1
	s_mov_b32 s4, 0
	v_cvt_u32_f32_e32 v5, v5
	global_store_dword v[3:4], v5, off
.LBB24_1818:
	s_andn2_b32 vcc_lo, exec_lo, s4
	s_cbranch_vccnz .LBB24_1820
; %bb.1819:
	v_cvt_u16_f16_e32 v5, v1
	global_store_short v[3:4], v5, off
.LBB24_1820:
	s_mov_b32 s4, 0
.LBB24_1821:
	s_andn2_b32 vcc_lo, exec_lo, s4
	s_cbranch_vccnz .LBB24_1829
; %bb.1822:
	v_cvt_f32_f16_e32 v5, v1
	v_mov_b32_e32 v11, 0x80
	s_mov_b32 s4, exec_lo
	v_and_b32_e32 v6, 0x7fffffff, v5
	v_cmpx_gt_u32_e32 0x43800000, v6
	s_cbranch_execz .LBB24_1828
; %bb.1823:
	v_cmp_lt_u32_e32 vcc_lo, 0x3bffffff, v6
	s_mov_b32 s5, 0
                                        ; implicit-def: $vgpr6
	s_and_saveexec_b32 s7, vcc_lo
	s_xor_b32 s7, exec_lo, s7
	s_cbranch_execz .LBB24_2163
; %bb.1824:
	v_bfe_u32 v6, v5, 20, 1
	s_mov_b32 s5, exec_lo
	v_add3_u32 v6, v5, v6, 0x487ffff
	v_lshrrev_b32_e32 v6, 20, v6
	s_andn2_saveexec_b32 s7, s7
	s_cbranch_execnz .LBB24_2164
.LBB24_1825:
	s_or_b32 exec_lo, exec_lo, s7
	v_mov_b32_e32 v11, 0
	s_and_saveexec_b32 s7, s5
.LBB24_1826:
	v_lshrrev_b32_e32 v5, 24, v5
	v_and_or_b32 v11, 0x80, v5, v6
.LBB24_1827:
	s_or_b32 exec_lo, exec_lo, s7
.LBB24_1828:
	s_or_b32 exec_lo, exec_lo, s4
	global_store_byte v[3:4], v11, off
.LBB24_1829:
	s_mov_b32 s4, -1
.LBB24_1830:
	s_mov_b32 s5, 0
.LBB24_1831:
	s_and_b32 vcc_lo, exec_lo, s5
	s_cbranch_vccz .LBB24_1871
; %bb.1832:
	s_cmp_gt_i32 s2, 22
	s_mov_b32 s3, -1
	s_cbranch_scc0 .LBB24_1864
; %bb.1833:
	s_cmp_lt_i32 s2, 24
	s_cbranch_scc1 .LBB24_1853
; %bb.1834:
	s_cmp_gt_i32 s2, 24
	s_cbranch_scc0 .LBB24_1842
; %bb.1835:
	v_cvt_f32_f16_e32 v5, v1
	v_mov_b32_e32 v11, 0x80
	s_mov_b32 s3, exec_lo
	v_and_b32_e32 v6, 0x7fffffff, v5
	v_cmpx_gt_u32_e32 0x47800000, v6
	s_cbranch_execz .LBB24_1841
; %bb.1836:
	v_cmp_lt_u32_e32 vcc_lo, 0x37ffffff, v6
	s_mov_b32 s4, 0
                                        ; implicit-def: $vgpr6
	s_and_saveexec_b32 s5, vcc_lo
	s_xor_b32 s5, exec_lo, s5
	s_cbranch_execz .LBB24_2166
; %bb.1837:
	v_bfe_u32 v6, v5, 21, 1
	s_mov_b32 s4, exec_lo
	v_add3_u32 v6, v5, v6, 0x88fffff
	v_lshrrev_b32_e32 v6, 21, v6
	s_andn2_saveexec_b32 s5, s5
	s_cbranch_execnz .LBB24_2167
.LBB24_1838:
	s_or_b32 exec_lo, exec_lo, s5
	v_mov_b32_e32 v11, 0
	s_and_saveexec_b32 s5, s4
.LBB24_1839:
	v_lshrrev_b32_e32 v5, 24, v5
	v_and_or_b32 v11, 0x80, v5, v6
.LBB24_1840:
	s_or_b32 exec_lo, exec_lo, s5
.LBB24_1841:
	s_or_b32 exec_lo, exec_lo, s3
	s_mov_b32 s3, 0
	global_store_byte v[3:4], v11, off
.LBB24_1842:
	s_and_b32 vcc_lo, exec_lo, s3
	s_cbranch_vccz .LBB24_1852
; %bb.1843:
	v_cvt_f32_f16_e32 v5, v1
	s_mov_b32 s3, exec_lo
                                        ; implicit-def: $vgpr6
	v_and_b32_e32 v11, 0x7fffffff, v5
	v_cmpx_gt_u32_e32 0x43f00000, v11
	s_xor_b32 s3, exec_lo, s3
	s_cbranch_execz .LBB24_1849
; %bb.1844:
	s_mov_b32 s4, exec_lo
                                        ; implicit-def: $vgpr6
	v_cmpx_lt_u32_e32 0x3c7fffff, v11
	s_xor_b32 s4, exec_lo, s4
; %bb.1845:
	v_bfe_u32 v6, v5, 20, 1
	v_add3_u32 v6, v5, v6, 0x407ffff
	v_and_b32_e32 v11, 0xff00000, v6
	v_lshrrev_b32_e32 v6, 20, v6
	v_cmp_ne_u32_e32 vcc_lo, 0x7f00000, v11
	v_cndmask_b32_e32 v6, 0x7e, v6, vcc_lo
; %bb.1846:
	s_andn2_saveexec_b32 s4, s4
; %bb.1847:
	v_add_f32_e64 v6, 0x46800000, |v5|
; %bb.1848:
	s_or_b32 exec_lo, exec_lo, s4
                                        ; implicit-def: $vgpr11
.LBB24_1849:
	s_andn2_saveexec_b32 s3, s3
; %bb.1850:
	v_mov_b32_e32 v6, 0x7f
	v_cmp_lt_u32_e32 vcc_lo, 0x7f800000, v11
	v_cndmask_b32_e32 v6, 0x7e, v6, vcc_lo
; %bb.1851:
	s_or_b32 exec_lo, exec_lo, s3
	v_lshrrev_b32_e32 v5, 24, v5
	v_and_or_b32 v5, 0x80, v5, v6
	global_store_byte v[3:4], v5, off
.LBB24_1852:
	s_mov_b32 s3, 0
.LBB24_1853:
	s_andn2_b32 vcc_lo, exec_lo, s3
	s_cbranch_vccnz .LBB24_1863
; %bb.1854:
	v_cvt_f32_f16_e32 v5, v1
	s_mov_b32 s3, exec_lo
                                        ; implicit-def: $vgpr6
	v_and_b32_e32 v11, 0x7fffffff, v5
	v_cmpx_gt_u32_e32 0x47800000, v11
	s_xor_b32 s3, exec_lo, s3
	s_cbranch_execz .LBB24_1860
; %bb.1855:
	s_mov_b32 s4, exec_lo
                                        ; implicit-def: $vgpr6
	v_cmpx_lt_u32_e32 0x387fffff, v11
	s_xor_b32 s4, exec_lo, s4
; %bb.1856:
	v_bfe_u32 v6, v5, 21, 1
	v_add3_u32 v6, v5, v6, 0x80fffff
	v_lshrrev_b32_e32 v6, 21, v6
; %bb.1857:
	s_andn2_saveexec_b32 s4, s4
; %bb.1858:
	v_add_f32_e64 v6, 0x43000000, |v5|
; %bb.1859:
	s_or_b32 exec_lo, exec_lo, s4
                                        ; implicit-def: $vgpr11
.LBB24_1860:
	s_andn2_saveexec_b32 s3, s3
; %bb.1861:
	v_mov_b32_e32 v6, 0x7f
	v_cmp_lt_u32_e32 vcc_lo, 0x7f800000, v11
	v_cndmask_b32_e32 v6, 0x7c, v6, vcc_lo
; %bb.1862:
	s_or_b32 exec_lo, exec_lo, s3
	v_lshrrev_b32_e32 v5, 24, v5
	v_and_or_b32 v5, 0x80, v5, v6
	global_store_byte v[3:4], v5, off
.LBB24_1863:
	s_mov_b32 s3, 0
	s_mov_b32 s4, -1
.LBB24_1864:
	s_andn2_b32 vcc_lo, exec_lo, s3
	s_mov_b32 s3, 0
	s_cbranch_vccnz .LBB24_1871
; %bb.1865:
	s_cmp_gt_i32 s2, 14
	s_mov_b32 s3, -1
	s_cbranch_scc0 .LBB24_1869
; %bb.1866:
	s_cmp_eq_u32 s2, 15
	s_mov_b32 s0, -1
	s_cbranch_scc0 .LBB24_1868
; %bb.1867:
	v_cvt_f32_f16_e32 v5, v1
	v_cmp_o_f16_e32 vcc_lo, v1, v1
	s_mov_b32 s0, 0
	s_mov_b32 s4, -1
	v_bfe_u32 v6, v5, 16, 1
	v_add3_u32 v5, v5, v6, 0x7fff
	v_mov_b32_e32 v6, 0x7fc0
	v_cndmask_b32_sdwa v5, v6, v5, vcc_lo dst_sel:DWORD dst_unused:UNUSED_PAD src0_sel:DWORD src1_sel:WORD_1
	global_store_short v[3:4], v5, off
.LBB24_1868:
	s_mov_b32 s3, 0
.LBB24_1869:
	s_and_b32 vcc_lo, exec_lo, s3
	s_mov_b32 s3, 0
	s_cbranch_vccz .LBB24_1871
; %bb.1870:
	s_cmp_lg_u32 s2, 11
	s_mov_b32 s3, -1
	s_cselect_b32 s0, -1, 0
.LBB24_1871:
	s_and_b32 vcc_lo, exec_lo, s0
	s_cbranch_vccnz .LBB24_2165
; %bb.1872:
	s_andn2_b32 vcc_lo, exec_lo, s3
	s_cbranch_vccnz .LBB24_1874
.LBB24_1873:
	v_and_b32_e32 v5, 0x7fff, v1
	s_mov_b32 s4, -1
	v_cmp_ne_u16_e32 vcc_lo, 0, v5
	v_cndmask_b32_e64 v5, 0, 1, vcc_lo
	global_store_byte v[3:4], v5, off
.LBB24_1874:
	s_mov_b32 s0, 0
	s_branch .LBB24_1876
.LBB24_1875:
	s_mov_b32 s0, -1
	s_mov_b32 s4, 0
.LBB24_1876:
	s_and_b32 vcc_lo, exec_lo, s0
	s_cbranch_vccz .LBB24_1915
; %bb.1877:
	s_cmp_lt_i32 s2, 5
	s_mov_b32 s0, -1
	s_cbranch_scc1 .LBB24_1898
; %bb.1878:
	s_cmp_lt_i32 s2, 8
	s_cbranch_scc1 .LBB24_1888
; %bb.1879:
	s_cmp_lt_i32 s2, 9
	s_cbranch_scc1 .LBB24_1885
; %bb.1880:
	s_cmp_gt_i32 s2, 9
	s_cbranch_scc0 .LBB24_1882
; %bb.1881:
	v_cvt_f32_f16_e32 v5, v1
	v_mov_b32_e32 v18, 0
	s_mov_b32 s0, 0
	v_cvt_f64_f32_e32 v[16:17], v5
	v_mov_b32_e32 v19, v18
	global_store_dwordx4 v[3:4], v[16:19], off
.LBB24_1882:
	s_andn2_b32 vcc_lo, exec_lo, s0
	s_cbranch_vccnz .LBB24_1884
; %bb.1883:
	v_cvt_f32_f16_e32 v5, v1
	v_mov_b32_e32 v6, 0
	global_store_dwordx2 v[3:4], v[5:6], off
.LBB24_1884:
	s_mov_b32 s0, 0
.LBB24_1885:
	s_andn2_b32 vcc_lo, exec_lo, s0
	s_cbranch_vccnz .LBB24_1887
; %bb.1886:
	v_and_b32_e32 v5, 0xffff, v1
	global_store_dword v[3:4], v5, off
.LBB24_1887:
	s_mov_b32 s0, 0
.LBB24_1888:
	s_andn2_b32 vcc_lo, exec_lo, s0
	s_cbranch_vccnz .LBB24_1897
; %bb.1889:
	s_cmp_lt_i32 s2, 6
	s_mov_b32 s0, -1
	s_cbranch_scc1 .LBB24_1895
; %bb.1890:
	s_cmp_gt_i32 s2, 6
	s_cbranch_scc0 .LBB24_1892
; %bb.1891:
	v_cvt_f32_f16_e32 v5, v1
	s_mov_b32 s0, 0
	v_cvt_f64_f32_e32 v[5:6], v5
	global_store_dwordx2 v[3:4], v[5:6], off
.LBB24_1892:
	s_andn2_b32 vcc_lo, exec_lo, s0
	s_cbranch_vccnz .LBB24_1894
; %bb.1893:
	v_cvt_f32_f16_e32 v5, v1
	global_store_dword v[3:4], v5, off
.LBB24_1894:
	s_mov_b32 s0, 0
.LBB24_1895:
	s_andn2_b32 vcc_lo, exec_lo, s0
	s_cbranch_vccnz .LBB24_1897
; %bb.1896:
	global_store_short v[3:4], v1, off
.LBB24_1897:
	s_mov_b32 s0, 0
.LBB24_1898:
	s_andn2_b32 vcc_lo, exec_lo, s0
	s_cbranch_vccnz .LBB24_1914
; %bb.1899:
	s_cmp_lt_i32 s2, 2
	s_mov_b32 s0, -1
	s_cbranch_scc1 .LBB24_1909
; %bb.1900:
	s_cmp_lt_i32 s2, 3
	s_cbranch_scc1 .LBB24_1906
; %bb.1901:
	s_cmp_gt_i32 s2, 3
	s_cbranch_scc0 .LBB24_1903
; %bb.1902:
	v_cvt_f32_f16_e32 v5, v1
	s_mov_b32 s0, 0
	v_cvt_i32_f32_e32 v5, v5
	v_ashrrev_i32_e32 v6, 31, v5
	global_store_dwordx2 v[3:4], v[5:6], off
.LBB24_1903:
	s_andn2_b32 vcc_lo, exec_lo, s0
	s_cbranch_vccnz .LBB24_1905
; %bb.1904:
	v_cvt_f32_f16_e32 v5, v1
	v_cvt_i32_f32_e32 v5, v5
	global_store_dword v[3:4], v5, off
.LBB24_1905:
	s_mov_b32 s0, 0
.LBB24_1906:
	s_andn2_b32 vcc_lo, exec_lo, s0
	s_cbranch_vccnz .LBB24_1908
; %bb.1907:
	v_cvt_i16_f16_e32 v5, v1
	global_store_short v[3:4], v5, off
.LBB24_1908:
	s_mov_b32 s0, 0
.LBB24_1909:
	s_andn2_b32 vcc_lo, exec_lo, s0
	s_cbranch_vccnz .LBB24_1914
; %bb.1910:
	s_cmp_gt_i32 s2, 0
	s_mov_b32 s0, -1
	s_cbranch_scc0 .LBB24_1912
; %bb.1911:
	v_cvt_i16_f16_e32 v5, v1
	s_mov_b32 s0, 0
	global_store_byte v[3:4], v5, off
.LBB24_1912:
	s_andn2_b32 vcc_lo, exec_lo, s0
	s_cbranch_vccnz .LBB24_1914
; %bb.1913:
	v_cvt_f32_f16_e32 v1, v1
	v_cvt_i32_f32_e32 v1, v1
	global_store_byte v[3:4], v1, off
.LBB24_1914:
	s_mov_b32 s4, -1
.LBB24_1915:
	s_andn2_b32 vcc_lo, exec_lo, s4
	s_cbranch_vccnz .LBB24_2111
; %bb.1916:
	v_fma_mixlo_f16 v1, v15, v14, 0
	v_cmp_eq_f32_e32 vcc_lo, 1.0, v15
	s_cmp_lt_i32 s2, 11
	v_cndmask_b32_e32 v3, v1, v10, vcc_lo
	v_add_co_u32 v1, s0, s8, v2
	v_add_co_ci_u32_e64 v2, null, s9, 0, s0
	s_cbranch_scc1 .LBB24_1994
; %bb.1917:
	s_mov_b32 s5, -1
	s_mov_b32 s3, 0
	s_cmp_gt_i32 s2, 25
	s_mov_b32 s4, 0
	s_mov_b32 s0, 0
	s_cbranch_scc0 .LBB24_1950
; %bb.1918:
	s_cmp_gt_i32 s2, 28
	s_cbranch_scc0 .LBB24_1933
; %bb.1919:
	s_cmp_gt_i32 s2, 43
	;; [unrolled: 3-line block ×3, first 2 shown]
	s_cbranch_scc0 .LBB24_1923
; %bb.1921:
	s_mov_b32 s0, -1
	s_mov_b32 s5, 0
	s_cmp_eq_u32 s2, 46
	s_cbranch_scc0 .LBB24_1923
; %bb.1922:
	v_cvt_f32_f16_e32 v4, v3
	v_cmp_o_f16_e32 vcc_lo, v3, v3
	s_mov_b32 s0, 0
	s_mov_b32 s4, -1
	v_bfe_u32 v5, v4, 16, 1
	v_add3_u32 v4, v4, v5, 0x7fff
	v_mov_b32_e32 v5, 0x7fc0
	v_cndmask_b32_sdwa v4, v5, v4, vcc_lo dst_sel:DWORD dst_unused:UNUSED_PAD src0_sel:DWORD src1_sel:WORD_1
	global_store_dword v[1:2], v4, off
.LBB24_1923:
	s_and_b32 vcc_lo, exec_lo, s5
	s_cbranch_vccz .LBB24_1928
; %bb.1924:
	s_cmp_eq_u32 s2, 44
	s_mov_b32 s0, -1
	s_cbranch_scc0 .LBB24_1928
; %bb.1925:
	v_cvt_f32_f16_e32 v4, v3
	v_mov_b32_e32 v5, 0xff
	s_mov_b32 s4, exec_lo
	v_bfe_u32 v6, v4, 23, 8
	v_cmpx_ne_u32_e32 0xff, v6
	s_cbranch_execz .LBB24_1927
; %bb.1926:
	v_and_b32_e32 v5, 0x400000, v4
	v_and_or_b32 v6, 0x3fffff, v4, v6
	v_lshrrev_b32_e32 v4, 23, v4
	v_cmp_ne_u32_e32 vcc_lo, 0, v5
	v_cmp_ne_u32_e64 s0, 0, v6
	s_and_b32 s0, vcc_lo, s0
	v_cndmask_b32_e64 v5, 0, 1, s0
	v_add_nc_u32_e32 v5, v4, v5
.LBB24_1927:
	s_or_b32 exec_lo, exec_lo, s4
	s_mov_b32 s0, 0
	s_mov_b32 s4, -1
	global_store_byte v[1:2], v5, off
.LBB24_1928:
	s_mov_b32 s5, 0
.LBB24_1929:
	s_and_b32 vcc_lo, exec_lo, s5
	s_cbranch_vccz .LBB24_1932
; %bb.1930:
	s_cmp_eq_u32 s2, 29
	s_mov_b32 s0, -1
	s_cbranch_scc0 .LBB24_1932
; %bb.1931:
	v_cvt_f32_f16_e32 v4, v3
	v_mov_b32_e32 v5, 0
	s_mov_b32 s0, 0
	s_mov_b32 s4, -1
	v_cvt_u32_f32_e32 v4, v4
	global_store_dwordx2 v[1:2], v[4:5], off
.LBB24_1932:
	s_mov_b32 s5, 0
.LBB24_1933:
	s_and_b32 vcc_lo, exec_lo, s5
	s_cbranch_vccz .LBB24_1949
; %bb.1934:
	s_cmp_lt_i32 s2, 27
	s_mov_b32 s4, -1
	s_cbranch_scc1 .LBB24_1940
; %bb.1935:
	s_cmp_gt_i32 s2, 27
	s_cbranch_scc0 .LBB24_1937
; %bb.1936:
	v_cvt_f32_f16_e32 v4, v3
	s_mov_b32 s4, 0
	v_cvt_u32_f32_e32 v4, v4
	global_store_dword v[1:2], v4, off
.LBB24_1937:
	s_andn2_b32 vcc_lo, exec_lo, s4
	s_cbranch_vccnz .LBB24_1939
; %bb.1938:
	v_cvt_u16_f16_e32 v4, v3
	global_store_short v[1:2], v4, off
.LBB24_1939:
	s_mov_b32 s4, 0
.LBB24_1940:
	s_andn2_b32 vcc_lo, exec_lo, s4
	s_cbranch_vccnz .LBB24_1948
; %bb.1941:
	v_cvt_f32_f16_e32 v4, v3
	v_mov_b32_e32 v6, 0x80
	s_mov_b32 s4, exec_lo
	v_and_b32_e32 v5, 0x7fffffff, v4
	v_cmpx_gt_u32_e32 0x43800000, v5
	s_cbranch_execz .LBB24_1947
; %bb.1942:
	v_cmp_lt_u32_e32 vcc_lo, 0x3bffffff, v5
	s_mov_b32 s5, 0
                                        ; implicit-def: $vgpr5
	s_and_saveexec_b32 s7, vcc_lo
	s_xor_b32 s7, exec_lo, s7
	s_cbranch_execz .LBB24_2168
; %bb.1943:
	v_bfe_u32 v5, v4, 20, 1
	s_mov_b32 s5, exec_lo
	v_add3_u32 v5, v4, v5, 0x487ffff
	v_lshrrev_b32_e32 v5, 20, v5
	s_andn2_saveexec_b32 s7, s7
	s_cbranch_execnz .LBB24_2169
.LBB24_1944:
	s_or_b32 exec_lo, exec_lo, s7
	v_mov_b32_e32 v6, 0
	s_and_saveexec_b32 s7, s5
.LBB24_1945:
	v_lshrrev_b32_e32 v4, 24, v4
	v_and_or_b32 v6, 0x80, v4, v5
.LBB24_1946:
	s_or_b32 exec_lo, exec_lo, s7
.LBB24_1947:
	s_or_b32 exec_lo, exec_lo, s4
	global_store_byte v[1:2], v6, off
.LBB24_1948:
	s_mov_b32 s4, -1
.LBB24_1949:
	s_mov_b32 s5, 0
.LBB24_1950:
	s_and_b32 vcc_lo, exec_lo, s5
	s_cbranch_vccz .LBB24_1990
; %bb.1951:
	s_cmp_gt_i32 s2, 22
	s_mov_b32 s3, -1
	s_cbranch_scc0 .LBB24_1983
; %bb.1952:
	s_cmp_lt_i32 s2, 24
	s_cbranch_scc1 .LBB24_1972
; %bb.1953:
	s_cmp_gt_i32 s2, 24
	s_cbranch_scc0 .LBB24_1961
; %bb.1954:
	v_cvt_f32_f16_e32 v4, v3
	v_mov_b32_e32 v6, 0x80
	s_mov_b32 s3, exec_lo
	v_and_b32_e32 v5, 0x7fffffff, v4
	v_cmpx_gt_u32_e32 0x47800000, v5
	s_cbranch_execz .LBB24_1960
; %bb.1955:
	v_cmp_lt_u32_e32 vcc_lo, 0x37ffffff, v5
	s_mov_b32 s4, 0
                                        ; implicit-def: $vgpr5
	s_and_saveexec_b32 s5, vcc_lo
	s_xor_b32 s5, exec_lo, s5
	s_cbranch_execz .LBB24_2171
; %bb.1956:
	v_bfe_u32 v5, v4, 21, 1
	s_mov_b32 s4, exec_lo
	v_add3_u32 v5, v4, v5, 0x88fffff
	v_lshrrev_b32_e32 v5, 21, v5
	s_andn2_saveexec_b32 s5, s5
	s_cbranch_execnz .LBB24_2172
.LBB24_1957:
	s_or_b32 exec_lo, exec_lo, s5
	v_mov_b32_e32 v6, 0
	s_and_saveexec_b32 s5, s4
.LBB24_1958:
	v_lshrrev_b32_e32 v4, 24, v4
	v_and_or_b32 v6, 0x80, v4, v5
.LBB24_1959:
	s_or_b32 exec_lo, exec_lo, s5
.LBB24_1960:
	s_or_b32 exec_lo, exec_lo, s3
	s_mov_b32 s3, 0
	global_store_byte v[1:2], v6, off
.LBB24_1961:
	s_and_b32 vcc_lo, exec_lo, s3
	s_cbranch_vccz .LBB24_1971
; %bb.1962:
	v_cvt_f32_f16_e32 v4, v3
	s_mov_b32 s3, exec_lo
                                        ; implicit-def: $vgpr5
	v_and_b32_e32 v6, 0x7fffffff, v4
	v_cmpx_gt_u32_e32 0x43f00000, v6
	s_xor_b32 s3, exec_lo, s3
	s_cbranch_execz .LBB24_1968
; %bb.1963:
	s_mov_b32 s4, exec_lo
                                        ; implicit-def: $vgpr5
	v_cmpx_lt_u32_e32 0x3c7fffff, v6
	s_xor_b32 s4, exec_lo, s4
; %bb.1964:
	v_bfe_u32 v5, v4, 20, 1
	v_add3_u32 v5, v4, v5, 0x407ffff
	v_and_b32_e32 v6, 0xff00000, v5
	v_lshrrev_b32_e32 v5, 20, v5
	v_cmp_ne_u32_e32 vcc_lo, 0x7f00000, v6
	v_cndmask_b32_e32 v5, 0x7e, v5, vcc_lo
; %bb.1965:
	s_andn2_saveexec_b32 s4, s4
; %bb.1966:
	v_add_f32_e64 v5, 0x46800000, |v4|
; %bb.1967:
	s_or_b32 exec_lo, exec_lo, s4
                                        ; implicit-def: $vgpr6
.LBB24_1968:
	s_andn2_saveexec_b32 s3, s3
; %bb.1969:
	v_mov_b32_e32 v5, 0x7f
	v_cmp_lt_u32_e32 vcc_lo, 0x7f800000, v6
	v_cndmask_b32_e32 v5, 0x7e, v5, vcc_lo
; %bb.1970:
	s_or_b32 exec_lo, exec_lo, s3
	v_lshrrev_b32_e32 v4, 24, v4
	v_and_or_b32 v4, 0x80, v4, v5
	global_store_byte v[1:2], v4, off
.LBB24_1971:
	s_mov_b32 s3, 0
.LBB24_1972:
	s_andn2_b32 vcc_lo, exec_lo, s3
	s_cbranch_vccnz .LBB24_1982
; %bb.1973:
	v_cvt_f32_f16_e32 v4, v3
	s_mov_b32 s3, exec_lo
                                        ; implicit-def: $vgpr5
	v_and_b32_e32 v6, 0x7fffffff, v4
	v_cmpx_gt_u32_e32 0x47800000, v6
	s_xor_b32 s3, exec_lo, s3
	s_cbranch_execz .LBB24_1979
; %bb.1974:
	s_mov_b32 s4, exec_lo
                                        ; implicit-def: $vgpr5
	v_cmpx_lt_u32_e32 0x387fffff, v6
	s_xor_b32 s4, exec_lo, s4
; %bb.1975:
	v_bfe_u32 v5, v4, 21, 1
	v_add3_u32 v5, v4, v5, 0x80fffff
	v_lshrrev_b32_e32 v5, 21, v5
; %bb.1976:
	s_andn2_saveexec_b32 s4, s4
; %bb.1977:
	v_add_f32_e64 v5, 0x43000000, |v4|
; %bb.1978:
	s_or_b32 exec_lo, exec_lo, s4
                                        ; implicit-def: $vgpr6
.LBB24_1979:
	s_andn2_saveexec_b32 s3, s3
; %bb.1980:
	v_mov_b32_e32 v5, 0x7f
	v_cmp_lt_u32_e32 vcc_lo, 0x7f800000, v6
	v_cndmask_b32_e32 v5, 0x7c, v5, vcc_lo
; %bb.1981:
	s_or_b32 exec_lo, exec_lo, s3
	v_lshrrev_b32_e32 v4, 24, v4
	v_and_or_b32 v4, 0x80, v4, v5
	global_store_byte v[1:2], v4, off
.LBB24_1982:
	s_mov_b32 s3, 0
	s_mov_b32 s4, -1
.LBB24_1983:
	s_andn2_b32 vcc_lo, exec_lo, s3
	s_mov_b32 s3, 0
	s_cbranch_vccnz .LBB24_1990
; %bb.1984:
	s_cmp_gt_i32 s2, 14
	s_mov_b32 s3, -1
	s_cbranch_scc0 .LBB24_1988
; %bb.1985:
	s_cmp_eq_u32 s2, 15
	s_mov_b32 s0, -1
	s_cbranch_scc0 .LBB24_1987
; %bb.1986:
	v_cvt_f32_f16_e32 v4, v3
	v_cmp_o_f16_e32 vcc_lo, v3, v3
	s_mov_b32 s0, 0
	s_mov_b32 s4, -1
	v_bfe_u32 v5, v4, 16, 1
	v_add3_u32 v4, v4, v5, 0x7fff
	v_mov_b32_e32 v5, 0x7fc0
	v_cndmask_b32_sdwa v4, v5, v4, vcc_lo dst_sel:DWORD dst_unused:UNUSED_PAD src0_sel:DWORD src1_sel:WORD_1
	global_store_short v[1:2], v4, off
.LBB24_1987:
	s_mov_b32 s3, 0
.LBB24_1988:
	s_and_b32 vcc_lo, exec_lo, s3
	s_mov_b32 s3, 0
	s_cbranch_vccz .LBB24_1990
; %bb.1989:
	s_cmp_lg_u32 s2, 11
	s_mov_b32 s3, -1
	s_cselect_b32 s0, -1, 0
.LBB24_1990:
	s_and_b32 vcc_lo, exec_lo, s0
	s_cbranch_vccnz .LBB24_2170
; %bb.1991:
	s_andn2_b32 vcc_lo, exec_lo, s3
	s_cbranch_vccnz .LBB24_1993
.LBB24_1992:
	v_and_b32_e32 v4, 0x7fff, v3
	s_mov_b32 s4, -1
	v_cmp_ne_u16_e32 vcc_lo, 0, v4
	v_cndmask_b32_e64 v4, 0, 1, vcc_lo
	global_store_byte v[1:2], v4, off
.LBB24_1993:
	s_mov_b32 s0, 0
	s_branch .LBB24_1995
.LBB24_1994:
	s_mov_b32 s0, -1
	s_mov_b32 s4, 0
.LBB24_1995:
	s_and_b32 vcc_lo, exec_lo, s0
	s_cbranch_vccz .LBB24_2034
; %bb.1996:
	s_cmp_lt_i32 s2, 5
	s_mov_b32 s0, -1
	s_cbranch_scc1 .LBB24_2017
; %bb.1997:
	s_cmp_lt_i32 s2, 8
	s_cbranch_scc1 .LBB24_2007
; %bb.1998:
	s_cmp_lt_i32 s2, 9
	s_cbranch_scc1 .LBB24_2004
; %bb.1999:
	s_cmp_gt_i32 s2, 9
	s_cbranch_scc0 .LBB24_2001
; %bb.2000:
	v_cvt_f32_f16_e32 v4, v3
	v_mov_b32_e32 v12, 0
	s_mov_b32 s0, 0
	v_cvt_f64_f32_e32 v[10:11], v4
	v_mov_b32_e32 v13, v12
	global_store_dwordx4 v[1:2], v[10:13], off
.LBB24_2001:
	s_andn2_b32 vcc_lo, exec_lo, s0
	s_cbranch_vccnz .LBB24_2003
; %bb.2002:
	v_cvt_f32_f16_e32 v4, v3
	v_mov_b32_e32 v5, 0
	global_store_dwordx2 v[1:2], v[4:5], off
.LBB24_2003:
	s_mov_b32 s0, 0
.LBB24_2004:
	s_andn2_b32 vcc_lo, exec_lo, s0
	s_cbranch_vccnz .LBB24_2006
; %bb.2005:
	v_and_b32_e32 v4, 0xffff, v3
	global_store_dword v[1:2], v4, off
.LBB24_2006:
	s_mov_b32 s0, 0
.LBB24_2007:
	s_andn2_b32 vcc_lo, exec_lo, s0
	s_cbranch_vccnz .LBB24_2016
; %bb.2008:
	s_cmp_lt_i32 s2, 6
	s_mov_b32 s0, -1
	s_cbranch_scc1 .LBB24_2014
; %bb.2009:
	s_cmp_gt_i32 s2, 6
	s_cbranch_scc0 .LBB24_2011
; %bb.2010:
	v_cvt_f32_f16_e32 v4, v3
	s_mov_b32 s0, 0
	v_cvt_f64_f32_e32 v[4:5], v4
	global_store_dwordx2 v[1:2], v[4:5], off
.LBB24_2011:
	s_andn2_b32 vcc_lo, exec_lo, s0
	s_cbranch_vccnz .LBB24_2013
; %bb.2012:
	v_cvt_f32_f16_e32 v4, v3
	global_store_dword v[1:2], v4, off
.LBB24_2013:
	s_mov_b32 s0, 0
.LBB24_2014:
	s_andn2_b32 vcc_lo, exec_lo, s0
	s_cbranch_vccnz .LBB24_2016
; %bb.2015:
	global_store_short v[1:2], v3, off
.LBB24_2016:
	s_mov_b32 s0, 0
.LBB24_2017:
	s_andn2_b32 vcc_lo, exec_lo, s0
	s_cbranch_vccnz .LBB24_2033
; %bb.2018:
	s_cmp_lt_i32 s2, 2
	s_mov_b32 s0, -1
	s_cbranch_scc1 .LBB24_2028
; %bb.2019:
	s_cmp_lt_i32 s2, 3
	s_cbranch_scc1 .LBB24_2025
; %bb.2020:
	s_cmp_gt_i32 s2, 3
	s_cbranch_scc0 .LBB24_2022
; %bb.2021:
	v_cvt_f32_f16_e32 v4, v3
	s_mov_b32 s0, 0
	v_cvt_i32_f32_e32 v4, v4
	v_ashrrev_i32_e32 v5, 31, v4
	global_store_dwordx2 v[1:2], v[4:5], off
.LBB24_2022:
	s_andn2_b32 vcc_lo, exec_lo, s0
	s_cbranch_vccnz .LBB24_2024
; %bb.2023:
	v_cvt_f32_f16_e32 v4, v3
	v_cvt_i32_f32_e32 v4, v4
	global_store_dword v[1:2], v4, off
.LBB24_2024:
	s_mov_b32 s0, 0
.LBB24_2025:
	s_andn2_b32 vcc_lo, exec_lo, s0
	s_cbranch_vccnz .LBB24_2027
; %bb.2026:
	v_cvt_i16_f16_e32 v4, v3
	global_store_short v[1:2], v4, off
.LBB24_2027:
	s_mov_b32 s0, 0
.LBB24_2028:
	s_andn2_b32 vcc_lo, exec_lo, s0
	s_cbranch_vccnz .LBB24_2033
; %bb.2029:
	s_cmp_gt_i32 s2, 0
	s_mov_b32 s0, -1
	s_cbranch_scc0 .LBB24_2031
; %bb.2030:
	v_cvt_i16_f16_e32 v4, v3
	s_mov_b32 s0, 0
	global_store_byte v[1:2], v4, off
.LBB24_2031:
	s_andn2_b32 vcc_lo, exec_lo, s0
	s_cbranch_vccnz .LBB24_2033
; %bb.2032:
	v_cvt_f32_f16_e32 v3, v3
	v_cvt_i32_f32_e32 v3, v3
	global_store_byte v[1:2], v3, off
.LBB24_2033:
	s_mov_b32 s4, -1
.LBB24_2034:
	s_andn2_b32 vcc_lo, exec_lo, s4
	s_cbranch_vccnz .LBB24_2111
; %bb.2035:
	s_waitcnt vmcnt(0)
	v_fma_mixlo_f16 v1, v8, v7, 0
	v_cmp_eq_f32_e32 vcc_lo, 1.0, v8
	v_add_co_u32 v0, s0, s8, v0
	s_cmp_lt_i32 s2, 11
	v_cndmask_b32_e32 v2, v1, v9, vcc_lo
	v_add_co_ci_u32_e64 v1, null, s9, 0, s0
	s_cbranch_scc1 .LBB24_2156
; %bb.2036:
	s_mov_b32 s4, -1
	s_mov_b32 s3, 0
	s_cmp_gt_i32 s2, 25
	s_mov_b32 s0, 0
	s_cbranch_scc0 .LBB24_2069
; %bb.2037:
	s_cmp_gt_i32 s2, 28
	s_cbranch_scc0 .LBB24_2053
; %bb.2038:
	s_cmp_gt_i32 s2, 43
	;; [unrolled: 3-line block ×3, first 2 shown]
	s_cbranch_scc0 .LBB24_2043
; %bb.2040:
	s_cmp_eq_u32 s2, 46
	s_mov_b32 s0, -1
	s_cbranch_scc0 .LBB24_2042
; %bb.2041:
	v_cvt_f32_f16_e32 v3, v2
	v_cmp_o_f16_e32 vcc_lo, v2, v2
	s_mov_b32 s0, 0
	v_bfe_u32 v4, v3, 16, 1
	v_add3_u32 v3, v3, v4, 0x7fff
	v_mov_b32_e32 v4, 0x7fc0
	v_cndmask_b32_sdwa v3, v4, v3, vcc_lo dst_sel:DWORD dst_unused:UNUSED_PAD src0_sel:DWORD src1_sel:WORD_1
	global_store_dword v[0:1], v3, off
.LBB24_2042:
	s_mov_b32 s4, 0
.LBB24_2043:
	s_and_b32 vcc_lo, exec_lo, s4
	s_cbranch_vccz .LBB24_2048
; %bb.2044:
	s_cmp_eq_u32 s2, 44
	s_mov_b32 s0, -1
	s_cbranch_scc0 .LBB24_2048
; %bb.2045:
	v_cvt_f32_f16_e32 v3, v2
	v_mov_b32_e32 v4, 0xff
	s_mov_b32 s4, exec_lo
	v_bfe_u32 v5, v3, 23, 8
	v_cmpx_ne_u32_e32 0xff, v5
	s_cbranch_execz .LBB24_2047
; %bb.2046:
	v_and_b32_e32 v4, 0x400000, v3
	v_and_or_b32 v5, 0x3fffff, v3, v5
	v_lshrrev_b32_e32 v3, 23, v3
	v_cmp_ne_u32_e32 vcc_lo, 0, v4
	v_cmp_ne_u32_e64 s0, 0, v5
	s_and_b32 s0, vcc_lo, s0
	v_cndmask_b32_e64 v4, 0, 1, s0
	v_add_nc_u32_e32 v4, v3, v4
.LBB24_2047:
	s_or_b32 exec_lo, exec_lo, s4
	s_mov_b32 s0, 0
	global_store_byte v[0:1], v4, off
.LBB24_2048:
	s_mov_b32 s4, 0
.LBB24_2049:
	s_and_b32 vcc_lo, exec_lo, s4
	s_cbranch_vccz .LBB24_2052
; %bb.2050:
	s_cmp_eq_u32 s2, 29
	s_mov_b32 s0, -1
	s_cbranch_scc0 .LBB24_2052
; %bb.2051:
	v_cvt_f32_f16_e32 v3, v2
	v_mov_b32_e32 v4, 0
	s_mov_b32 s0, 0
	v_cvt_u32_f32_e32 v3, v3
	global_store_dwordx2 v[0:1], v[3:4], off
.LBB24_2052:
	s_mov_b32 s4, 0
.LBB24_2053:
	s_and_b32 vcc_lo, exec_lo, s4
	s_cbranch_vccz .LBB24_2068
; %bb.2054:
	s_cmp_lt_i32 s2, 27
	s_mov_b32 s4, -1
	s_cbranch_scc1 .LBB24_2060
; %bb.2055:
	s_cmp_gt_i32 s2, 27
	s_cbranch_scc0 .LBB24_2057
; %bb.2056:
	v_cvt_f32_f16_e32 v3, v2
	s_mov_b32 s4, 0
	v_cvt_u32_f32_e32 v3, v3
	global_store_dword v[0:1], v3, off
.LBB24_2057:
	s_andn2_b32 vcc_lo, exec_lo, s4
	s_cbranch_vccnz .LBB24_2059
; %bb.2058:
	v_cvt_u16_f16_e32 v3, v2
	global_store_short v[0:1], v3, off
.LBB24_2059:
	s_mov_b32 s4, 0
.LBB24_2060:
	s_andn2_b32 vcc_lo, exec_lo, s4
	s_cbranch_vccnz .LBB24_2068
; %bb.2061:
	v_cvt_f32_f16_e32 v3, v2
	v_mov_b32_e32 v5, 0x80
	s_mov_b32 s4, exec_lo
	v_and_b32_e32 v4, 0x7fffffff, v3
	v_cmpx_gt_u32_e32 0x43800000, v4
	s_cbranch_execz .LBB24_2067
; %bb.2062:
	v_cmp_lt_u32_e32 vcc_lo, 0x3bffffff, v4
	s_mov_b32 s5, 0
                                        ; implicit-def: $vgpr4
	s_and_saveexec_b32 s7, vcc_lo
	s_xor_b32 s7, exec_lo, s7
	s_cbranch_execz .LBB24_2173
; %bb.2063:
	v_bfe_u32 v4, v3, 20, 1
	s_mov_b32 s5, exec_lo
	v_add3_u32 v4, v3, v4, 0x487ffff
	v_lshrrev_b32_e32 v4, 20, v4
	s_andn2_saveexec_b32 s7, s7
	s_cbranch_execnz .LBB24_2174
.LBB24_2064:
	s_or_b32 exec_lo, exec_lo, s7
	v_mov_b32_e32 v5, 0
	s_and_saveexec_b32 s7, s5
.LBB24_2065:
	v_lshrrev_b32_e32 v3, 24, v3
	v_and_or_b32 v5, 0x80, v3, v4
.LBB24_2066:
	s_or_b32 exec_lo, exec_lo, s7
.LBB24_2067:
	s_or_b32 exec_lo, exec_lo, s4
	global_store_byte v[0:1], v5, off
.LBB24_2068:
	s_mov_b32 s4, 0
.LBB24_2069:
	s_and_b32 vcc_lo, exec_lo, s4
	s_cbranch_vccz .LBB24_2109
; %bb.2070:
	s_cmp_gt_i32 s2, 22
	s_mov_b32 s3, -1
	s_cbranch_scc0 .LBB24_2102
; %bb.2071:
	s_cmp_lt_i32 s2, 24
	s_cbranch_scc1 .LBB24_2091
; %bb.2072:
	s_cmp_gt_i32 s2, 24
	s_cbranch_scc0 .LBB24_2080
; %bb.2073:
	v_cvt_f32_f16_e32 v3, v2
	v_mov_b32_e32 v5, 0x80
	s_mov_b32 s3, exec_lo
	v_and_b32_e32 v4, 0x7fffffff, v3
	v_cmpx_gt_u32_e32 0x47800000, v4
	s_cbranch_execz .LBB24_2079
; %bb.2074:
	v_cmp_lt_u32_e32 vcc_lo, 0x37ffffff, v4
	s_mov_b32 s4, 0
                                        ; implicit-def: $vgpr4
	s_and_saveexec_b32 s5, vcc_lo
	s_xor_b32 s5, exec_lo, s5
	s_cbranch_execz .LBB24_2176
; %bb.2075:
	v_bfe_u32 v4, v3, 21, 1
	s_mov_b32 s4, exec_lo
	v_add3_u32 v4, v3, v4, 0x88fffff
	v_lshrrev_b32_e32 v4, 21, v4
	s_andn2_saveexec_b32 s5, s5
	s_cbranch_execnz .LBB24_2177
.LBB24_2076:
	s_or_b32 exec_lo, exec_lo, s5
	v_mov_b32_e32 v5, 0
	s_and_saveexec_b32 s5, s4
.LBB24_2077:
	v_lshrrev_b32_e32 v3, 24, v3
	v_and_or_b32 v5, 0x80, v3, v4
.LBB24_2078:
	s_or_b32 exec_lo, exec_lo, s5
.LBB24_2079:
	s_or_b32 exec_lo, exec_lo, s3
	s_mov_b32 s3, 0
	global_store_byte v[0:1], v5, off
.LBB24_2080:
	s_and_b32 vcc_lo, exec_lo, s3
	s_cbranch_vccz .LBB24_2090
; %bb.2081:
	v_cvt_f32_f16_e32 v3, v2
	s_mov_b32 s3, exec_lo
                                        ; implicit-def: $vgpr4
	v_and_b32_e32 v5, 0x7fffffff, v3
	v_cmpx_gt_u32_e32 0x43f00000, v5
	s_xor_b32 s3, exec_lo, s3
	s_cbranch_execz .LBB24_2087
; %bb.2082:
	s_mov_b32 s4, exec_lo
                                        ; implicit-def: $vgpr4
	v_cmpx_lt_u32_e32 0x3c7fffff, v5
	s_xor_b32 s4, exec_lo, s4
; %bb.2083:
	v_bfe_u32 v4, v3, 20, 1
	v_add3_u32 v4, v3, v4, 0x407ffff
	v_and_b32_e32 v5, 0xff00000, v4
	v_lshrrev_b32_e32 v4, 20, v4
	v_cmp_ne_u32_e32 vcc_lo, 0x7f00000, v5
	v_cndmask_b32_e32 v4, 0x7e, v4, vcc_lo
; %bb.2084:
	s_andn2_saveexec_b32 s4, s4
; %bb.2085:
	v_add_f32_e64 v4, 0x46800000, |v3|
; %bb.2086:
	s_or_b32 exec_lo, exec_lo, s4
                                        ; implicit-def: $vgpr5
.LBB24_2087:
	s_andn2_saveexec_b32 s3, s3
; %bb.2088:
	v_mov_b32_e32 v4, 0x7f
	v_cmp_lt_u32_e32 vcc_lo, 0x7f800000, v5
	v_cndmask_b32_e32 v4, 0x7e, v4, vcc_lo
; %bb.2089:
	s_or_b32 exec_lo, exec_lo, s3
	v_lshrrev_b32_e32 v3, 24, v3
	v_and_or_b32 v3, 0x80, v3, v4
	global_store_byte v[0:1], v3, off
.LBB24_2090:
	s_mov_b32 s3, 0
.LBB24_2091:
	s_andn2_b32 vcc_lo, exec_lo, s3
	s_cbranch_vccnz .LBB24_2101
; %bb.2092:
	v_cvt_f32_f16_e32 v3, v2
	s_mov_b32 s3, exec_lo
                                        ; implicit-def: $vgpr4
	v_and_b32_e32 v5, 0x7fffffff, v3
	v_cmpx_gt_u32_e32 0x47800000, v5
	s_xor_b32 s3, exec_lo, s3
	s_cbranch_execz .LBB24_2098
; %bb.2093:
	s_mov_b32 s4, exec_lo
                                        ; implicit-def: $vgpr4
	v_cmpx_lt_u32_e32 0x387fffff, v5
	s_xor_b32 s4, exec_lo, s4
; %bb.2094:
	v_bfe_u32 v4, v3, 21, 1
	v_add3_u32 v4, v3, v4, 0x80fffff
	v_lshrrev_b32_e32 v4, 21, v4
; %bb.2095:
	s_andn2_saveexec_b32 s4, s4
; %bb.2096:
	v_add_f32_e64 v4, 0x43000000, |v3|
; %bb.2097:
	s_or_b32 exec_lo, exec_lo, s4
                                        ; implicit-def: $vgpr5
.LBB24_2098:
	s_andn2_saveexec_b32 s3, s3
; %bb.2099:
	v_mov_b32_e32 v4, 0x7f
	v_cmp_lt_u32_e32 vcc_lo, 0x7f800000, v5
	v_cndmask_b32_e32 v4, 0x7c, v4, vcc_lo
; %bb.2100:
	s_or_b32 exec_lo, exec_lo, s3
	v_lshrrev_b32_e32 v3, 24, v3
	v_and_or_b32 v3, 0x80, v3, v4
	global_store_byte v[0:1], v3, off
.LBB24_2101:
	s_mov_b32 s3, 0
.LBB24_2102:
	s_andn2_b32 vcc_lo, exec_lo, s3
	s_mov_b32 s3, 0
	s_cbranch_vccnz .LBB24_2109
; %bb.2103:
	s_cmp_gt_i32 s2, 14
	s_mov_b32 s3, -1
	s_cbranch_scc0 .LBB24_2107
; %bb.2104:
	s_cmp_eq_u32 s2, 15
	s_mov_b32 s0, -1
	s_cbranch_scc0 .LBB24_2106
; %bb.2105:
	v_cvt_f32_f16_e32 v3, v2
	v_cmp_o_f16_e32 vcc_lo, v2, v2
	s_mov_b32 s0, 0
	v_bfe_u32 v4, v3, 16, 1
	v_add3_u32 v3, v3, v4, 0x7fff
	v_mov_b32_e32 v4, 0x7fc0
	v_cndmask_b32_sdwa v3, v4, v3, vcc_lo dst_sel:DWORD dst_unused:UNUSED_PAD src0_sel:DWORD src1_sel:WORD_1
	global_store_short v[0:1], v3, off
.LBB24_2106:
	s_mov_b32 s3, 0
.LBB24_2107:
	s_and_b32 vcc_lo, exec_lo, s3
	s_mov_b32 s3, 0
	s_cbranch_vccz .LBB24_2109
; %bb.2108:
	s_cmp_lg_u32 s2, 11
	s_mov_b32 s3, -1
	s_cselect_b32 s0, -1, 0
.LBB24_2109:
	s_and_b32 vcc_lo, exec_lo, s0
	s_cbranch_vccnz .LBB24_2175
.LBB24_2110:
	s_mov_b32 s0, 0
	s_branch .LBB24_2112
.LBB24_2111:
	s_mov_b32 s0, 0
	s_mov_b32 s3, 0
                                        ; implicit-def: $vgpr0_vgpr1
                                        ; implicit-def: $sgpr6
                                        ; implicit-def: $vgpr2
.LBB24_2112:
	s_andn2_b32 s2, s16, exec_lo
	s_and_b32 s1, s1, exec_lo
	s_and_b32 s0, s0, exec_lo
	;; [unrolled: 1-line block ×3, first 2 shown]
	s_or_b32 s16, s2, s1
.LBB24_2113:
	s_or_b32 exec_lo, exec_lo, s17
	s_and_saveexec_b32 s1, s16
	s_cbranch_execz .LBB24_2116
; %bb.2114:
	; divergent unreachable
	s_or_b32 exec_lo, exec_lo, s1
	s_and_saveexec_b32 s1, s30
	s_xor_b32 s1, exec_lo, s1
	s_cbranch_execnz .LBB24_2117
.LBB24_2115:
	s_or_b32 exec_lo, exec_lo, s1
	s_and_saveexec_b32 s1, s0
	s_cbranch_execnz .LBB24_2118
	s_branch .LBB24_2155
.LBB24_2116:
	s_or_b32 exec_lo, exec_lo, s1
	s_and_saveexec_b32 s1, s30
	s_xor_b32 s1, exec_lo, s1
	s_cbranch_execz .LBB24_2115
.LBB24_2117:
	s_waitcnt vmcnt(0)
	v_and_b32_e32 v3, 0x7fff, v2
	v_cmp_ne_u16_e32 vcc_lo, 0, v3
	v_cndmask_b32_e64 v3, 0, 1, vcc_lo
	global_store_byte v[0:1], v3, off
	s_or_b32 exec_lo, exec_lo, s1
	s_and_saveexec_b32 s1, s0
	s_cbranch_execz .LBB24_2155
.LBB24_2118:
	s_sext_i32_i16 s1, s6
	s_mov_b32 s0, -1
	s_cmp_lt_i32 s1, 5
	s_cbranch_scc1 .LBB24_2139
; %bb.2119:
	s_cmp_lt_i32 s1, 8
	s_cbranch_scc1 .LBB24_2129
; %bb.2120:
	;; [unrolled: 3-line block ×3, first 2 shown]
	s_cmp_gt_i32 s1, 9
	s_cbranch_scc0 .LBB24_2123
; %bb.2122:
	s_waitcnt vmcnt(0)
	v_cvt_f32_f16_e32 v3, v2
	v_mov_b32_e32 v5, 0
	s_mov_b32 s0, 0
	v_cvt_f64_f32_e32 v[3:4], v3
	v_mov_b32_e32 v6, v5
	global_store_dwordx4 v[0:1], v[3:6], off
.LBB24_2123:
	s_andn2_b32 vcc_lo, exec_lo, s0
	s_cbranch_vccnz .LBB24_2125
; %bb.2124:
	s_waitcnt vmcnt(0)
	v_cvt_f32_f16_e32 v3, v2
	v_mov_b32_e32 v4, 0
	global_store_dwordx2 v[0:1], v[3:4], off
.LBB24_2125:
	s_mov_b32 s0, 0
.LBB24_2126:
	s_andn2_b32 vcc_lo, exec_lo, s0
	s_cbranch_vccnz .LBB24_2128
; %bb.2127:
	s_waitcnt vmcnt(0)
	v_and_b32_e32 v3, 0xffff, v2
	global_store_dword v[0:1], v3, off
.LBB24_2128:
	s_mov_b32 s0, 0
.LBB24_2129:
	s_andn2_b32 vcc_lo, exec_lo, s0
	s_cbranch_vccnz .LBB24_2138
; %bb.2130:
	s_sext_i32_i16 s1, s6
	s_mov_b32 s0, -1
	s_cmp_lt_i32 s1, 6
	s_cbranch_scc1 .LBB24_2136
; %bb.2131:
	s_cmp_gt_i32 s1, 6
	s_cbranch_scc0 .LBB24_2133
; %bb.2132:
	s_waitcnt vmcnt(0)
	v_cvt_f32_f16_e32 v3, v2
	s_mov_b32 s0, 0
	v_cvt_f64_f32_e32 v[3:4], v3
	global_store_dwordx2 v[0:1], v[3:4], off
.LBB24_2133:
	s_andn2_b32 vcc_lo, exec_lo, s0
	s_cbranch_vccnz .LBB24_2135
; %bb.2134:
	s_waitcnt vmcnt(0)
	v_cvt_f32_f16_e32 v3, v2
	global_store_dword v[0:1], v3, off
.LBB24_2135:
	s_mov_b32 s0, 0
.LBB24_2136:
	s_andn2_b32 vcc_lo, exec_lo, s0
	s_cbranch_vccnz .LBB24_2138
; %bb.2137:
	s_waitcnt vmcnt(0)
	global_store_short v[0:1], v2, off
.LBB24_2138:
	s_mov_b32 s0, 0
.LBB24_2139:
	s_andn2_b32 vcc_lo, exec_lo, s0
	s_cbranch_vccnz .LBB24_2155
; %bb.2140:
	s_sext_i32_i16 s1, s6
	s_mov_b32 s0, -1
	s_cmp_lt_i32 s1, 2
	s_cbranch_scc1 .LBB24_2150
; %bb.2141:
	s_cmp_lt_i32 s1, 3
	s_cbranch_scc1 .LBB24_2147
; %bb.2142:
	s_cmp_gt_i32 s1, 3
	s_cbranch_scc0 .LBB24_2144
; %bb.2143:
	s_waitcnt vmcnt(0)
	v_cvt_f32_f16_e32 v3, v2
	s_mov_b32 s0, 0
	v_cvt_i32_f32_e32 v3, v3
	v_ashrrev_i32_e32 v4, 31, v3
	global_store_dwordx2 v[0:1], v[3:4], off
.LBB24_2144:
	s_andn2_b32 vcc_lo, exec_lo, s0
	s_cbranch_vccnz .LBB24_2146
; %bb.2145:
	s_waitcnt vmcnt(0)
	v_cvt_f32_f16_e32 v3, v2
	v_cvt_i32_f32_e32 v3, v3
	global_store_dword v[0:1], v3, off
.LBB24_2146:
	s_mov_b32 s0, 0
.LBB24_2147:
	s_andn2_b32 vcc_lo, exec_lo, s0
	s_cbranch_vccnz .LBB24_2149
; %bb.2148:
	s_waitcnt vmcnt(0)
	v_cvt_i16_f16_e32 v3, v2
	global_store_short v[0:1], v3, off
.LBB24_2149:
	s_mov_b32 s0, 0
.LBB24_2150:
	s_andn2_b32 vcc_lo, exec_lo, s0
	s_cbranch_vccnz .LBB24_2155
; %bb.2151:
	s_sext_i32_i16 s0, s6
	s_cmp_gt_i32 s0, 0
	s_mov_b32 s0, -1
	s_cbranch_scc0 .LBB24_2153
; %bb.2152:
	s_waitcnt vmcnt(0)
	v_cvt_i16_f16_e32 v3, v2
	s_mov_b32 s0, 0
	global_store_byte v[0:1], v3, off
.LBB24_2153:
	s_andn2_b32 vcc_lo, exec_lo, s0
	s_cbranch_vccnz .LBB24_2155
; %bb.2154:
	v_cvt_f32_f16_e32 v2, v2
	v_cvt_i32_f32_e32 v2, v2
	s_waitcnt vmcnt(0)
	global_store_byte v[0:1], v2, off
	s_endpgm
.LBB24_2155:
	s_endpgm
.LBB24_2156:
	s_mov_b32 s3, 0
	s_mov_b32 s0, -1
	s_branch .LBB24_2112
.LBB24_2157:
	s_or_b32 s1, s1, exec_lo
	s_trap 2
	s_cbranch_execz .LBB24_1624
	s_branch .LBB24_1625
.LBB24_2158:
	s_andn2_saveexec_b32 s7, s7
	s_cbranch_execz .LBB24_1706
.LBB24_2159:
	v_add_f32_e64 v16, 0x46000000, |v12|
	s_andn2_b32 s5, s5, exec_lo
	v_and_b32_e32 v16, 0xff, v16
	v_cmp_ne_u32_e32 vcc_lo, 0, v16
	s_and_b32 s10, vcc_lo, exec_lo
	s_or_b32 s5, s5, s10
	s_or_b32 exec_lo, exec_lo, s7
	v_mov_b32_e32 v17, 0
	s_and_saveexec_b32 s7, s5
	s_cbranch_execnz .LBB24_1707
	s_branch .LBB24_1708
.LBB24_2160:
	s_or_b32 s1, s1, exec_lo
	s_trap 2
	s_cbranch_execz .LBB24_1754
	s_branch .LBB24_1755
.LBB24_2161:
	s_andn2_saveexec_b32 s5, s5
	s_cbranch_execz .LBB24_1719
.LBB24_2162:
	v_add_f32_e64 v16, 0x42800000, |v12|
	s_andn2_b32 s4, s4, exec_lo
	v_and_b32_e32 v16, 0xff, v16
	v_cmp_ne_u32_e32 vcc_lo, 0, v16
	s_and_b32 s7, vcc_lo, exec_lo
	s_or_b32 s4, s4, s7
	s_or_b32 exec_lo, exec_lo, s5
	v_mov_b32_e32 v17, 0
	s_and_saveexec_b32 s5, s4
	s_cbranch_execnz .LBB24_1720
	s_branch .LBB24_1721
.LBB24_2163:
	s_andn2_saveexec_b32 s7, s7
	s_cbranch_execz .LBB24_1825
.LBB24_2164:
	v_add_f32_e64 v6, 0x46000000, |v5|
	s_andn2_b32 s5, s5, exec_lo
	v_and_b32_e32 v6, 0xff, v6
	v_cmp_ne_u32_e32 vcc_lo, 0, v6
	s_and_b32 s10, vcc_lo, exec_lo
	s_or_b32 s5, s5, s10
	s_or_b32 exec_lo, exec_lo, s7
	v_mov_b32_e32 v11, 0
	s_and_saveexec_b32 s7, s5
	s_cbranch_execnz .LBB24_1826
	s_branch .LBB24_1827
.LBB24_2165:
	s_or_b32 s1, s1, exec_lo
	s_trap 2
	s_cbranch_execz .LBB24_1873
	s_branch .LBB24_1874
.LBB24_2166:
	s_andn2_saveexec_b32 s5, s5
	s_cbranch_execz .LBB24_1838
.LBB24_2167:
	v_add_f32_e64 v6, 0x42800000, |v5|
	s_andn2_b32 s4, s4, exec_lo
	v_and_b32_e32 v6, 0xff, v6
	v_cmp_ne_u32_e32 vcc_lo, 0, v6
	s_and_b32 s7, vcc_lo, exec_lo
	s_or_b32 s4, s4, s7
	s_or_b32 exec_lo, exec_lo, s5
	v_mov_b32_e32 v11, 0
	s_and_saveexec_b32 s5, s4
	s_cbranch_execnz .LBB24_1839
	s_branch .LBB24_1840
.LBB24_2168:
	s_andn2_saveexec_b32 s7, s7
	s_cbranch_execz .LBB24_1944
.LBB24_2169:
	v_add_f32_e64 v5, 0x46000000, |v4|
	s_andn2_b32 s5, s5, exec_lo
	v_and_b32_e32 v5, 0xff, v5
	v_cmp_ne_u32_e32 vcc_lo, 0, v5
	s_and_b32 s10, vcc_lo, exec_lo
	s_or_b32 s5, s5, s10
	s_or_b32 exec_lo, exec_lo, s7
	v_mov_b32_e32 v6, 0
	s_and_saveexec_b32 s7, s5
	s_cbranch_execnz .LBB24_1945
	s_branch .LBB24_1946
.LBB24_2170:
	s_or_b32 s1, s1, exec_lo
	s_trap 2
	s_cbranch_execz .LBB24_1992
	s_branch .LBB24_1993
.LBB24_2171:
	s_andn2_saveexec_b32 s5, s5
	s_cbranch_execz .LBB24_1957
.LBB24_2172:
	v_add_f32_e64 v5, 0x42800000, |v4|
	s_andn2_b32 s4, s4, exec_lo
	v_and_b32_e32 v5, 0xff, v5
	v_cmp_ne_u32_e32 vcc_lo, 0, v5
	s_and_b32 s7, vcc_lo, exec_lo
	s_or_b32 s4, s4, s7
	s_or_b32 exec_lo, exec_lo, s5
	v_mov_b32_e32 v6, 0
	s_and_saveexec_b32 s5, s4
	s_cbranch_execnz .LBB24_1958
	s_branch .LBB24_1959
.LBB24_2173:
	s_andn2_saveexec_b32 s7, s7
	s_cbranch_execz .LBB24_2064
.LBB24_2174:
	v_add_f32_e64 v4, 0x46000000, |v3|
	s_andn2_b32 s5, s5, exec_lo
	v_and_b32_e32 v4, 0xff, v4
	v_cmp_ne_u32_e32 vcc_lo, 0, v4
	s_and_b32 s8, vcc_lo, exec_lo
	s_or_b32 s5, s5, s8
	s_or_b32 exec_lo, exec_lo, s7
	v_mov_b32_e32 v5, 0
	s_and_saveexec_b32 s7, s5
	s_cbranch_execnz .LBB24_2065
	s_branch .LBB24_2066
.LBB24_2175:
	s_mov_b32 s3, 0
	s_or_b32 s1, s1, exec_lo
	s_trap 2
	s_branch .LBB24_2110
.LBB24_2176:
	s_andn2_saveexec_b32 s5, s5
	s_cbranch_execz .LBB24_2076
.LBB24_2177:
	v_add_f32_e64 v4, 0x42800000, |v3|
	s_andn2_b32 s4, s4, exec_lo
	v_and_b32_e32 v4, 0xff, v4
	v_cmp_ne_u32_e32 vcc_lo, 0, v4
	s_and_b32 s7, vcc_lo, exec_lo
	s_or_b32 s4, s4, s7
	s_or_b32 exec_lo, exec_lo, s5
	v_mov_b32_e32 v5, 0
	s_and_saveexec_b32 s5, s4
	s_cbranch_execnz .LBB24_2077
	s_branch .LBB24_2078
	.section	.rodata,"a",@progbits
	.p2align	6, 0x0
	.amdhsa_kernel _ZN2at6native32elementwise_kernel_manual_unrollILi128ELi4EZNS0_15gpu_kernel_implIZZZNS0_12_GLOBAL__N_139_amp_non_finite_check_and_unscale_cuda_ERNS_6TensorES5_RKS4_ENKUlvE_clEvENKUlvE1_clEvEUlN3c104HalfEE_EEvRNS_18TensorIteratorBaseERKT_EUlibE0_EEviT1_
		.amdhsa_group_segment_fixed_size 0
		.amdhsa_private_segment_fixed_size 0
		.amdhsa_kernarg_size 376
		.amdhsa_user_sgpr_count 6
		.amdhsa_user_sgpr_private_segment_buffer 1
		.amdhsa_user_sgpr_dispatch_ptr 0
		.amdhsa_user_sgpr_queue_ptr 0
		.amdhsa_user_sgpr_kernarg_segment_ptr 1
		.amdhsa_user_sgpr_dispatch_id 0
		.amdhsa_user_sgpr_flat_scratch_init 0
		.amdhsa_user_sgpr_private_segment_size 0
		.amdhsa_wavefront_size32 1
		.amdhsa_uses_dynamic_stack 0
		.amdhsa_system_sgpr_private_segment_wavefront_offset 0
		.amdhsa_system_sgpr_workgroup_id_x 1
		.amdhsa_system_sgpr_workgroup_id_y 0
		.amdhsa_system_sgpr_workgroup_id_z 0
		.amdhsa_system_sgpr_workgroup_info 0
		.amdhsa_system_vgpr_workitem_id 0
		.amdhsa_next_free_vgpr 21
		.amdhsa_next_free_sgpr 72
		.amdhsa_reserve_vcc 1
		.amdhsa_reserve_flat_scratch 0
		.amdhsa_float_round_mode_32 0
		.amdhsa_float_round_mode_16_64 0
		.amdhsa_float_denorm_mode_32 3
		.amdhsa_float_denorm_mode_16_64 3
		.amdhsa_dx10_clamp 1
		.amdhsa_ieee_mode 1
		.amdhsa_fp16_overflow 0
		.amdhsa_workgroup_processor_mode 1
		.amdhsa_memory_ordered 1
		.amdhsa_forward_progress 1
		.amdhsa_shared_vgpr_count 0
		.amdhsa_exception_fp_ieee_invalid_op 0
		.amdhsa_exception_fp_denorm_src 0
		.amdhsa_exception_fp_ieee_div_zero 0
		.amdhsa_exception_fp_ieee_overflow 0
		.amdhsa_exception_fp_ieee_underflow 0
		.amdhsa_exception_fp_ieee_inexact 0
		.amdhsa_exception_int_div_zero 0
	.end_amdhsa_kernel
	.section	.text._ZN2at6native32elementwise_kernel_manual_unrollILi128ELi4EZNS0_15gpu_kernel_implIZZZNS0_12_GLOBAL__N_139_amp_non_finite_check_and_unscale_cuda_ERNS_6TensorES5_RKS4_ENKUlvE_clEvENKUlvE1_clEvEUlN3c104HalfEE_EEvRNS_18TensorIteratorBaseERKT_EUlibE0_EEviT1_,"axG",@progbits,_ZN2at6native32elementwise_kernel_manual_unrollILi128ELi4EZNS0_15gpu_kernel_implIZZZNS0_12_GLOBAL__N_139_amp_non_finite_check_and_unscale_cuda_ERNS_6TensorES5_RKS4_ENKUlvE_clEvENKUlvE1_clEvEUlN3c104HalfEE_EEvRNS_18TensorIteratorBaseERKT_EUlibE0_EEviT1_,comdat
.Lfunc_end24:
	.size	_ZN2at6native32elementwise_kernel_manual_unrollILi128ELi4EZNS0_15gpu_kernel_implIZZZNS0_12_GLOBAL__N_139_amp_non_finite_check_and_unscale_cuda_ERNS_6TensorES5_RKS4_ENKUlvE_clEvENKUlvE1_clEvEUlN3c104HalfEE_EEvRNS_18TensorIteratorBaseERKT_EUlibE0_EEviT1_, .Lfunc_end24-_ZN2at6native32elementwise_kernel_manual_unrollILi128ELi4EZNS0_15gpu_kernel_implIZZZNS0_12_GLOBAL__N_139_amp_non_finite_check_and_unscale_cuda_ERNS_6TensorES5_RKS4_ENKUlvE_clEvENKUlvE1_clEvEUlN3c104HalfEE_EEvRNS_18TensorIteratorBaseERKT_EUlibE0_EEviT1_
                                        ; -- End function
	.set _ZN2at6native32elementwise_kernel_manual_unrollILi128ELi4EZNS0_15gpu_kernel_implIZZZNS0_12_GLOBAL__N_139_amp_non_finite_check_and_unscale_cuda_ERNS_6TensorES5_RKS4_ENKUlvE_clEvENKUlvE1_clEvEUlN3c104HalfEE_EEvRNS_18TensorIteratorBaseERKT_EUlibE0_EEviT1_.num_vgpr, 21
	.set _ZN2at6native32elementwise_kernel_manual_unrollILi128ELi4EZNS0_15gpu_kernel_implIZZZNS0_12_GLOBAL__N_139_amp_non_finite_check_and_unscale_cuda_ERNS_6TensorES5_RKS4_ENKUlvE_clEvENKUlvE1_clEvEUlN3c104HalfEE_EEvRNS_18TensorIteratorBaseERKT_EUlibE0_EEviT1_.num_agpr, 0
	.set _ZN2at6native32elementwise_kernel_manual_unrollILi128ELi4EZNS0_15gpu_kernel_implIZZZNS0_12_GLOBAL__N_139_amp_non_finite_check_and_unscale_cuda_ERNS_6TensorES5_RKS4_ENKUlvE_clEvENKUlvE1_clEvEUlN3c104HalfEE_EEvRNS_18TensorIteratorBaseERKT_EUlibE0_EEviT1_.numbered_sgpr, 72
	.set _ZN2at6native32elementwise_kernel_manual_unrollILi128ELi4EZNS0_15gpu_kernel_implIZZZNS0_12_GLOBAL__N_139_amp_non_finite_check_and_unscale_cuda_ERNS_6TensorES5_RKS4_ENKUlvE_clEvENKUlvE1_clEvEUlN3c104HalfEE_EEvRNS_18TensorIteratorBaseERKT_EUlibE0_EEviT1_.num_named_barrier, 0
	.set _ZN2at6native32elementwise_kernel_manual_unrollILi128ELi4EZNS0_15gpu_kernel_implIZZZNS0_12_GLOBAL__N_139_amp_non_finite_check_and_unscale_cuda_ERNS_6TensorES5_RKS4_ENKUlvE_clEvENKUlvE1_clEvEUlN3c104HalfEE_EEvRNS_18TensorIteratorBaseERKT_EUlibE0_EEviT1_.private_seg_size, 0
	.set _ZN2at6native32elementwise_kernel_manual_unrollILi128ELi4EZNS0_15gpu_kernel_implIZZZNS0_12_GLOBAL__N_139_amp_non_finite_check_and_unscale_cuda_ERNS_6TensorES5_RKS4_ENKUlvE_clEvENKUlvE1_clEvEUlN3c104HalfEE_EEvRNS_18TensorIteratorBaseERKT_EUlibE0_EEviT1_.uses_vcc, 1
	.set _ZN2at6native32elementwise_kernel_manual_unrollILi128ELi4EZNS0_15gpu_kernel_implIZZZNS0_12_GLOBAL__N_139_amp_non_finite_check_and_unscale_cuda_ERNS_6TensorES5_RKS4_ENKUlvE_clEvENKUlvE1_clEvEUlN3c104HalfEE_EEvRNS_18TensorIteratorBaseERKT_EUlibE0_EEviT1_.uses_flat_scratch, 0
	.set _ZN2at6native32elementwise_kernel_manual_unrollILi128ELi4EZNS0_15gpu_kernel_implIZZZNS0_12_GLOBAL__N_139_amp_non_finite_check_and_unscale_cuda_ERNS_6TensorES5_RKS4_ENKUlvE_clEvENKUlvE1_clEvEUlN3c104HalfEE_EEvRNS_18TensorIteratorBaseERKT_EUlibE0_EEviT1_.has_dyn_sized_stack, 0
	.set _ZN2at6native32elementwise_kernel_manual_unrollILi128ELi4EZNS0_15gpu_kernel_implIZZZNS0_12_GLOBAL__N_139_amp_non_finite_check_and_unscale_cuda_ERNS_6TensorES5_RKS4_ENKUlvE_clEvENKUlvE1_clEvEUlN3c104HalfEE_EEvRNS_18TensorIteratorBaseERKT_EUlibE0_EEviT1_.has_recursion, 0
	.set _ZN2at6native32elementwise_kernel_manual_unrollILi128ELi4EZNS0_15gpu_kernel_implIZZZNS0_12_GLOBAL__N_139_amp_non_finite_check_and_unscale_cuda_ERNS_6TensorES5_RKS4_ENKUlvE_clEvENKUlvE1_clEvEUlN3c104HalfEE_EEvRNS_18TensorIteratorBaseERKT_EUlibE0_EEviT1_.has_indirect_call, 0
	.section	.AMDGPU.csdata,"",@progbits
; Kernel info:
; codeLenInByte = 40988
; TotalNumSgprs: 74
; NumVgprs: 21
; ScratchSize: 0
; MemoryBound: 0
; FloatMode: 240
; IeeeMode: 1
; LDSByteSize: 0 bytes/workgroup (compile time only)
; SGPRBlocks: 0
; VGPRBlocks: 2
; NumSGPRsForWavesPerEU: 74
; NumVGPRsForWavesPerEU: 21
; Occupancy: 16
; WaveLimiterHint : 1
; COMPUTE_PGM_RSRC2:SCRATCH_EN: 0
; COMPUTE_PGM_RSRC2:USER_SGPR: 6
; COMPUTE_PGM_RSRC2:TRAP_HANDLER: 0
; COMPUTE_PGM_RSRC2:TGID_X_EN: 1
; COMPUTE_PGM_RSRC2:TGID_Y_EN: 0
; COMPUTE_PGM_RSRC2:TGID_Z_EN: 0
; COMPUTE_PGM_RSRC2:TIDIG_COMP_CNT: 0
	.section	.text._ZN2at6native12_GLOBAL__N_125multi_tensor_apply_kernelINS1_18TensorListMetadataILi1EEENS1_14UnaryOpFunctorIdLi1ELi1ELi0EEEJZZZNS0_47_amp_foreach_non_finite_check_and_unscale_cuda_EN3c108ArrayRefINS_6TensorEEERS9_RKS9_ENKUlvE_clEvENKUlvE_clEvEUldE_EEEvT_T0_DpT1_,"axG",@progbits,_ZN2at6native12_GLOBAL__N_125multi_tensor_apply_kernelINS1_18TensorListMetadataILi1EEENS1_14UnaryOpFunctorIdLi1ELi1ELi0EEEJZZZNS0_47_amp_foreach_non_finite_check_and_unscale_cuda_EN3c108ArrayRefINS_6TensorEEERS9_RKS9_ENKUlvE_clEvENKUlvE_clEvEUldE_EEEvT_T0_DpT1_,comdat
	.globl	_ZN2at6native12_GLOBAL__N_125multi_tensor_apply_kernelINS1_18TensorListMetadataILi1EEENS1_14UnaryOpFunctorIdLi1ELi1ELi0EEEJZZZNS0_47_amp_foreach_non_finite_check_and_unscale_cuda_EN3c108ArrayRefINS_6TensorEEERS9_RKS9_ENKUlvE_clEvENKUlvE_clEvEUldE_EEEvT_T0_DpT1_ ; -- Begin function _ZN2at6native12_GLOBAL__N_125multi_tensor_apply_kernelINS1_18TensorListMetadataILi1EEENS1_14UnaryOpFunctorIdLi1ELi1ELi0EEEJZZZNS0_47_amp_foreach_non_finite_check_and_unscale_cuda_EN3c108ArrayRefINS_6TensorEEERS9_RKS9_ENKUlvE_clEvENKUlvE_clEvEUldE_EEEvT_T0_DpT1_
	.p2align	8
	.type	_ZN2at6native12_GLOBAL__N_125multi_tensor_apply_kernelINS1_18TensorListMetadataILi1EEENS1_14UnaryOpFunctorIdLi1ELi1ELi0EEEJZZZNS0_47_amp_foreach_non_finite_check_and_unscale_cuda_EN3c108ArrayRefINS_6TensorEEERS9_RKS9_ENKUlvE_clEvENKUlvE_clEvEUldE_EEEvT_T0_DpT1_,@function
_ZN2at6native12_GLOBAL__N_125multi_tensor_apply_kernelINS1_18TensorListMetadataILi1EEENS1_14UnaryOpFunctorIdLi1ELi1ELi0EEEJZZZNS0_47_amp_foreach_non_finite_check_and_unscale_cuda_EN3c108ArrayRefINS_6TensorEEERS9_RKS9_ENKUlvE_clEvENKUlvE_clEvEUldE_EEEvT_T0_DpT1_: ; @_ZN2at6native12_GLOBAL__N_125multi_tensor_apply_kernelINS1_18TensorListMetadataILi1EEENS1_14UnaryOpFunctorIdLi1ELi1ELi0EEEJZZZNS0_47_amp_foreach_non_finite_check_and_unscale_cuda_EN3c108ArrayRefINS_6TensorEEERS9_RKS9_ENKUlvE_clEvENKUlvE_clEvEUldE_EEEvT_T0_DpT1_
; %bb.0:
	v_mov_b32_e32 v1, s6
	s_add_u32 s0, s4, s6
	s_mul_hi_u32 s1, s6, 3
	s_mul_i32 s6, s6, 3
	s_addc_u32 s2, s5, 0
	global_load_ubyte v1, v1, s[4:5] offset:1760
	s_add_u32 s0, s0, s6
	s_addc_u32 s1, s2, s1
	s_mov_b32 s17, 0
	s_load_dword s0, s[0:1], 0x820
	s_waitcnt vmcnt(0)
	v_readfirstlane_b32 s1, v1
	s_lshl_b32 s1, s1, 3
	s_clause 0x2
	s_load_dwordx2 s[6:7], s[4:5], s1 offset:0x0
	s_load_dwordx2 s[2:3], s[4:5], s1 offset:0x370
	s_load_dwordx4 s[8:11], s[4:5], 0xd30
	s_waitcnt lgkmcnt(0)
	s_ashr_i32 s1, s0, 31
	s_lshl_b64 s[12:13], s[0:1], 19
	s_lshl_b64 s[0:1], s[0:1], 16
	s_and_b32 s16, s6, 31
	s_sub_u32 s14, s2, s0
	s_subb_u32 s15, s3, s1
	s_and_b32 s0, s2, 3
	s_mov_b32 s1, s17
	s_or_b64 s[0:1], s[16:17], s[0:1]
	s_cmp_eq_u64 s[0:1], 0
	s_cbranch_scc1 .LBB25_29
; %bb.1:
	v_cmp_lt_i64_e64 s0, s[14:15], 1
	s_and_b32 vcc_lo, exec_lo, s0
	s_cbranch_vccnz .LBB25_28
; %bb.2:
	s_load_dword s0, s[4:5], 0xd4c
	v_cmp_gt_i64_e64 s1, 0x10000, s[14:15]
	v_cmp_gt_u64_e64 s2, 0x10000, s[14:15]
	v_lshlrev_b32_e32 v1, 3, v0
	v_mov_b32_e32 v21, 0
	v_mov_b32_e32 v28, 1.0
	s_and_b32 s1, s1, exec_lo
	s_cselect_b32 s17, s15, 0
	s_cselect_b32 s16, s14, 0x10000
	s_waitcnt lgkmcnt(0)
	s_and_b32 s0, s0, 0xffff
	s_and_b32 s1, s2, exec_lo
	v_add_co_u32 v22, s3, v0, s0
	s_cselect_b32 s19, s15, 0
	s_cselect_b32 s18, s14, 0x10000
	s_lshl_b32 s1, s0, 1
	v_lshlrev_b32_e32 v3, 3, v22
	s_lshl_b32 s22, s0, 2
	s_mul_i32 s2, s0, 3
	s_add_u32 s20, s6, s12
	v_add_co_u32 v26, s1, s1, v0
	s_addc_u32 s21, s7, s13
	v_add_co_u32 v1, s24, s20, v1
	v_add_co_u32 v23, s2, s2, v0
	v_add_co_ci_u32_e64 v27, null, 0, 0, s1
	v_add_co_u32 v3, s1, s20, v3
	v_add_co_ci_u32_e64 v2, null, s21, 0, s24
	v_add_co_ci_u32_e64 v24, null, 0, 0, s2
	;; [unrolled: 1-line block ×4, first 2 shown]
	s_lshl_b32 s23, s0, 5
	s_mul_i32 s24, s0, 24
	s_lshl_b32 s25, s0, 4
	s_mov_b64 s[20:21], 0
	s_branch .LBB25_4
.LBB25_3:                               ;   in Loop: Header=BB25_4 Depth=1
	s_or_b32 exec_lo, exec_lo, s0
	s_add_u32 s20, s20, s22
	s_addc_u32 s21, s21, 0
	v_add_co_u32 v1, vcc_lo, v1, s23
	v_cmp_ge_i64_e64 s0, s[20:21], s[16:17]
	v_add_co_ci_u32_e64 v2, null, 0, v2, vcc_lo
	v_add_co_u32 v3, vcc_lo, v3, s23
	v_add_co_ci_u32_e64 v4, null, 0, v4, vcc_lo
	s_and_b32 vcc_lo, exec_lo, s0
	s_cbranch_vccnz .LBB25_28
.LBB25_4:                               ; =>This Inner Loop Header: Depth=1
	v_add_co_u32 v7, s0, v0, s20
	v_add_co_ci_u32_e64 v8, null, 0, s21, s0
	v_mov_b32_e32 v5, 0
	v_mov_b32_e32 v9, 0
	;; [unrolled: 1-line block ×3, first 2 shown]
	v_cmp_gt_u64_e32 vcc_lo, s[18:19], v[7:8]
	v_mov_b32_e32 v10, 0
	s_and_saveexec_b32 s0, vcc_lo
	s_cbranch_execz .LBB25_6
; %bb.5:                                ;   in Loop: Header=BB25_4 Depth=1
	global_load_dwordx2 v[9:10], v[1:2], off
.LBB25_6:                               ;   in Loop: Header=BB25_4 Depth=1
	s_or_b32 exec_lo, exec_lo, s0
	v_add_co_u32 v7, s0, v22, s20
	v_add_co_ci_u32_e64 v8, null, s21, v25, s0
	v_cmp_gt_u64_e64 s0, s[18:19], v[7:8]
	s_and_saveexec_b32 s1, s0
	s_cbranch_execz .LBB25_8
; %bb.7:                                ;   in Loop: Header=BB25_4 Depth=1
	global_load_dwordx2 v[5:6], v[3:4], off
.LBB25_8:                               ;   in Loop: Header=BB25_4 Depth=1
	s_or_b32 exec_lo, exec_lo, s1
	v_add_co_u32 v11, s1, v26, s20
	v_add_co_ci_u32_e64 v12, null, s21, v27, s1
	v_mov_b32_e32 v7, 0
	v_mov_b32_e32 v8, 0
	v_cmp_gt_u64_e64 s1, s[18:19], v[11:12]
	v_mov_b32_e32 v11, 0
	v_mov_b32_e32 v12, 0
	s_and_saveexec_b32 s3, s1
	s_cbranch_execz .LBB25_10
; %bb.9:                                ;   in Loop: Header=BB25_4 Depth=1
	v_add_co_u32 v11, s2, v1, s25
	v_add_co_ci_u32_e64 v12, null, 0, v2, s2
	global_load_dwordx2 v[11:12], v[11:12], off
.LBB25_10:                              ;   in Loop: Header=BB25_4 Depth=1
	s_or_b32 exec_lo, exec_lo, s3
	v_add_co_u32 v13, s2, v23, s20
	v_add_co_ci_u32_e64 v14, null, s21, v24, s2
	v_cmp_gt_u64_e64 s2, s[18:19], v[13:14]
	s_and_saveexec_b32 s26, s2
	s_cbranch_execz .LBB25_12
; %bb.11:                               ;   in Loop: Header=BB25_4 Depth=1
	v_add_co_u32 v7, s3, v1, s24
	v_add_co_ci_u32_e64 v8, null, 0, v2, s3
	global_load_dwordx2 v[7:8], v[7:8], off
.LBB25_12:                              ;   in Loop: Header=BB25_4 Depth=1
	s_or_b32 exec_lo, exec_lo, s26
	s_waitcnt vmcnt(0)
	v_cvt_f32_f64_e32 v13, v[9:10]
	s_mov_b32 s3, exec_lo
	v_cmpx_nlg_f32_e64 0x7f800000, |v13|
	s_cbranch_execz .LBB25_14
; %bb.13:                               ;   in Loop: Header=BB25_4 Depth=1
	global_store_dword v21, v28, s[8:9]
.LBB25_14:                              ;   in Loop: Header=BB25_4 Depth=1
	s_or_b32 exec_lo, exec_lo, s3
	global_load_dword v32, v21, s[10:11]
	v_cvt_f32_f64_e32 v13, v[5:6]
	v_cmp_nlg_f32_e64 s26, 0x7f800000, |v13|
	s_waitcnt vmcnt(0)
	v_cvt_f64_f32_e32 v[19:20], v32
	v_mov_b32_e32 v29, v32
	v_mov_b32_e32 v13, v19
	;; [unrolled: 1-line block ×3, first 2 shown]
	s_and_saveexec_b32 s3, s26
	s_cbranch_execz .LBB25_16
; %bb.15:                               ;   in Loop: Header=BB25_4 Depth=1
	global_store_dword v21, v28, s[8:9]
	global_load_dword v29, v21, s[10:11]
	s_waitcnt vmcnt(0)
	v_cvt_f64_f32_e32 v[13:14], v29
.LBB25_16:                              ;   in Loop: Header=BB25_4 Depth=1
	s_or_b32 exec_lo, exec_lo, s3
	v_cvt_f32_f64_e32 v17, v[11:12]
	v_mov_b32_e32 v16, v14
	v_mov_b32_e32 v15, v13
	;; [unrolled: 1-line block ×3, first 2 shown]
	s_mov_b32 s3, exec_lo
	v_cmpx_nlg_f32_e64 0x7f800000, |v17|
	s_cbranch_execz .LBB25_18
; %bb.17:                               ;   in Loop: Header=BB25_4 Depth=1
	global_store_dword v21, v28, s[8:9]
	global_load_dword v30, v21, s[10:11]
	s_waitcnt vmcnt(0)
	v_cvt_f64_f32_e32 v[15:16], v30
.LBB25_18:                              ;   in Loop: Header=BB25_4 Depth=1
	s_or_b32 exec_lo, exec_lo, s3
	v_cvt_f32_f64_e32 v31, v[7:8]
	v_mov_b32_e32 v18, v16
	v_mov_b32_e32 v17, v15
	v_cmp_nlg_f32_e64 s26, 0x7f800000, |v31|
	v_mov_b32_e32 v31, v30
	s_and_saveexec_b32 s3, s26
	s_cbranch_execnz .LBB25_23
; %bb.19:                               ;   in Loop: Header=BB25_4 Depth=1
	s_or_b32 exec_lo, exec_lo, s3
	s_and_saveexec_b32 s3, vcc_lo
	s_xor_b32 s3, exec_lo, s3
	s_cbranch_execnz .LBB25_24
.LBB25_20:                              ;   in Loop: Header=BB25_4 Depth=1
	s_or_b32 exec_lo, exec_lo, s3
	s_and_saveexec_b32 s3, s0
	s_cbranch_execnz .LBB25_25
.LBB25_21:                              ;   in Loop: Header=BB25_4 Depth=1
	s_or_b32 exec_lo, exec_lo, s3
	s_and_saveexec_b32 s0, s1
	s_cbranch_execnz .LBB25_26
.LBB25_22:                              ;   in Loop: Header=BB25_4 Depth=1
	s_or_b32 exec_lo, exec_lo, s0
	s_and_saveexec_b32 s0, s2
	s_cbranch_execz .LBB25_3
	s_branch .LBB25_27
.LBB25_23:                              ;   in Loop: Header=BB25_4 Depth=1
	global_store_dword v21, v28, s[8:9]
	global_load_dword v31, v21, s[10:11]
	s_waitcnt vmcnt(0)
	v_cvt_f64_f32_e32 v[17:18], v31
	s_or_b32 exec_lo, exec_lo, s3
	s_and_saveexec_b32 s3, vcc_lo
	s_xor_b32 s3, exec_lo, s3
	s_cbranch_execz .LBB25_20
.LBB25_24:                              ;   in Loop: Header=BB25_4 Depth=1
	v_mul_f64 v[19:20], v[9:10], v[19:20]
	v_cmp_eq_f32_e32 vcc_lo, 1.0, v32
	v_cndmask_b32_e32 v10, v20, v10, vcc_lo
	v_cndmask_b32_e32 v9, v19, v9, vcc_lo
	global_store_dwordx2 v[1:2], v[9:10], off
	s_or_b32 exec_lo, exec_lo, s3
	s_and_saveexec_b32 s3, s0
	s_cbranch_execz .LBB25_21
.LBB25_25:                              ;   in Loop: Header=BB25_4 Depth=1
	v_mul_f64 v[9:10], v[5:6], v[13:14]
	v_cmp_eq_f32_e32 vcc_lo, 1.0, v29
	v_cndmask_b32_e32 v6, v10, v6, vcc_lo
	v_cndmask_b32_e32 v5, v9, v5, vcc_lo
	global_store_dwordx2 v[3:4], v[5:6], off
	s_or_b32 exec_lo, exec_lo, s3
	s_and_saveexec_b32 s0, s1
	s_cbranch_execz .LBB25_22
.LBB25_26:                              ;   in Loop: Header=BB25_4 Depth=1
	v_mul_f64 v[5:6], v[11:12], v[15:16]
	v_cmp_eq_f32_e32 vcc_lo, 1.0, v30
	v_cndmask_b32_e32 v6, v6, v12, vcc_lo
	v_cndmask_b32_e32 v5, v5, v11, vcc_lo
	v_add_co_u32 v9, vcc_lo, v1, s25
	v_add_co_ci_u32_e64 v10, null, 0, v2, vcc_lo
	global_store_dwordx2 v[9:10], v[5:6], off
	s_or_b32 exec_lo, exec_lo, s0
	s_and_saveexec_b32 s0, s2
	s_cbranch_execz .LBB25_3
.LBB25_27:                              ;   in Loop: Header=BB25_4 Depth=1
	v_mul_f64 v[5:6], v[7:8], v[17:18]
	v_cmp_eq_f32_e32 vcc_lo, 1.0, v31
	v_cndmask_b32_e32 v6, v6, v8, vcc_lo
	v_cndmask_b32_e32 v5, v5, v7, vcc_lo
	v_add_co_u32 v7, vcc_lo, v1, s24
	v_add_co_ci_u32_e64 v8, null, 0, v2, vcc_lo
	global_store_dwordx2 v[7:8], v[5:6], off
	s_branch .LBB25_3
.LBB25_28:
	s_cbranch_execz .LBB25_30
	s_branch .LBB25_41
.LBB25_29:
.LBB25_30:
	v_cmp_gt_i64_e64 s0, 0x10000, s[14:15]
	v_mov_b32_e32 v10, 0
	v_lshlrev_b32_e32 v9, 2, v0
	s_mov_b32 s3, 0
	s_and_b32 s0, s0, exec_lo
	s_cselect_b32 s15, s15, 0
	s_cselect_b32 s14, s14, 0x10000
	s_mov_b32 s0, exec_lo
	v_cmpx_gt_i64_e64 s[14:15], v[9:10]
	s_cbranch_execz .LBB25_41
; %bb.31:
	s_load_dword s0, s[4:5], 0xd4c
	v_lshlrev_b32_e32 v1, 5, v0
	v_mov_b32_e32 v21, 1.0
	s_waitcnt lgkmcnt(0)
	s_and_b32 s4, s0, 0xffff
	s_add_u32 s0, s6, s12
	s_addc_u32 s1, s7, s13
	v_add_co_u32 v2, s0, s0, v1
	v_add_co_ci_u32_e64 v3, null, s1, 0, s0
	v_mov_b32_e32 v1, v10
	v_add_co_u32 v11, vcc_lo, v2, 16
	v_add_co_ci_u32_e64 v12, null, 0, v3, vcc_lo
	s_lshl_b32 s5, s4, 5
	s_branch .LBB25_33
.LBB25_32:                              ;   in Loop: Header=BB25_33 Depth=1
	s_or_b32 exec_lo, exec_lo, s0
	v_mul_f64 v[15:16], v[8:9], v[15:16]
	v_mul_f64 v[13:14], v[6:7], v[13:14]
	;; [unrolled: 1-line block ×4, first 2 shown]
	v_add_co_u32 v0, vcc_lo, v0, s4
	v_add_co_ci_u32_e64 v1, null, 0, v1, vcc_lo
	v_cmp_eq_f32_e64 s0, 1.0, v23
	v_cmp_eq_f32_e64 s1, 1.0, v22
	v_cmp_eq_f32_e32 vcc_lo, 1.0, v24
	v_cmp_eq_f32_e64 s2, 1.0, v25
	v_lshlrev_b64 v[22:23], 2, v[0:1]
	v_cndmask_b32_e64 v9, v16, v9, s0
	v_cndmask_b32_e64 v8, v15, v8, s0
	;; [unrolled: 1-line block ×4, first 2 shown]
	v_cndmask_b32_e32 v3, v18, v3, vcc_lo
	v_cndmask_b32_e32 v2, v17, v2, vcc_lo
	v_cndmask_b32_e64 v5, v20, v5, s2
	v_cndmask_b32_e64 v4, v19, v4, s2
	v_cmp_le_i64_e32 vcc_lo, s[14:15], v[22:23]
	global_store_dwordx4 v[11:12], v[6:9], off offset:-16
	global_store_dwordx4 v[11:12], v[2:5], off
	v_add_co_u32 v11, s0, v11, s5
	v_add_co_ci_u32_e64 v12, null, 0, v12, s0
	s_or_b32 s3, vcc_lo, s3
	s_andn2_b32 exec_lo, exec_lo, s3
	s_cbranch_execz .LBB25_41
.LBB25_33:                              ; =>This Inner Loop Header: Depth=1
	s_clause 0x1
	global_load_dwordx4 v[6:9], v[11:12], off offset:-16
	global_load_dwordx4 v[2:5], v[11:12], off
	s_mov_b32 s0, exec_lo
	s_waitcnt vmcnt(1)
	v_cvt_f32_f64_e32 v13, v[6:7]
	v_cmpx_nlg_f32_e64 0x7f800000, |v13|
	s_cbranch_execz .LBB25_35
; %bb.34:                               ;   in Loop: Header=BB25_33 Depth=1
	global_store_dword v10, v21, s[8:9]
.LBB25_35:                              ;   in Loop: Header=BB25_33 Depth=1
	s_or_b32 exec_lo, exec_lo, s0
	global_load_dword v22, v10, s[10:11]
	v_cvt_f32_f64_e32 v15, v[8:9]
	v_cmp_nlg_f32_e64 s1, 0x7f800000, |v15|
	s_waitcnt vmcnt(0)
	v_cvt_f64_f32_e32 v[13:14], v22
	v_mov_b32_e32 v23, v22
	v_mov_b32_e32 v16, v14
	;; [unrolled: 1-line block ×3, first 2 shown]
	s_and_saveexec_b32 s0, s1
	s_cbranch_execz .LBB25_37
; %bb.36:                               ;   in Loop: Header=BB25_33 Depth=1
	global_store_dword v10, v21, s[8:9]
	global_load_dword v23, v10, s[10:11]
	s_waitcnt vmcnt(0)
	v_cvt_f64_f32_e32 v[15:16], v23
.LBB25_37:                              ;   in Loop: Header=BB25_33 Depth=1
	s_or_b32 exec_lo, exec_lo, s0
	v_cvt_f32_f64_e32 v19, v[2:3]
	v_mov_b32_e32 v18, v16
	v_mov_b32_e32 v17, v15
	;; [unrolled: 1-line block ×3, first 2 shown]
	s_mov_b32 s0, exec_lo
	v_cmpx_nlg_f32_e64 0x7f800000, |v19|
	s_cbranch_execz .LBB25_39
; %bb.38:                               ;   in Loop: Header=BB25_33 Depth=1
	global_store_dword v10, v21, s[8:9]
	global_load_dword v24, v10, s[10:11]
	s_waitcnt vmcnt(0)
	v_cvt_f64_f32_e32 v[17:18], v24
.LBB25_39:                              ;   in Loop: Header=BB25_33 Depth=1
	s_or_b32 exec_lo, exec_lo, s0
	v_cvt_f32_f64_e32 v25, v[4:5]
	v_mov_b32_e32 v20, v18
	v_mov_b32_e32 v19, v17
	v_cmp_nlg_f32_e64 s1, 0x7f800000, |v25|
	v_mov_b32_e32 v25, v24
	s_and_saveexec_b32 s0, s1
	s_cbranch_execz .LBB25_32
; %bb.40:                               ;   in Loop: Header=BB25_33 Depth=1
	global_store_dword v10, v21, s[8:9]
	global_load_dword v25, v10, s[10:11]
	s_waitcnt vmcnt(0)
	v_cvt_f64_f32_e32 v[19:20], v25
	s_branch .LBB25_32
.LBB25_41:
	s_endpgm
	.section	.rodata,"a",@progbits
	.p2align	6, 0x0
	.amdhsa_kernel _ZN2at6native12_GLOBAL__N_125multi_tensor_apply_kernelINS1_18TensorListMetadataILi1EEENS1_14UnaryOpFunctorIdLi1ELi1ELi0EEEJZZZNS0_47_amp_foreach_non_finite_check_and_unscale_cuda_EN3c108ArrayRefINS_6TensorEEERS9_RKS9_ENKUlvE_clEvENKUlvE_clEvEUldE_EEEvT_T0_DpT1_
		.amdhsa_group_segment_fixed_size 0
		.amdhsa_private_segment_fixed_size 0
		.amdhsa_kernarg_size 3648
		.amdhsa_user_sgpr_count 6
		.amdhsa_user_sgpr_private_segment_buffer 1
		.amdhsa_user_sgpr_dispatch_ptr 0
		.amdhsa_user_sgpr_queue_ptr 0
		.amdhsa_user_sgpr_kernarg_segment_ptr 1
		.amdhsa_user_sgpr_dispatch_id 0
		.amdhsa_user_sgpr_flat_scratch_init 0
		.amdhsa_user_sgpr_private_segment_size 0
		.amdhsa_wavefront_size32 1
		.amdhsa_uses_dynamic_stack 0
		.amdhsa_system_sgpr_private_segment_wavefront_offset 0
		.amdhsa_system_sgpr_workgroup_id_x 1
		.amdhsa_system_sgpr_workgroup_id_y 0
		.amdhsa_system_sgpr_workgroup_id_z 0
		.amdhsa_system_sgpr_workgroup_info 0
		.amdhsa_system_vgpr_workitem_id 0
		.amdhsa_next_free_vgpr 33
		.amdhsa_next_free_sgpr 27
		.amdhsa_reserve_vcc 1
		.amdhsa_reserve_flat_scratch 0
		.amdhsa_float_round_mode_32 0
		.amdhsa_float_round_mode_16_64 0
		.amdhsa_float_denorm_mode_32 3
		.amdhsa_float_denorm_mode_16_64 3
		.amdhsa_dx10_clamp 1
		.amdhsa_ieee_mode 1
		.amdhsa_fp16_overflow 0
		.amdhsa_workgroup_processor_mode 1
		.amdhsa_memory_ordered 1
		.amdhsa_forward_progress 1
		.amdhsa_shared_vgpr_count 0
		.amdhsa_exception_fp_ieee_invalid_op 0
		.amdhsa_exception_fp_denorm_src 0
		.amdhsa_exception_fp_ieee_div_zero 0
		.amdhsa_exception_fp_ieee_overflow 0
		.amdhsa_exception_fp_ieee_underflow 0
		.amdhsa_exception_fp_ieee_inexact 0
		.amdhsa_exception_int_div_zero 0
	.end_amdhsa_kernel
	.section	.text._ZN2at6native12_GLOBAL__N_125multi_tensor_apply_kernelINS1_18TensorListMetadataILi1EEENS1_14UnaryOpFunctorIdLi1ELi1ELi0EEEJZZZNS0_47_amp_foreach_non_finite_check_and_unscale_cuda_EN3c108ArrayRefINS_6TensorEEERS9_RKS9_ENKUlvE_clEvENKUlvE_clEvEUldE_EEEvT_T0_DpT1_,"axG",@progbits,_ZN2at6native12_GLOBAL__N_125multi_tensor_apply_kernelINS1_18TensorListMetadataILi1EEENS1_14UnaryOpFunctorIdLi1ELi1ELi0EEEJZZZNS0_47_amp_foreach_non_finite_check_and_unscale_cuda_EN3c108ArrayRefINS_6TensorEEERS9_RKS9_ENKUlvE_clEvENKUlvE_clEvEUldE_EEEvT_T0_DpT1_,comdat
.Lfunc_end25:
	.size	_ZN2at6native12_GLOBAL__N_125multi_tensor_apply_kernelINS1_18TensorListMetadataILi1EEENS1_14UnaryOpFunctorIdLi1ELi1ELi0EEEJZZZNS0_47_amp_foreach_non_finite_check_and_unscale_cuda_EN3c108ArrayRefINS_6TensorEEERS9_RKS9_ENKUlvE_clEvENKUlvE_clEvEUldE_EEEvT_T0_DpT1_, .Lfunc_end25-_ZN2at6native12_GLOBAL__N_125multi_tensor_apply_kernelINS1_18TensorListMetadataILi1EEENS1_14UnaryOpFunctorIdLi1ELi1ELi0EEEJZZZNS0_47_amp_foreach_non_finite_check_and_unscale_cuda_EN3c108ArrayRefINS_6TensorEEERS9_RKS9_ENKUlvE_clEvENKUlvE_clEvEUldE_EEEvT_T0_DpT1_
                                        ; -- End function
	.set _ZN2at6native12_GLOBAL__N_125multi_tensor_apply_kernelINS1_18TensorListMetadataILi1EEENS1_14UnaryOpFunctorIdLi1ELi1ELi0EEEJZZZNS0_47_amp_foreach_non_finite_check_and_unscale_cuda_EN3c108ArrayRefINS_6TensorEEERS9_RKS9_ENKUlvE_clEvENKUlvE_clEvEUldE_EEEvT_T0_DpT1_.num_vgpr, 33
	.set _ZN2at6native12_GLOBAL__N_125multi_tensor_apply_kernelINS1_18TensorListMetadataILi1EEENS1_14UnaryOpFunctorIdLi1ELi1ELi0EEEJZZZNS0_47_amp_foreach_non_finite_check_and_unscale_cuda_EN3c108ArrayRefINS_6TensorEEERS9_RKS9_ENKUlvE_clEvENKUlvE_clEvEUldE_EEEvT_T0_DpT1_.num_agpr, 0
	.set _ZN2at6native12_GLOBAL__N_125multi_tensor_apply_kernelINS1_18TensorListMetadataILi1EEENS1_14UnaryOpFunctorIdLi1ELi1ELi0EEEJZZZNS0_47_amp_foreach_non_finite_check_and_unscale_cuda_EN3c108ArrayRefINS_6TensorEEERS9_RKS9_ENKUlvE_clEvENKUlvE_clEvEUldE_EEEvT_T0_DpT1_.numbered_sgpr, 27
	.set _ZN2at6native12_GLOBAL__N_125multi_tensor_apply_kernelINS1_18TensorListMetadataILi1EEENS1_14UnaryOpFunctorIdLi1ELi1ELi0EEEJZZZNS0_47_amp_foreach_non_finite_check_and_unscale_cuda_EN3c108ArrayRefINS_6TensorEEERS9_RKS9_ENKUlvE_clEvENKUlvE_clEvEUldE_EEEvT_T0_DpT1_.num_named_barrier, 0
	.set _ZN2at6native12_GLOBAL__N_125multi_tensor_apply_kernelINS1_18TensorListMetadataILi1EEENS1_14UnaryOpFunctorIdLi1ELi1ELi0EEEJZZZNS0_47_amp_foreach_non_finite_check_and_unscale_cuda_EN3c108ArrayRefINS_6TensorEEERS9_RKS9_ENKUlvE_clEvENKUlvE_clEvEUldE_EEEvT_T0_DpT1_.private_seg_size, 0
	.set _ZN2at6native12_GLOBAL__N_125multi_tensor_apply_kernelINS1_18TensorListMetadataILi1EEENS1_14UnaryOpFunctorIdLi1ELi1ELi0EEEJZZZNS0_47_amp_foreach_non_finite_check_and_unscale_cuda_EN3c108ArrayRefINS_6TensorEEERS9_RKS9_ENKUlvE_clEvENKUlvE_clEvEUldE_EEEvT_T0_DpT1_.uses_vcc, 1
	.set _ZN2at6native12_GLOBAL__N_125multi_tensor_apply_kernelINS1_18TensorListMetadataILi1EEENS1_14UnaryOpFunctorIdLi1ELi1ELi0EEEJZZZNS0_47_amp_foreach_non_finite_check_and_unscale_cuda_EN3c108ArrayRefINS_6TensorEEERS9_RKS9_ENKUlvE_clEvENKUlvE_clEvEUldE_EEEvT_T0_DpT1_.uses_flat_scratch, 0
	.set _ZN2at6native12_GLOBAL__N_125multi_tensor_apply_kernelINS1_18TensorListMetadataILi1EEENS1_14UnaryOpFunctorIdLi1ELi1ELi0EEEJZZZNS0_47_amp_foreach_non_finite_check_and_unscale_cuda_EN3c108ArrayRefINS_6TensorEEERS9_RKS9_ENKUlvE_clEvENKUlvE_clEvEUldE_EEEvT_T0_DpT1_.has_dyn_sized_stack, 0
	.set _ZN2at6native12_GLOBAL__N_125multi_tensor_apply_kernelINS1_18TensorListMetadataILi1EEENS1_14UnaryOpFunctorIdLi1ELi1ELi0EEEJZZZNS0_47_amp_foreach_non_finite_check_and_unscale_cuda_EN3c108ArrayRefINS_6TensorEEERS9_RKS9_ENKUlvE_clEvENKUlvE_clEvEUldE_EEEvT_T0_DpT1_.has_recursion, 0
	.set _ZN2at6native12_GLOBAL__N_125multi_tensor_apply_kernelINS1_18TensorListMetadataILi1EEENS1_14UnaryOpFunctorIdLi1ELi1ELi0EEEJZZZNS0_47_amp_foreach_non_finite_check_and_unscale_cuda_EN3c108ArrayRefINS_6TensorEEERS9_RKS9_ENKUlvE_clEvENKUlvE_clEvEUldE_EEEvT_T0_DpT1_.has_indirect_call, 0
	.section	.AMDGPU.csdata,"",@progbits
; Kernel info:
; codeLenInByte = 1768
; TotalNumSgprs: 29
; NumVgprs: 33
; ScratchSize: 0
; MemoryBound: 1
; FloatMode: 240
; IeeeMode: 1
; LDSByteSize: 0 bytes/workgroup (compile time only)
; SGPRBlocks: 0
; VGPRBlocks: 4
; NumSGPRsForWavesPerEU: 29
; NumVGPRsForWavesPerEU: 33
; Occupancy: 16
; WaveLimiterHint : 0
; COMPUTE_PGM_RSRC2:SCRATCH_EN: 0
; COMPUTE_PGM_RSRC2:USER_SGPR: 6
; COMPUTE_PGM_RSRC2:TRAP_HANDLER: 0
; COMPUTE_PGM_RSRC2:TGID_X_EN: 1
; COMPUTE_PGM_RSRC2:TGID_Y_EN: 0
; COMPUTE_PGM_RSRC2:TGID_Z_EN: 0
; COMPUTE_PGM_RSRC2:TIDIG_COMP_CNT: 0
	.section	.text._ZN2at6native12_GLOBAL__N_125multi_tensor_apply_kernelINS1_18TensorListMetadataILi1EEENS1_14UnaryOpFunctorIfLi1ELi1ELi0EEEJZZZNS0_47_amp_foreach_non_finite_check_and_unscale_cuda_EN3c108ArrayRefINS_6TensorEEERS9_RKS9_ENKUlvE_clEvENKUlvE0_clEvEUlfE_EEEvT_T0_DpT1_,"axG",@progbits,_ZN2at6native12_GLOBAL__N_125multi_tensor_apply_kernelINS1_18TensorListMetadataILi1EEENS1_14UnaryOpFunctorIfLi1ELi1ELi0EEEJZZZNS0_47_amp_foreach_non_finite_check_and_unscale_cuda_EN3c108ArrayRefINS_6TensorEEERS9_RKS9_ENKUlvE_clEvENKUlvE0_clEvEUlfE_EEEvT_T0_DpT1_,comdat
	.globl	_ZN2at6native12_GLOBAL__N_125multi_tensor_apply_kernelINS1_18TensorListMetadataILi1EEENS1_14UnaryOpFunctorIfLi1ELi1ELi0EEEJZZZNS0_47_amp_foreach_non_finite_check_and_unscale_cuda_EN3c108ArrayRefINS_6TensorEEERS9_RKS9_ENKUlvE_clEvENKUlvE0_clEvEUlfE_EEEvT_T0_DpT1_ ; -- Begin function _ZN2at6native12_GLOBAL__N_125multi_tensor_apply_kernelINS1_18TensorListMetadataILi1EEENS1_14UnaryOpFunctorIfLi1ELi1ELi0EEEJZZZNS0_47_amp_foreach_non_finite_check_and_unscale_cuda_EN3c108ArrayRefINS_6TensorEEERS9_RKS9_ENKUlvE_clEvENKUlvE0_clEvEUlfE_EEEvT_T0_DpT1_
	.p2align	8
	.type	_ZN2at6native12_GLOBAL__N_125multi_tensor_apply_kernelINS1_18TensorListMetadataILi1EEENS1_14UnaryOpFunctorIfLi1ELi1ELi0EEEJZZZNS0_47_amp_foreach_non_finite_check_and_unscale_cuda_EN3c108ArrayRefINS_6TensorEEERS9_RKS9_ENKUlvE_clEvENKUlvE0_clEvEUlfE_EEEvT_T0_DpT1_,@function
_ZN2at6native12_GLOBAL__N_125multi_tensor_apply_kernelINS1_18TensorListMetadataILi1EEENS1_14UnaryOpFunctorIfLi1ELi1ELi0EEEJZZZNS0_47_amp_foreach_non_finite_check_and_unscale_cuda_EN3c108ArrayRefINS_6TensorEEERS9_RKS9_ENKUlvE_clEvENKUlvE0_clEvEUlfE_EEEvT_T0_DpT1_: ; @_ZN2at6native12_GLOBAL__N_125multi_tensor_apply_kernelINS1_18TensorListMetadataILi1EEENS1_14UnaryOpFunctorIfLi1ELi1ELi0EEEJZZZNS0_47_amp_foreach_non_finite_check_and_unscale_cuda_EN3c108ArrayRefINS_6TensorEEERS9_RKS9_ENKUlvE_clEvENKUlvE0_clEvEUlfE_EEEvT_T0_DpT1_
; %bb.0:
	v_mov_b32_e32 v1, s6
	s_add_u32 s0, s4, s6
	s_mul_hi_u32 s1, s6, 3
	s_mul_i32 s6, s6, 3
	s_addc_u32 s2, s5, 0
	global_load_ubyte v1, v1, s[4:5] offset:1760
	s_add_u32 s0, s0, s6
	s_addc_u32 s1, s2, s1
	s_mov_b32 s17, 0
	s_load_dword s0, s[0:1], 0x820
	s_waitcnt vmcnt(0)
	v_readfirstlane_b32 s1, v1
	s_lshl_b32 s1, s1, 3
	s_clause 0x2
	s_load_dwordx2 s[6:7], s[4:5], s1 offset:0x0
	s_load_dwordx2 s[2:3], s[4:5], s1 offset:0x370
	s_load_dwordx4 s[8:11], s[4:5], 0xd30
	s_waitcnt lgkmcnt(0)
	s_ashr_i32 s1, s0, 31
	s_lshl_b64 s[12:13], s[0:1], 18
	s_lshl_b64 s[0:1], s[0:1], 16
	s_and_b32 s16, s6, 15
	s_sub_u32 s14, s2, s0
	s_subb_u32 s15, s3, s1
	s_and_b32 s0, s2, 3
	s_mov_b32 s1, s17
	s_or_b64 s[0:1], s[16:17], s[0:1]
	s_cmp_eq_u64 s[0:1], 0
	s_cbranch_scc1 .LBB26_29
; %bb.1:
	v_cmp_lt_i64_e64 s0, s[14:15], 1
	s_and_b32 vcc_lo, exec_lo, s0
	s_cbranch_vccnz .LBB26_28
; %bb.2:
	s_load_dword s0, s[4:5], 0xd4c
	v_cmp_gt_i64_e64 s1, 0x10000, s[14:15]
	v_cmp_gt_u64_e64 s2, 0x10000, s[14:15]
	v_lshlrev_b32_e32 v1, 2, v0
	v_mov_b32_e32 v5, 0
	v_mov_b32_e32 v12, 1.0
	s_and_b32 s1, s1, exec_lo
	s_cselect_b32 s17, s15, 0
	s_cselect_b32 s16, s14, 0x10000
	s_waitcnt lgkmcnt(0)
	s_and_b32 s0, s0, 0xffff
	s_and_b32 s1, s2, exec_lo
	v_add_co_u32 v6, s3, v0, s0
	s_cselect_b32 s19, s15, 0
	s_cselect_b32 s18, s14, 0x10000
	s_lshl_b32 s1, s0, 1
	v_lshlrev_b32_e32 v3, 2, v6
	s_lshl_b32 s22, s0, 2
	s_mul_i32 s2, s0, 3
	s_add_u32 s20, s6, s12
	v_add_co_u32 v10, s1, s1, v0
	s_addc_u32 s21, s7, s13
	v_add_co_u32 v1, s24, s20, v1
	v_add_co_u32 v7, s2, s2, v0
	v_add_co_ci_u32_e64 v11, null, 0, 0, s1
	v_add_co_u32 v3, s1, s20, v3
	v_add_co_ci_u32_e64 v2, null, s21, 0, s24
	v_add_co_ci_u32_e64 v8, null, 0, 0, s2
	;; [unrolled: 1-line block ×4, first 2 shown]
	s_lshl_b32 s23, s0, 4
	s_mul_i32 s24, s0, 12
	s_lshl_b32 s25, s0, 3
	s_mov_b64 s[20:21], 0
	s_branch .LBB26_4
.LBB26_3:                               ;   in Loop: Header=BB26_4 Depth=1
	s_or_b32 exec_lo, exec_lo, s0
	s_add_u32 s20, s20, s22
	s_addc_u32 s21, s21, 0
	v_add_co_u32 v1, vcc_lo, v1, s23
	v_cmp_ge_i64_e64 s0, s[20:21], s[16:17]
	v_add_co_ci_u32_e64 v2, null, 0, v2, vcc_lo
	v_add_co_u32 v3, vcc_lo, v3, s23
	v_add_co_ci_u32_e64 v4, null, 0, v4, vcc_lo
	s_and_b32 vcc_lo, exec_lo, s0
	s_cbranch_vccnz .LBB26_28
.LBB26_4:                               ; =>This Inner Loop Header: Depth=1
	v_add_co_u32 v13, s0, v0, s20
	v_add_co_ci_u32_e64 v14, null, 0, s21, s0
	v_cmp_gt_u64_e32 vcc_lo, s[18:19], v[13:14]
	v_mov_b32_e32 v14, 0
	s_and_saveexec_b32 s0, vcc_lo
	s_cbranch_execz .LBB26_6
; %bb.5:                                ;   in Loop: Header=BB26_4 Depth=1
	global_load_dword v14, v[1:2], off
.LBB26_6:                               ;   in Loop: Header=BB26_4 Depth=1
	s_or_b32 exec_lo, exec_lo, s0
	v_add_co_u32 v15, s0, v6, s20
	v_add_co_ci_u32_e64 v16, null, s21, v9, s0
	v_mov_b32_e32 v13, 0
	v_cmp_gt_u64_e64 s0, s[18:19], v[15:16]
	v_mov_b32_e32 v15, 0
	s_and_saveexec_b32 s1, s0
	s_cbranch_execz .LBB26_8
; %bb.7:                                ;   in Loop: Header=BB26_4 Depth=1
	global_load_dword v15, v[3:4], off
.LBB26_8:                               ;   in Loop: Header=BB26_4 Depth=1
	s_or_b32 exec_lo, exec_lo, s1
	v_add_co_u32 v16, s1, v10, s20
	s_waitcnt vmcnt(0)
	v_add_co_ci_u32_e64 v17, null, s21, v11, s1
	v_cmp_gt_u64_e64 s1, s[18:19], v[16:17]
	s_and_saveexec_b32 s3, s1
	s_cbranch_execz .LBB26_10
; %bb.9:                                ;   in Loop: Header=BB26_4 Depth=1
	v_add_co_u32 v16, s2, v1, s25
	v_add_co_ci_u32_e64 v17, null, 0, v2, s2
	global_load_dword v13, v[16:17], off
.LBB26_10:                              ;   in Loop: Header=BB26_4 Depth=1
	s_or_b32 exec_lo, exec_lo, s3
	v_add_co_u32 v16, s2, v7, s20
	v_add_co_ci_u32_e64 v17, null, s21, v8, s2
	v_cmp_gt_u64_e64 s2, s[18:19], v[16:17]
	v_mov_b32_e32 v16, 0
	s_and_saveexec_b32 s26, s2
	s_cbranch_execz .LBB26_12
; %bb.11:                               ;   in Loop: Header=BB26_4 Depth=1
	v_add_co_u32 v16, s3, v1, s24
	v_add_co_ci_u32_e64 v17, null, 0, v2, s3
	global_load_dword v16, v[16:17], off
.LBB26_12:                              ;   in Loop: Header=BB26_4 Depth=1
	s_or_b32 exec_lo, exec_lo, s26
	s_mov_b32 s3, exec_lo
	s_waitcnt vmcnt(0)
	v_cmpx_nlg_f32_e64 0x7f800000, |v14|
	s_cbranch_execz .LBB26_14
; %bb.13:                               ;   in Loop: Header=BB26_4 Depth=1
	global_store_dword v5, v12, s[8:9]
.LBB26_14:                              ;   in Loop: Header=BB26_4 Depth=1
	s_or_b32 exec_lo, exec_lo, s3
	global_load_dword v20, v5, s[10:11]
	s_mov_b32 s3, exec_lo
	s_waitcnt vmcnt(0)
	v_mov_b32_e32 v18, v20
	v_cmpx_nlg_f32_e64 0x7f800000, |v15|
	s_cbranch_execz .LBB26_16
; %bb.15:                               ;   in Loop: Header=BB26_4 Depth=1
	global_store_dword v5, v12, s[8:9]
	global_load_dword v18, v5, s[10:11]
.LBB26_16:                              ;   in Loop: Header=BB26_4 Depth=1
	s_or_b32 exec_lo, exec_lo, s3
	s_waitcnt vmcnt(0)
	v_mov_b32_e32 v19, v18
	s_mov_b32 s3, exec_lo
	v_cmpx_nlg_f32_e64 0x7f800000, |v13|
	s_cbranch_execz .LBB26_18
; %bb.17:                               ;   in Loop: Header=BB26_4 Depth=1
	global_store_dword v5, v12, s[8:9]
	global_load_dword v19, v5, s[10:11]
.LBB26_18:                              ;   in Loop: Header=BB26_4 Depth=1
	s_or_b32 exec_lo, exec_lo, s3
	s_waitcnt vmcnt(0)
	v_mov_b32_e32 v17, v19
	s_mov_b32 s3, exec_lo
	v_cmpx_nlg_f32_e64 0x7f800000, |v16|
	s_cbranch_execnz .LBB26_23
; %bb.19:                               ;   in Loop: Header=BB26_4 Depth=1
	s_or_b32 exec_lo, exec_lo, s3
	s_and_saveexec_b32 s3, vcc_lo
	s_xor_b32 s3, exec_lo, s3
	s_cbranch_execnz .LBB26_24
.LBB26_20:                              ;   in Loop: Header=BB26_4 Depth=1
	s_or_b32 exec_lo, exec_lo, s3
	s_and_saveexec_b32 s3, s0
	s_cbranch_execnz .LBB26_25
.LBB26_21:                              ;   in Loop: Header=BB26_4 Depth=1
	s_or_b32 exec_lo, exec_lo, s3
	s_and_saveexec_b32 s0, s1
	s_cbranch_execnz .LBB26_26
.LBB26_22:                              ;   in Loop: Header=BB26_4 Depth=1
	s_or_b32 exec_lo, exec_lo, s0
	s_and_saveexec_b32 s0, s2
	s_cbranch_execz .LBB26_3
	s_branch .LBB26_27
.LBB26_23:                              ;   in Loop: Header=BB26_4 Depth=1
	global_store_dword v5, v12, s[8:9]
	global_load_dword v17, v5, s[10:11]
	s_or_b32 exec_lo, exec_lo, s3
	s_and_saveexec_b32 s3, vcc_lo
	s_xor_b32 s3, exec_lo, s3
	s_cbranch_execz .LBB26_20
.LBB26_24:                              ;   in Loop: Header=BB26_4 Depth=1
	v_mul_f32_e32 v21, v14, v20
	v_cmp_eq_f32_e32 vcc_lo, 1.0, v20
	v_cndmask_b32_e32 v14, v21, v14, vcc_lo
	global_store_dword v[1:2], v14, off
	s_or_b32 exec_lo, exec_lo, s3
	s_and_saveexec_b32 s3, s0
	s_cbranch_execz .LBB26_21
.LBB26_25:                              ;   in Loop: Header=BB26_4 Depth=1
	v_mul_f32_e32 v14, v15, v18
	v_cmp_eq_f32_e32 vcc_lo, 1.0, v18
	v_cndmask_b32_e32 v14, v14, v15, vcc_lo
	global_store_dword v[3:4], v14, off
	s_or_b32 exec_lo, exec_lo, s3
	s_and_saveexec_b32 s0, s1
	s_cbranch_execz .LBB26_22
.LBB26_26:                              ;   in Loop: Header=BB26_4 Depth=1
	v_mul_f32_e32 v14, v13, v19
	v_cmp_eq_f32_e32 vcc_lo, 1.0, v19
	v_cndmask_b32_e32 v15, v14, v13, vcc_lo
	v_add_co_u32 v13, vcc_lo, v1, s25
	v_add_co_ci_u32_e64 v14, null, 0, v2, vcc_lo
	global_store_dword v[13:14], v15, off
	s_or_b32 exec_lo, exec_lo, s0
	s_and_saveexec_b32 s0, s2
	s_cbranch_execz .LBB26_3
.LBB26_27:                              ;   in Loop: Header=BB26_4 Depth=1
	s_waitcnt vmcnt(0)
	v_mul_f32_e32 v13, v16, v17
	v_cmp_eq_f32_e32 vcc_lo, 1.0, v17
	v_cndmask_b32_e32 v15, v13, v16, vcc_lo
	v_add_co_u32 v13, vcc_lo, v1, s24
	v_add_co_ci_u32_e64 v14, null, 0, v2, vcc_lo
	global_store_dword v[13:14], v15, off
	s_branch .LBB26_3
.LBB26_28:
	s_cbranch_execz .LBB26_30
	s_branch .LBB26_41
.LBB26_29:
.LBB26_30:
	v_cmp_gt_i64_e64 s0, 0x10000, s[14:15]
	v_mov_b32_e32 v6, 0
	v_lshlrev_b32_e32 v5, 2, v0
	s_mov_b32 s1, 0
	s_and_b32 s0, s0, exec_lo
	s_cselect_b32 s3, s15, 0
	s_cselect_b32 s2, s14, 0x10000
	s_mov_b32 s0, exec_lo
	v_cmpx_gt_i64_e64 s[2:3], v[5:6]
	s_cbranch_execz .LBB26_41
; %bb.31:
	s_load_dword s0, s[4:5], 0xd4c
	v_lshlrev_b32_e32 v1, 4, v0
	v_mov_b32_e32 v9, 1.0
	s_waitcnt lgkmcnt(0)
	s_and_b32 s4, s0, 0xffff
	s_add_u32 s0, s6, s12
	s_addc_u32 s5, s7, s13
	v_add_co_u32 v2, s0, s0, v1
	v_add_co_ci_u32_e64 v3, null, s5, 0, s0
	v_mov_b32_e32 v1, v6
	v_add_co_u32 v7, vcc_lo, v2, 8
	v_add_co_ci_u32_e64 v8, null, 0, v3, vcc_lo
	s_lshl_b32 s5, s4, 4
	s_branch .LBB26_33
.LBB26_32:                              ;   in Loop: Header=BB26_33 Depth=1
	s_or_b32 exec_lo, exec_lo, s0
	v_mul_f32_e32 v14, v4, v13
	v_cmp_eq_f32_e32 vcc_lo, 1.0, v13
	v_mul_f32_e32 v15, v3, v11
	s_waitcnt vmcnt(0)
	v_mul_f32_e32 v13, v5, v12
	v_cndmask_b32_e32 v4, v14, v4, vcc_lo
	v_cmp_eq_f32_e32 vcc_lo, 1.0, v11
	v_mul_f32_e32 v11, v2, v10
	v_cndmask_b32_e32 v3, v15, v3, vcc_lo
	v_add_co_u32 v0, vcc_lo, v0, s4
	v_add_co_ci_u32_e64 v1, null, 0, v1, vcc_lo
	v_cmp_eq_f32_e32 vcc_lo, 1.0, v10
	v_cndmask_b32_e32 v2, v11, v2, vcc_lo
	v_cmp_eq_f32_e32 vcc_lo, 1.0, v12
	v_lshlrev_b64 v[10:11], 2, v[0:1]
	v_cndmask_b32_e32 v5, v13, v5, vcc_lo
	v_cmp_le_i64_e32 vcc_lo, s[2:3], v[10:11]
	global_store_dwordx4 v[7:8], v[2:5], off offset:-8
	v_add_co_u32 v7, s0, v7, s5
	v_add_co_ci_u32_e64 v8, null, 0, v8, s0
	s_or_b32 s1, vcc_lo, s1
	s_andn2_b32 exec_lo, exec_lo, s1
	s_cbranch_execz .LBB26_41
.LBB26_33:                              ; =>This Inner Loop Header: Depth=1
	global_load_dwordx4 v[2:5], v[7:8], off offset:-8
	s_mov_b32 s0, exec_lo
	s_waitcnt vmcnt(0)
	v_cmpx_nlg_f32_e64 0x7f800000, |v2|
	s_cbranch_execz .LBB26_35
; %bb.34:                               ;   in Loop: Header=BB26_33 Depth=1
	global_store_dword v6, v9, s[8:9]
.LBB26_35:                              ;   in Loop: Header=BB26_33 Depth=1
	s_or_b32 exec_lo, exec_lo, s0
	global_load_dword v10, v6, s[10:11]
	s_mov_b32 s0, exec_lo
	s_waitcnt vmcnt(0)
	v_mov_b32_e32 v11, v10
	v_cmpx_nlg_f32_e64 0x7f800000, |v3|
	s_cbranch_execz .LBB26_37
; %bb.36:                               ;   in Loop: Header=BB26_33 Depth=1
	global_store_dword v6, v9, s[8:9]
	global_load_dword v11, v6, s[10:11]
.LBB26_37:                              ;   in Loop: Header=BB26_33 Depth=1
	s_or_b32 exec_lo, exec_lo, s0
	s_waitcnt vmcnt(0)
	v_mov_b32_e32 v13, v11
	s_mov_b32 s0, exec_lo
	v_cmpx_nlg_f32_e64 0x7f800000, |v4|
	s_cbranch_execz .LBB26_39
; %bb.38:                               ;   in Loop: Header=BB26_33 Depth=1
	global_store_dword v6, v9, s[8:9]
	global_load_dword v13, v6, s[10:11]
.LBB26_39:                              ;   in Loop: Header=BB26_33 Depth=1
	s_or_b32 exec_lo, exec_lo, s0
	s_waitcnt vmcnt(0)
	v_mov_b32_e32 v12, v13
	s_mov_b32 s0, exec_lo
	v_cmpx_nlg_f32_e64 0x7f800000, |v5|
	s_cbranch_execz .LBB26_32
; %bb.40:                               ;   in Loop: Header=BB26_33 Depth=1
	global_store_dword v6, v9, s[8:9]
	global_load_dword v12, v6, s[10:11]
	s_branch .LBB26_32
.LBB26_41:
	s_endpgm
	.section	.rodata,"a",@progbits
	.p2align	6, 0x0
	.amdhsa_kernel _ZN2at6native12_GLOBAL__N_125multi_tensor_apply_kernelINS1_18TensorListMetadataILi1EEENS1_14UnaryOpFunctorIfLi1ELi1ELi0EEEJZZZNS0_47_amp_foreach_non_finite_check_and_unscale_cuda_EN3c108ArrayRefINS_6TensorEEERS9_RKS9_ENKUlvE_clEvENKUlvE0_clEvEUlfE_EEEvT_T0_DpT1_
		.amdhsa_group_segment_fixed_size 0
		.amdhsa_private_segment_fixed_size 0
		.amdhsa_kernarg_size 3648
		.amdhsa_user_sgpr_count 6
		.amdhsa_user_sgpr_private_segment_buffer 1
		.amdhsa_user_sgpr_dispatch_ptr 0
		.amdhsa_user_sgpr_queue_ptr 0
		.amdhsa_user_sgpr_kernarg_segment_ptr 1
		.amdhsa_user_sgpr_dispatch_id 0
		.amdhsa_user_sgpr_flat_scratch_init 0
		.amdhsa_user_sgpr_private_segment_size 0
		.amdhsa_wavefront_size32 1
		.amdhsa_uses_dynamic_stack 0
		.amdhsa_system_sgpr_private_segment_wavefront_offset 0
		.amdhsa_system_sgpr_workgroup_id_x 1
		.amdhsa_system_sgpr_workgroup_id_y 0
		.amdhsa_system_sgpr_workgroup_id_z 0
		.amdhsa_system_sgpr_workgroup_info 0
		.amdhsa_system_vgpr_workitem_id 0
		.amdhsa_next_free_vgpr 22
		.amdhsa_next_free_sgpr 27
		.amdhsa_reserve_vcc 1
		.amdhsa_reserve_flat_scratch 0
		.amdhsa_float_round_mode_32 0
		.amdhsa_float_round_mode_16_64 0
		.amdhsa_float_denorm_mode_32 3
		.amdhsa_float_denorm_mode_16_64 3
		.amdhsa_dx10_clamp 1
		.amdhsa_ieee_mode 1
		.amdhsa_fp16_overflow 0
		.amdhsa_workgroup_processor_mode 1
		.amdhsa_memory_ordered 1
		.amdhsa_forward_progress 1
		.amdhsa_shared_vgpr_count 0
		.amdhsa_exception_fp_ieee_invalid_op 0
		.amdhsa_exception_fp_denorm_src 0
		.amdhsa_exception_fp_ieee_div_zero 0
		.amdhsa_exception_fp_ieee_overflow 0
		.amdhsa_exception_fp_ieee_underflow 0
		.amdhsa_exception_fp_ieee_inexact 0
		.amdhsa_exception_int_div_zero 0
	.end_amdhsa_kernel
	.section	.text._ZN2at6native12_GLOBAL__N_125multi_tensor_apply_kernelINS1_18TensorListMetadataILi1EEENS1_14UnaryOpFunctorIfLi1ELi1ELi0EEEJZZZNS0_47_amp_foreach_non_finite_check_and_unscale_cuda_EN3c108ArrayRefINS_6TensorEEERS9_RKS9_ENKUlvE_clEvENKUlvE0_clEvEUlfE_EEEvT_T0_DpT1_,"axG",@progbits,_ZN2at6native12_GLOBAL__N_125multi_tensor_apply_kernelINS1_18TensorListMetadataILi1EEENS1_14UnaryOpFunctorIfLi1ELi1ELi0EEEJZZZNS0_47_amp_foreach_non_finite_check_and_unscale_cuda_EN3c108ArrayRefINS_6TensorEEERS9_RKS9_ENKUlvE_clEvENKUlvE0_clEvEUlfE_EEEvT_T0_DpT1_,comdat
.Lfunc_end26:
	.size	_ZN2at6native12_GLOBAL__N_125multi_tensor_apply_kernelINS1_18TensorListMetadataILi1EEENS1_14UnaryOpFunctorIfLi1ELi1ELi0EEEJZZZNS0_47_amp_foreach_non_finite_check_and_unscale_cuda_EN3c108ArrayRefINS_6TensorEEERS9_RKS9_ENKUlvE_clEvENKUlvE0_clEvEUlfE_EEEvT_T0_DpT1_, .Lfunc_end26-_ZN2at6native12_GLOBAL__N_125multi_tensor_apply_kernelINS1_18TensorListMetadataILi1EEENS1_14UnaryOpFunctorIfLi1ELi1ELi0EEEJZZZNS0_47_amp_foreach_non_finite_check_and_unscale_cuda_EN3c108ArrayRefINS_6TensorEEERS9_RKS9_ENKUlvE_clEvENKUlvE0_clEvEUlfE_EEEvT_T0_DpT1_
                                        ; -- End function
	.set _ZN2at6native12_GLOBAL__N_125multi_tensor_apply_kernelINS1_18TensorListMetadataILi1EEENS1_14UnaryOpFunctorIfLi1ELi1ELi0EEEJZZZNS0_47_amp_foreach_non_finite_check_and_unscale_cuda_EN3c108ArrayRefINS_6TensorEEERS9_RKS9_ENKUlvE_clEvENKUlvE0_clEvEUlfE_EEEvT_T0_DpT1_.num_vgpr, 22
	.set _ZN2at6native12_GLOBAL__N_125multi_tensor_apply_kernelINS1_18TensorListMetadataILi1EEENS1_14UnaryOpFunctorIfLi1ELi1ELi0EEEJZZZNS0_47_amp_foreach_non_finite_check_and_unscale_cuda_EN3c108ArrayRefINS_6TensorEEERS9_RKS9_ENKUlvE_clEvENKUlvE0_clEvEUlfE_EEEvT_T0_DpT1_.num_agpr, 0
	.set _ZN2at6native12_GLOBAL__N_125multi_tensor_apply_kernelINS1_18TensorListMetadataILi1EEENS1_14UnaryOpFunctorIfLi1ELi1ELi0EEEJZZZNS0_47_amp_foreach_non_finite_check_and_unscale_cuda_EN3c108ArrayRefINS_6TensorEEERS9_RKS9_ENKUlvE_clEvENKUlvE0_clEvEUlfE_EEEvT_T0_DpT1_.numbered_sgpr, 27
	.set _ZN2at6native12_GLOBAL__N_125multi_tensor_apply_kernelINS1_18TensorListMetadataILi1EEENS1_14UnaryOpFunctorIfLi1ELi1ELi0EEEJZZZNS0_47_amp_foreach_non_finite_check_and_unscale_cuda_EN3c108ArrayRefINS_6TensorEEERS9_RKS9_ENKUlvE_clEvENKUlvE0_clEvEUlfE_EEEvT_T0_DpT1_.num_named_barrier, 0
	.set _ZN2at6native12_GLOBAL__N_125multi_tensor_apply_kernelINS1_18TensorListMetadataILi1EEENS1_14UnaryOpFunctorIfLi1ELi1ELi0EEEJZZZNS0_47_amp_foreach_non_finite_check_and_unscale_cuda_EN3c108ArrayRefINS_6TensorEEERS9_RKS9_ENKUlvE_clEvENKUlvE0_clEvEUlfE_EEEvT_T0_DpT1_.private_seg_size, 0
	.set _ZN2at6native12_GLOBAL__N_125multi_tensor_apply_kernelINS1_18TensorListMetadataILi1EEENS1_14UnaryOpFunctorIfLi1ELi1ELi0EEEJZZZNS0_47_amp_foreach_non_finite_check_and_unscale_cuda_EN3c108ArrayRefINS_6TensorEEERS9_RKS9_ENKUlvE_clEvENKUlvE0_clEvEUlfE_EEEvT_T0_DpT1_.uses_vcc, 1
	.set _ZN2at6native12_GLOBAL__N_125multi_tensor_apply_kernelINS1_18TensorListMetadataILi1EEENS1_14UnaryOpFunctorIfLi1ELi1ELi0EEEJZZZNS0_47_amp_foreach_non_finite_check_and_unscale_cuda_EN3c108ArrayRefINS_6TensorEEERS9_RKS9_ENKUlvE_clEvENKUlvE0_clEvEUlfE_EEEvT_T0_DpT1_.uses_flat_scratch, 0
	.set _ZN2at6native12_GLOBAL__N_125multi_tensor_apply_kernelINS1_18TensorListMetadataILi1EEENS1_14UnaryOpFunctorIfLi1ELi1ELi0EEEJZZZNS0_47_amp_foreach_non_finite_check_and_unscale_cuda_EN3c108ArrayRefINS_6TensorEEERS9_RKS9_ENKUlvE_clEvENKUlvE0_clEvEUlfE_EEEvT_T0_DpT1_.has_dyn_sized_stack, 0
	.set _ZN2at6native12_GLOBAL__N_125multi_tensor_apply_kernelINS1_18TensorListMetadataILi1EEENS1_14UnaryOpFunctorIfLi1ELi1ELi0EEEJZZZNS0_47_amp_foreach_non_finite_check_and_unscale_cuda_EN3c108ArrayRefINS_6TensorEEERS9_RKS9_ENKUlvE_clEvENKUlvE0_clEvEUlfE_EEEvT_T0_DpT1_.has_recursion, 0
	.set _ZN2at6native12_GLOBAL__N_125multi_tensor_apply_kernelINS1_18TensorListMetadataILi1EEENS1_14UnaryOpFunctorIfLi1ELi1ELi0EEEJZZZNS0_47_amp_foreach_non_finite_check_and_unscale_cuda_EN3c108ArrayRefINS_6TensorEEERS9_RKS9_ENKUlvE_clEvENKUlvE0_clEvEUlfE_EEEvT_T0_DpT1_.has_indirect_call, 0
	.section	.AMDGPU.csdata,"",@progbits
; Kernel info:
; codeLenInByte = 1524
; TotalNumSgprs: 29
; NumVgprs: 22
; ScratchSize: 0
; MemoryBound: 0
; FloatMode: 240
; IeeeMode: 1
; LDSByteSize: 0 bytes/workgroup (compile time only)
; SGPRBlocks: 0
; VGPRBlocks: 2
; NumSGPRsForWavesPerEU: 29
; NumVGPRsForWavesPerEU: 22
; Occupancy: 16
; WaveLimiterHint : 0
; COMPUTE_PGM_RSRC2:SCRATCH_EN: 0
; COMPUTE_PGM_RSRC2:USER_SGPR: 6
; COMPUTE_PGM_RSRC2:TRAP_HANDLER: 0
; COMPUTE_PGM_RSRC2:TGID_X_EN: 1
; COMPUTE_PGM_RSRC2:TGID_Y_EN: 0
; COMPUTE_PGM_RSRC2:TGID_Z_EN: 0
; COMPUTE_PGM_RSRC2:TIDIG_COMP_CNT: 0
	.section	.text._ZN2at6native12_GLOBAL__N_125multi_tensor_apply_kernelINS1_18TensorListMetadataILi1EEENS1_14UnaryOpFunctorIN3c104HalfELi1ELi1ELi0EEEJZZZNS0_47_amp_foreach_non_finite_check_and_unscale_cuda_ENS6_8ArrayRefINS_6TensorEEERSA_RKSA_ENKUlvE_clEvENKUlvE1_clEvEUlfE_EEEvT_T0_DpT1_,"axG",@progbits,_ZN2at6native12_GLOBAL__N_125multi_tensor_apply_kernelINS1_18TensorListMetadataILi1EEENS1_14UnaryOpFunctorIN3c104HalfELi1ELi1ELi0EEEJZZZNS0_47_amp_foreach_non_finite_check_and_unscale_cuda_ENS6_8ArrayRefINS_6TensorEEERSA_RKSA_ENKUlvE_clEvENKUlvE1_clEvEUlfE_EEEvT_T0_DpT1_,comdat
	.globl	_ZN2at6native12_GLOBAL__N_125multi_tensor_apply_kernelINS1_18TensorListMetadataILi1EEENS1_14UnaryOpFunctorIN3c104HalfELi1ELi1ELi0EEEJZZZNS0_47_amp_foreach_non_finite_check_and_unscale_cuda_ENS6_8ArrayRefINS_6TensorEEERSA_RKSA_ENKUlvE_clEvENKUlvE1_clEvEUlfE_EEEvT_T0_DpT1_ ; -- Begin function _ZN2at6native12_GLOBAL__N_125multi_tensor_apply_kernelINS1_18TensorListMetadataILi1EEENS1_14UnaryOpFunctorIN3c104HalfELi1ELi1ELi0EEEJZZZNS0_47_amp_foreach_non_finite_check_and_unscale_cuda_ENS6_8ArrayRefINS_6TensorEEERSA_RKSA_ENKUlvE_clEvENKUlvE1_clEvEUlfE_EEEvT_T0_DpT1_
	.p2align	8
	.type	_ZN2at6native12_GLOBAL__N_125multi_tensor_apply_kernelINS1_18TensorListMetadataILi1EEENS1_14UnaryOpFunctorIN3c104HalfELi1ELi1ELi0EEEJZZZNS0_47_amp_foreach_non_finite_check_and_unscale_cuda_ENS6_8ArrayRefINS_6TensorEEERSA_RKSA_ENKUlvE_clEvENKUlvE1_clEvEUlfE_EEEvT_T0_DpT1_,@function
_ZN2at6native12_GLOBAL__N_125multi_tensor_apply_kernelINS1_18TensorListMetadataILi1EEENS1_14UnaryOpFunctorIN3c104HalfELi1ELi1ELi0EEEJZZZNS0_47_amp_foreach_non_finite_check_and_unscale_cuda_ENS6_8ArrayRefINS_6TensorEEERSA_RKSA_ENKUlvE_clEvENKUlvE1_clEvEUlfE_EEEvT_T0_DpT1_: ; @_ZN2at6native12_GLOBAL__N_125multi_tensor_apply_kernelINS1_18TensorListMetadataILi1EEENS1_14UnaryOpFunctorIN3c104HalfELi1ELi1ELi0EEEJZZZNS0_47_amp_foreach_non_finite_check_and_unscale_cuda_ENS6_8ArrayRefINS_6TensorEEERSA_RKSA_ENKUlvE_clEvENKUlvE1_clEvEUlfE_EEEvT_T0_DpT1_
; %bb.0:
	v_mov_b32_e32 v1, s6
	s_add_u32 s0, s4, s6
	s_mul_hi_u32 s1, s6, 3
	s_mul_i32 s6, s6, 3
	s_addc_u32 s2, s5, 0
	global_load_ubyte v1, v1, s[4:5] offset:1760
	s_add_u32 s0, s0, s6
	s_addc_u32 s1, s2, s1
	s_mov_b32 s17, 0
	s_load_dword s0, s[0:1], 0x820
	s_waitcnt vmcnt(0)
	v_readfirstlane_b32 s1, v1
	s_lshl_b32 s1, s1, 3
	s_clause 0x2
	s_load_dwordx2 s[6:7], s[4:5], s1 offset:0x0
	s_load_dwordx2 s[2:3], s[4:5], s1 offset:0x370
	s_load_dwordx4 s[8:11], s[4:5], 0xd30
	s_waitcnt lgkmcnt(0)
	s_ashr_i32 s1, s0, 31
	s_lshl_b64 s[12:13], s[0:1], 17
	s_lshl_b64 s[0:1], s[0:1], 16
	s_and_b32 s16, s6, 7
	s_sub_u32 s14, s2, s0
	s_subb_u32 s15, s3, s1
	s_and_b32 s0, s2, 3
	s_mov_b32 s1, s17
	s_or_b64 s[0:1], s[16:17], s[0:1]
	s_cmp_eq_u64 s[0:1], 0
	s_cbranch_scc1 .LBB27_29
; %bb.1:
	v_cmp_lt_i64_e64 s0, s[14:15], 1
	s_and_b32 vcc_lo, exec_lo, s0
	s_cbranch_vccnz .LBB27_28
; %bb.2:
	s_load_dword s0, s[4:5], 0xd4c
	v_cmp_gt_i64_e64 s1, 0x10000, s[14:15]
	v_cmp_gt_u64_e64 s2, 0x10000, s[14:15]
	v_lshlrev_b32_e32 v1, 1, v0
	v_mov_b32_e32 v5, 0
	v_mov_b32_e32 v12, 1.0
	s_and_b32 s1, s1, exec_lo
	s_cselect_b32 s17, s15, 0
	s_cselect_b32 s16, s14, 0x10000
	s_waitcnt lgkmcnt(0)
	s_and_b32 s0, s0, 0xffff
	s_and_b32 s1, s2, exec_lo
	v_add_co_u32 v6, s3, v0, s0
	s_cselect_b32 s19, s15, 0
	s_cselect_b32 s18, s14, 0x10000
	s_lshl_b32 s1, s0, 1
	v_lshlrev_b32_e32 v3, 1, v6
	s_mul_i32 s2, s0, 3
	s_lshl_b32 s22, s0, 2
	s_add_u32 s20, s6, s12
	v_add_co_u32 v7, s2, s2, v0
	v_add_co_u32 v10, s1, s1, v0
	s_addc_u32 s21, s7, s13
	v_add_co_ci_u32_e64 v8, null, 0, 0, s2
	v_add_co_u32 v1, s2, s20, v1
	v_add_co_ci_u32_e64 v11, null, 0, 0, s1
	v_add_co_u32 v3, s1, s20, v3
	v_add_co_ci_u32_e64 v2, null, s21, 0, s2
	v_add_co_ci_u32_e64 v9, null, 0, 0, s3
	;; [unrolled: 1-line block ×3, first 2 shown]
	s_lshl_b32 s23, s0, 3
	s_mul_i32 s24, s0, 6
	s_mov_b64 s[20:21], 0
	s_branch .LBB27_4
.LBB27_3:                               ;   in Loop: Header=BB27_4 Depth=1
	s_or_b32 exec_lo, exec_lo, s0
	s_add_u32 s20, s20, s22
	s_addc_u32 s21, s21, 0
	v_add_co_u32 v1, vcc_lo, v1, s23
	v_cmp_ge_i64_e64 s0, s[20:21], s[16:17]
	v_add_co_ci_u32_e64 v2, null, 0, v2, vcc_lo
	v_add_co_u32 v3, vcc_lo, v3, s23
	v_add_co_ci_u32_e64 v4, null, 0, v4, vcc_lo
	s_and_b32 vcc_lo, exec_lo, s0
	s_cbranch_vccnz .LBB27_28
.LBB27_4:                               ; =>This Inner Loop Header: Depth=1
	v_add_co_u32 v13, s0, v0, s20
	v_add_co_ci_u32_e64 v14, null, 0, s21, s0
	v_cmp_gt_u64_e32 vcc_lo, s[18:19], v[13:14]
	v_mov_b32_e32 v14, 0
	s_and_saveexec_b32 s0, vcc_lo
	s_cbranch_execz .LBB27_6
; %bb.5:                                ;   in Loop: Header=BB27_4 Depth=1
	global_load_ushort v14, v[1:2], off
.LBB27_6:                               ;   in Loop: Header=BB27_4 Depth=1
	s_or_b32 exec_lo, exec_lo, s0
	v_add_co_u32 v15, s0, v6, s20
	v_add_co_ci_u32_e64 v16, null, s21, v9, s0
	v_mov_b32_e32 v13, 0
	v_cmp_gt_u64_e64 s0, s[18:19], v[15:16]
	v_mov_b32_e32 v15, 0
	s_and_saveexec_b32 s1, s0
	s_cbranch_execz .LBB27_8
; %bb.7:                                ;   in Loop: Header=BB27_4 Depth=1
	global_load_ushort v15, v[3:4], off
.LBB27_8:                               ;   in Loop: Header=BB27_4 Depth=1
	s_or_b32 exec_lo, exec_lo, s1
	v_add_co_u32 v16, s1, v10, s20
	v_add_co_ci_u32_e64 v17, null, s21, v11, s1
	v_cmp_gt_u64_e64 s1, s[18:19], v[16:17]
	s_and_saveexec_b32 s3, s1
	s_cbranch_execz .LBB27_10
; %bb.9:                                ;   in Loop: Header=BB27_4 Depth=1
	v_add_co_u32 v16, s2, v1, s22
	v_add_co_ci_u32_e64 v17, null, 0, v2, s2
	global_load_ushort v13, v[16:17], off
.LBB27_10:                              ;   in Loop: Header=BB27_4 Depth=1
	s_or_b32 exec_lo, exec_lo, s3
	v_add_co_u32 v16, s2, v7, s20
	v_add_co_ci_u32_e64 v17, null, s21, v8, s2
	v_cmp_gt_u64_e64 s2, s[18:19], v[16:17]
	v_mov_b32_e32 v16, 0
	s_and_saveexec_b32 s25, s2
	s_cbranch_execz .LBB27_12
; %bb.11:                               ;   in Loop: Header=BB27_4 Depth=1
	v_add_co_u32 v16, s3, v1, s24
	v_add_co_ci_u32_e64 v17, null, 0, v2, s3
	global_load_ushort v16, v[16:17], off
.LBB27_12:                              ;   in Loop: Header=BB27_4 Depth=1
	s_or_b32 exec_lo, exec_lo, s25
	s_waitcnt vmcnt(0)
	v_cvt_f32_f16_e32 v19, v14
	s_mov_b32 s3, exec_lo
	v_cmpx_nlg_f32_e64 0x7f800000, |v19|
	s_cbranch_execz .LBB27_14
; %bb.13:                               ;   in Loop: Header=BB27_4 Depth=1
	global_store_dword v5, v12, s[8:9]
.LBB27_14:                              ;   in Loop: Header=BB27_4 Depth=1
	s_or_b32 exec_lo, exec_lo, s3
	global_load_dword v24, v5, s[10:11]
	v_cvt_f32_f16_e32 v17, v15
	s_mov_b32 s3, exec_lo
	s_waitcnt vmcnt(0)
	v_mov_b32_e32 v21, v24
	v_cmpx_nlg_f32_e64 0x7f800000, |v17|
	s_cbranch_execz .LBB27_16
; %bb.15:                               ;   in Loop: Header=BB27_4 Depth=1
	global_store_dword v5, v12, s[8:9]
	global_load_dword v21, v5, s[10:11]
.LBB27_16:                              ;   in Loop: Header=BB27_4 Depth=1
	s_or_b32 exec_lo, exec_lo, s3
	v_cvt_f32_f16_e32 v20, v13
	s_waitcnt vmcnt(0)
	v_mov_b32_e32 v23, v21
	s_mov_b32 s3, exec_lo
	v_cmpx_nlg_f32_e64 0x7f800000, |v20|
	s_cbranch_execz .LBB27_18
; %bb.17:                               ;   in Loop: Header=BB27_4 Depth=1
	global_store_dword v5, v12, s[8:9]
	global_load_dword v23, v5, s[10:11]
.LBB27_18:                              ;   in Loop: Header=BB27_4 Depth=1
	s_or_b32 exec_lo, exec_lo, s3
	v_cvt_f32_f16_e32 v18, v16
	s_waitcnt vmcnt(0)
	v_mov_b32_e32 v22, v23
	s_mov_b32 s3, exec_lo
	v_cmpx_nlg_f32_e64 0x7f800000, |v18|
	s_cbranch_execnz .LBB27_23
; %bb.19:                               ;   in Loop: Header=BB27_4 Depth=1
	s_or_b32 exec_lo, exec_lo, s3
	s_and_saveexec_b32 s3, vcc_lo
	s_xor_b32 s3, exec_lo, s3
	s_cbranch_execnz .LBB27_24
.LBB27_20:                              ;   in Loop: Header=BB27_4 Depth=1
	s_or_b32 exec_lo, exec_lo, s3
	s_and_saveexec_b32 s3, s0
	s_cbranch_execnz .LBB27_25
.LBB27_21:                              ;   in Loop: Header=BB27_4 Depth=1
	s_or_b32 exec_lo, exec_lo, s3
	s_and_saveexec_b32 s0, s1
	s_cbranch_execnz .LBB27_26
.LBB27_22:                              ;   in Loop: Header=BB27_4 Depth=1
	s_or_b32 exec_lo, exec_lo, s0
	s_and_saveexec_b32 s0, s2
	s_cbranch_execz .LBB27_3
	s_branch .LBB27_27
.LBB27_23:                              ;   in Loop: Header=BB27_4 Depth=1
	global_store_dword v5, v12, s[8:9]
	global_load_dword v22, v5, s[10:11]
	s_or_b32 exec_lo, exec_lo, s3
	s_and_saveexec_b32 s3, vcc_lo
	s_xor_b32 s3, exec_lo, s3
	s_cbranch_execz .LBB27_20
.LBB27_24:                              ;   in Loop: Header=BB27_4 Depth=1
	v_fma_mixlo_f16 v19, v24, v19, 0
	v_cmp_eq_f32_e32 vcc_lo, 1.0, v24
	v_cndmask_b32_e32 v14, v19, v14, vcc_lo
	global_store_short v[1:2], v14, off
	s_or_b32 exec_lo, exec_lo, s3
	s_and_saveexec_b32 s3, s0
	s_cbranch_execz .LBB27_21
.LBB27_25:                              ;   in Loop: Header=BB27_4 Depth=1
	v_fma_mixlo_f16 v14, v21, v17, 0
	v_cmp_eq_f32_e32 vcc_lo, 1.0, v21
	v_cndmask_b32_e32 v14, v14, v15, vcc_lo
	global_store_short v[3:4], v14, off
	s_or_b32 exec_lo, exec_lo, s3
	s_and_saveexec_b32 s0, s1
	s_cbranch_execz .LBB27_22
.LBB27_26:                              ;   in Loop: Header=BB27_4 Depth=1
	v_fma_mixlo_f16 v14, v23, v20, 0
	v_cmp_eq_f32_e32 vcc_lo, 1.0, v23
	v_cndmask_b32_e32 v15, v14, v13, vcc_lo
	v_add_co_u32 v13, vcc_lo, v1, s22
	v_add_co_ci_u32_e64 v14, null, 0, v2, vcc_lo
	global_store_short v[13:14], v15, off
	s_or_b32 exec_lo, exec_lo, s0
	s_and_saveexec_b32 s0, s2
	s_cbranch_execz .LBB27_3
.LBB27_27:                              ;   in Loop: Header=BB27_4 Depth=1
	s_waitcnt vmcnt(0)
	v_fma_mixlo_f16 v13, v22, v18, 0
	v_cmp_eq_f32_e32 vcc_lo, 1.0, v22
	v_cndmask_b32_e32 v15, v13, v16, vcc_lo
	v_add_co_u32 v13, vcc_lo, v1, s24
	v_add_co_ci_u32_e64 v14, null, 0, v2, vcc_lo
	global_store_short v[13:14], v15, off
	s_branch .LBB27_3
.LBB27_28:
	s_cbranch_execz .LBB27_30
	s_branch .LBB27_41
.LBB27_29:
.LBB27_30:
	v_cmp_gt_i64_e64 s0, 0x10000, s[14:15]
	v_mov_b32_e32 v2, 0
	v_lshlrev_b32_e32 v1, 2, v0
	s_mov_b32 s1, 0
	s_and_b32 s0, s0, exec_lo
	s_cselect_b32 s3, s15, 0
	s_cselect_b32 s2, s14, 0x10000
	s_mov_b32 s0, exec_lo
	v_cmpx_gt_i64_e64 s[2:3], v[1:2]
	s_cbranch_execz .LBB27_41
; %bb.31:
	s_load_dword s0, s[4:5], 0xd4c
	v_lshlrev_b32_e32 v1, 3, v0
	v_mov_b32_e32 v7, 1.0
	s_waitcnt lgkmcnt(0)
	s_and_b32 s4, s0, 0xffff
	s_add_u32 s0, s6, s12
	s_addc_u32 s5, s7, s13
	v_add_co_u32 v3, s0, s0, v1
	v_add_co_ci_u32_e64 v4, null, s5, 0, s0
	v_mov_b32_e32 v1, v2
	v_add_co_u32 v3, vcc_lo, v3, 4
	v_add_co_ci_u32_e64 v4, null, 0, v4, vcc_lo
	s_lshl_b32 s5, s4, 3
	s_branch .LBB27_33
.LBB27_32:                              ;   in Loop: Header=BB27_33 Depth=1
	s_or_b32 exec_lo, exec_lo, s0
	v_fma_mixlo_f16 v15, v13, v15, 0
	v_cmp_eq_f32_e32 vcc_lo, 1.0, v13
	v_fma_mixlo_f16 v12, v11, v12, 0
	v_fma_mixlo_f16 v8, v9, v8, 0
	s_waitcnt vmcnt(0)
	v_fma_mixlo_f16 v17, v16, v17, 0
	v_cndmask_b32_e32 v6, v15, v6, vcc_lo
	v_cmp_eq_f32_e32 vcc_lo, 1.0, v11
	v_cndmask_b32_e32 v10, v12, v10, vcc_lo
	v_cmp_eq_f32_e32 vcc_lo, 1.0, v9
	;; [unrolled: 2-line block ×3, first 2 shown]
	v_perm_b32 v5, v10, v5, 0x5040100
	v_cndmask_b32_e32 v8, v17, v14, vcc_lo
	v_add_co_u32 v0, vcc_lo, v0, s4
	v_add_co_ci_u32_e64 v1, null, 0, v1, vcc_lo
	v_perm_b32 v6, v8, v6, 0x5040100
	v_lshlrev_b64 v[8:9], 2, v[0:1]
	global_store_dwordx2 v[3:4], v[5:6], off offset:-4
	v_add_co_u32 v3, s0, v3, s5
	v_add_co_ci_u32_e64 v4, null, 0, v4, s0
	v_cmp_le_i64_e32 vcc_lo, s[2:3], v[8:9]
	s_or_b32 s1, vcc_lo, s1
	s_andn2_b32 exec_lo, exec_lo, s1
	s_cbranch_execz .LBB27_41
.LBB27_33:                              ; =>This Inner Loop Header: Depth=1
	global_load_dwordx2 v[5:6], v[3:4], off offset:-4
	s_mov_b32 s0, exec_lo
	s_waitcnt vmcnt(0)
	v_cvt_f32_f16_e32 v8, v5
	v_cmpx_nlg_f32_e64 0x7f800000, |v8|
	s_cbranch_execz .LBB27_35
; %bb.34:                               ;   in Loop: Header=BB27_33 Depth=1
	global_store_dword v2, v7, s[8:9]
.LBB27_35:                              ;   in Loop: Header=BB27_33 Depth=1
	s_or_b32 exec_lo, exec_lo, s0
	global_load_dword v9, v2, s[10:11]
	v_lshrrev_b32_e32 v10, 16, v5
	s_mov_b32 s0, exec_lo
	v_cvt_f32_f16_e32 v12, v10
	s_waitcnt vmcnt(0)
	v_mov_b32_e32 v11, v9
	v_cmpx_nlg_f32_e64 0x7f800000, |v12|
	s_cbranch_execz .LBB27_37
; %bb.36:                               ;   in Loop: Header=BB27_33 Depth=1
	global_store_dword v2, v7, s[8:9]
	global_load_dword v11, v2, s[10:11]
.LBB27_37:                              ;   in Loop: Header=BB27_33 Depth=1
	s_or_b32 exec_lo, exec_lo, s0
	v_cvt_f32_f16_e32 v15, v6
	s_waitcnt vmcnt(0)
	v_mov_b32_e32 v13, v11
	s_mov_b32 s0, exec_lo
	v_cmpx_nlg_f32_e64 0x7f800000, |v15|
	s_cbranch_execz .LBB27_39
; %bb.38:                               ;   in Loop: Header=BB27_33 Depth=1
	global_store_dword v2, v7, s[8:9]
	global_load_dword v13, v2, s[10:11]
.LBB27_39:                              ;   in Loop: Header=BB27_33 Depth=1
	s_or_b32 exec_lo, exec_lo, s0
	v_lshrrev_b32_e32 v14, 16, v6
	s_waitcnt vmcnt(0)
	v_mov_b32_e32 v16, v13
	s_mov_b32 s0, exec_lo
	v_cvt_f32_f16_e32 v17, v14
	v_cmpx_nlg_f32_e64 0x7f800000, |v17|
	s_cbranch_execz .LBB27_32
; %bb.40:                               ;   in Loop: Header=BB27_33 Depth=1
	global_store_dword v2, v7, s[8:9]
	global_load_dword v16, v2, s[10:11]
	s_branch .LBB27_32
.LBB27_41:
	s_endpgm
	.section	.rodata,"a",@progbits
	.p2align	6, 0x0
	.amdhsa_kernel _ZN2at6native12_GLOBAL__N_125multi_tensor_apply_kernelINS1_18TensorListMetadataILi1EEENS1_14UnaryOpFunctorIN3c104HalfELi1ELi1ELi0EEEJZZZNS0_47_amp_foreach_non_finite_check_and_unscale_cuda_ENS6_8ArrayRefINS_6TensorEEERSA_RKSA_ENKUlvE_clEvENKUlvE1_clEvEUlfE_EEEvT_T0_DpT1_
		.amdhsa_group_segment_fixed_size 0
		.amdhsa_private_segment_fixed_size 0
		.amdhsa_kernarg_size 3648
		.amdhsa_user_sgpr_count 6
		.amdhsa_user_sgpr_private_segment_buffer 1
		.amdhsa_user_sgpr_dispatch_ptr 0
		.amdhsa_user_sgpr_queue_ptr 0
		.amdhsa_user_sgpr_kernarg_segment_ptr 1
		.amdhsa_user_sgpr_dispatch_id 0
		.amdhsa_user_sgpr_flat_scratch_init 0
		.amdhsa_user_sgpr_private_segment_size 0
		.amdhsa_wavefront_size32 1
		.amdhsa_uses_dynamic_stack 0
		.amdhsa_system_sgpr_private_segment_wavefront_offset 0
		.amdhsa_system_sgpr_workgroup_id_x 1
		.amdhsa_system_sgpr_workgroup_id_y 0
		.amdhsa_system_sgpr_workgroup_id_z 0
		.amdhsa_system_sgpr_workgroup_info 0
		.amdhsa_system_vgpr_workitem_id 0
		.amdhsa_next_free_vgpr 25
		.amdhsa_next_free_sgpr 26
		.amdhsa_reserve_vcc 1
		.amdhsa_reserve_flat_scratch 0
		.amdhsa_float_round_mode_32 0
		.amdhsa_float_round_mode_16_64 0
		.amdhsa_float_denorm_mode_32 3
		.amdhsa_float_denorm_mode_16_64 3
		.amdhsa_dx10_clamp 1
		.amdhsa_ieee_mode 1
		.amdhsa_fp16_overflow 0
		.amdhsa_workgroup_processor_mode 1
		.amdhsa_memory_ordered 1
		.amdhsa_forward_progress 1
		.amdhsa_shared_vgpr_count 0
		.amdhsa_exception_fp_ieee_invalid_op 0
		.amdhsa_exception_fp_denorm_src 0
		.amdhsa_exception_fp_ieee_div_zero 0
		.amdhsa_exception_fp_ieee_overflow 0
		.amdhsa_exception_fp_ieee_underflow 0
		.amdhsa_exception_fp_ieee_inexact 0
		.amdhsa_exception_int_div_zero 0
	.end_amdhsa_kernel
	.section	.text._ZN2at6native12_GLOBAL__N_125multi_tensor_apply_kernelINS1_18TensorListMetadataILi1EEENS1_14UnaryOpFunctorIN3c104HalfELi1ELi1ELi0EEEJZZZNS0_47_amp_foreach_non_finite_check_and_unscale_cuda_ENS6_8ArrayRefINS_6TensorEEERSA_RKSA_ENKUlvE_clEvENKUlvE1_clEvEUlfE_EEEvT_T0_DpT1_,"axG",@progbits,_ZN2at6native12_GLOBAL__N_125multi_tensor_apply_kernelINS1_18TensorListMetadataILi1EEENS1_14UnaryOpFunctorIN3c104HalfELi1ELi1ELi0EEEJZZZNS0_47_amp_foreach_non_finite_check_and_unscale_cuda_ENS6_8ArrayRefINS_6TensorEEERSA_RKSA_ENKUlvE_clEvENKUlvE1_clEvEUlfE_EEEvT_T0_DpT1_,comdat
.Lfunc_end27:
	.size	_ZN2at6native12_GLOBAL__N_125multi_tensor_apply_kernelINS1_18TensorListMetadataILi1EEENS1_14UnaryOpFunctorIN3c104HalfELi1ELi1ELi0EEEJZZZNS0_47_amp_foreach_non_finite_check_and_unscale_cuda_ENS6_8ArrayRefINS_6TensorEEERSA_RKSA_ENKUlvE_clEvENKUlvE1_clEvEUlfE_EEEvT_T0_DpT1_, .Lfunc_end27-_ZN2at6native12_GLOBAL__N_125multi_tensor_apply_kernelINS1_18TensorListMetadataILi1EEENS1_14UnaryOpFunctorIN3c104HalfELi1ELi1ELi0EEEJZZZNS0_47_amp_foreach_non_finite_check_and_unscale_cuda_ENS6_8ArrayRefINS_6TensorEEERSA_RKSA_ENKUlvE_clEvENKUlvE1_clEvEUlfE_EEEvT_T0_DpT1_
                                        ; -- End function
	.set _ZN2at6native12_GLOBAL__N_125multi_tensor_apply_kernelINS1_18TensorListMetadataILi1EEENS1_14UnaryOpFunctorIN3c104HalfELi1ELi1ELi0EEEJZZZNS0_47_amp_foreach_non_finite_check_and_unscale_cuda_ENS6_8ArrayRefINS_6TensorEEERSA_RKSA_ENKUlvE_clEvENKUlvE1_clEvEUlfE_EEEvT_T0_DpT1_.num_vgpr, 25
	.set _ZN2at6native12_GLOBAL__N_125multi_tensor_apply_kernelINS1_18TensorListMetadataILi1EEENS1_14UnaryOpFunctorIN3c104HalfELi1ELi1ELi0EEEJZZZNS0_47_amp_foreach_non_finite_check_and_unscale_cuda_ENS6_8ArrayRefINS_6TensorEEERSA_RKSA_ENKUlvE_clEvENKUlvE1_clEvEUlfE_EEEvT_T0_DpT1_.num_agpr, 0
	.set _ZN2at6native12_GLOBAL__N_125multi_tensor_apply_kernelINS1_18TensorListMetadataILi1EEENS1_14UnaryOpFunctorIN3c104HalfELi1ELi1ELi0EEEJZZZNS0_47_amp_foreach_non_finite_check_and_unscale_cuda_ENS6_8ArrayRefINS_6TensorEEERSA_RKSA_ENKUlvE_clEvENKUlvE1_clEvEUlfE_EEEvT_T0_DpT1_.numbered_sgpr, 26
	.set _ZN2at6native12_GLOBAL__N_125multi_tensor_apply_kernelINS1_18TensorListMetadataILi1EEENS1_14UnaryOpFunctorIN3c104HalfELi1ELi1ELi0EEEJZZZNS0_47_amp_foreach_non_finite_check_and_unscale_cuda_ENS6_8ArrayRefINS_6TensorEEERSA_RKSA_ENKUlvE_clEvENKUlvE1_clEvEUlfE_EEEvT_T0_DpT1_.num_named_barrier, 0
	.set _ZN2at6native12_GLOBAL__N_125multi_tensor_apply_kernelINS1_18TensorListMetadataILi1EEENS1_14UnaryOpFunctorIN3c104HalfELi1ELi1ELi0EEEJZZZNS0_47_amp_foreach_non_finite_check_and_unscale_cuda_ENS6_8ArrayRefINS_6TensorEEERSA_RKSA_ENKUlvE_clEvENKUlvE1_clEvEUlfE_EEEvT_T0_DpT1_.private_seg_size, 0
	.set _ZN2at6native12_GLOBAL__N_125multi_tensor_apply_kernelINS1_18TensorListMetadataILi1EEENS1_14UnaryOpFunctorIN3c104HalfELi1ELi1ELi0EEEJZZZNS0_47_amp_foreach_non_finite_check_and_unscale_cuda_ENS6_8ArrayRefINS_6TensorEEERSA_RKSA_ENKUlvE_clEvENKUlvE1_clEvEUlfE_EEEvT_T0_DpT1_.uses_vcc, 1
	.set _ZN2at6native12_GLOBAL__N_125multi_tensor_apply_kernelINS1_18TensorListMetadataILi1EEENS1_14UnaryOpFunctorIN3c104HalfELi1ELi1ELi0EEEJZZZNS0_47_amp_foreach_non_finite_check_and_unscale_cuda_ENS6_8ArrayRefINS_6TensorEEERSA_RKSA_ENKUlvE_clEvENKUlvE1_clEvEUlfE_EEEvT_T0_DpT1_.uses_flat_scratch, 0
	.set _ZN2at6native12_GLOBAL__N_125multi_tensor_apply_kernelINS1_18TensorListMetadataILi1EEENS1_14UnaryOpFunctorIN3c104HalfELi1ELi1ELi0EEEJZZZNS0_47_amp_foreach_non_finite_check_and_unscale_cuda_ENS6_8ArrayRefINS_6TensorEEERSA_RKSA_ENKUlvE_clEvENKUlvE1_clEvEUlfE_EEEvT_T0_DpT1_.has_dyn_sized_stack, 0
	.set _ZN2at6native12_GLOBAL__N_125multi_tensor_apply_kernelINS1_18TensorListMetadataILi1EEENS1_14UnaryOpFunctorIN3c104HalfELi1ELi1ELi0EEEJZZZNS0_47_amp_foreach_non_finite_check_and_unscale_cuda_ENS6_8ArrayRefINS_6TensorEEERSA_RKSA_ENKUlvE_clEvENKUlvE1_clEvEUlfE_EEEvT_T0_DpT1_.has_recursion, 0
	.set _ZN2at6native12_GLOBAL__N_125multi_tensor_apply_kernelINS1_18TensorListMetadataILi1EEENS1_14UnaryOpFunctorIN3c104HalfELi1ELi1ELi0EEEJZZZNS0_47_amp_foreach_non_finite_check_and_unscale_cuda_ENS6_8ArrayRefINS_6TensorEEERSA_RKSA_ENKUlvE_clEvENKUlvE1_clEvEUlfE_EEEvT_T0_DpT1_.has_indirect_call, 0
	.section	.AMDGPU.csdata,"",@progbits
; Kernel info:
; codeLenInByte = 1612
; TotalNumSgprs: 28
; NumVgprs: 25
; ScratchSize: 0
; MemoryBound: 0
; FloatMode: 240
; IeeeMode: 1
; LDSByteSize: 0 bytes/workgroup (compile time only)
; SGPRBlocks: 0
; VGPRBlocks: 3
; NumSGPRsForWavesPerEU: 28
; NumVGPRsForWavesPerEU: 25
; Occupancy: 16
; WaveLimiterHint : 0
; COMPUTE_PGM_RSRC2:SCRATCH_EN: 0
; COMPUTE_PGM_RSRC2:USER_SGPR: 6
; COMPUTE_PGM_RSRC2:TRAP_HANDLER: 0
; COMPUTE_PGM_RSRC2:TGID_X_EN: 1
; COMPUTE_PGM_RSRC2:TGID_Y_EN: 0
; COMPUTE_PGM_RSRC2:TGID_Z_EN: 0
; COMPUTE_PGM_RSRC2:TIDIG_COMP_CNT: 0
	.text
	.p2alignl 6, 3214868480
	.fill 48, 4, 3214868480
	.section	.AMDGPU.gpr_maximums,"",@progbits
	.set amdgpu.max_num_vgpr, 0
	.set amdgpu.max_num_agpr, 0
	.set amdgpu.max_num_sgpr, 0
	.text
	.type	__hip_cuid_654350848ca2ef3e,@object ; @__hip_cuid_654350848ca2ef3e
	.section	.bss,"aw",@nobits
	.globl	__hip_cuid_654350848ca2ef3e
__hip_cuid_654350848ca2ef3e:
	.byte	0                               ; 0x0
	.size	__hip_cuid_654350848ca2ef3e, 1

	.ident	"AMD clang version 22.0.0git (https://github.com/RadeonOpenCompute/llvm-project roc-7.2.4 26084 f58b06dce1f9c15707c5f808fd002e18c2accf7e)"
	.section	".note.GNU-stack","",@progbits
	.addrsig
	.addrsig_sym __hip_cuid_654350848ca2ef3e
	.amdgpu_metadata
---
amdhsa.kernels:
  - .args:
      - .address_space:  global
        .offset:         0
        .size:           8
        .value_kind:     global_buffer
      - .address_space:  global
        .offset:         8
        .size:           8
        .value_kind:     global_buffer
      - .address_space:  global
        .offset:         16
        .size:           8
        .value_kind:     global_buffer
      - .offset:         24
        .size:           8
        .value_kind:     by_value
      - .offset:         32
        .size:           8
        .value_kind:     by_value
      - .offset:         40
        .size:           4
        .value_kind:     by_value
    .group_segment_fixed_size: 0
    .kernarg_segment_align: 8
    .kernarg_segment_size: 44
    .language:       OpenCL C
    .language_version:
      - 2
      - 0
    .max_flat_workgroup_size: 1024
    .name:           _ZN2at6native28amp_update_scale_cuda_kernelEPfPiPKfddi
    .private_segment_fixed_size: 0
    .sgpr_count:     18
    .sgpr_spill_count: 0
    .symbol:         _ZN2at6native28amp_update_scale_cuda_kernelEPfPiPKfddi.kd
    .uniform_work_group_size: 1
    .uses_dynamic_stack: false
    .vgpr_count:     2
    .vgpr_spill_count: 0
    .wavefront_size: 32
    .workgroup_processor_mode: 1
  - .args:
      - .offset:         0
        .size:           4
        .value_kind:     by_value
      - .offset:         8
        .size:           16
        .value_kind:     by_value
      - .offset:         24
        .size:           16
        .value_kind:     by_value
    .group_segment_fixed_size: 0
    .kernarg_segment_align: 8
    .kernarg_segment_size: 40
    .language:       OpenCL C
    .language_version:
      - 2
      - 0
    .max_flat_workgroup_size: 256
    .name:           _ZN2at6native29vectorized_elementwise_kernelILi16EZZZNS0_12_GLOBAL__N_139_amp_non_finite_check_and_unscale_cuda_ERNS_6TensorES4_RKS3_ENKUlvE_clEvENKUlvE_clEvEUldE_St5arrayIPcLm2EEEEviT0_T1_
    .private_segment_fixed_size: 0
    .sgpr_count:     18
    .sgpr_spill_count: 0
    .symbol:         _ZN2at6native29vectorized_elementwise_kernelILi16EZZZNS0_12_GLOBAL__N_139_amp_non_finite_check_and_unscale_cuda_ERNS_6TensorES4_RKS3_ENKUlvE_clEvENKUlvE_clEvEUldE_St5arrayIPcLm2EEEEviT0_T1_.kd
    .uniform_work_group_size: 1
    .uses_dynamic_stack: false
    .vgpr_count:     22
    .vgpr_spill_count: 0
    .wavefront_size: 32
    .workgroup_processor_mode: 1
  - .args:
      - .offset:         0
        .size:           4
        .value_kind:     by_value
      - .offset:         8
        .size:           16
        .value_kind:     by_value
      - .offset:         24
        .size:           16
        .value_kind:     by_value
    .group_segment_fixed_size: 0
    .kernarg_segment_align: 8
    .kernarg_segment_size: 40
    .language:       OpenCL C
    .language_version:
      - 2
      - 0
    .max_flat_workgroup_size: 256
    .name:           _ZN2at6native29vectorized_elementwise_kernelILi8EZZZNS0_12_GLOBAL__N_139_amp_non_finite_check_and_unscale_cuda_ERNS_6TensorES4_RKS3_ENKUlvE_clEvENKUlvE_clEvEUldE_St5arrayIPcLm2EEEEviT0_T1_
    .private_segment_fixed_size: 0
    .sgpr_count:     18
    .sgpr_spill_count: 0
    .symbol:         _ZN2at6native29vectorized_elementwise_kernelILi8EZZZNS0_12_GLOBAL__N_139_amp_non_finite_check_and_unscale_cuda_ERNS_6TensorES4_RKS3_ENKUlvE_clEvENKUlvE_clEvEUldE_St5arrayIPcLm2EEEEviT0_T1_.kd
    .uniform_work_group_size: 1
    .uses_dynamic_stack: false
    .vgpr_count:     22
    .vgpr_spill_count: 0
    .wavefront_size: 32
    .workgroup_processor_mode: 1
  - .args:
      - .offset:         0
        .size:           4
        .value_kind:     by_value
      - .offset:         8
        .size:           16
        .value_kind:     by_value
      - .offset:         24
        .size:           16
        .value_kind:     by_value
    .group_segment_fixed_size: 0
    .kernarg_segment_align: 8
    .kernarg_segment_size: 40
    .language:       OpenCL C
    .language_version:
      - 2
      - 0
    .max_flat_workgroup_size: 256
    .name:           _ZN2at6native29vectorized_elementwise_kernelILi4EZZZNS0_12_GLOBAL__N_139_amp_non_finite_check_and_unscale_cuda_ERNS_6TensorES4_RKS3_ENKUlvE_clEvENKUlvE_clEvEUldE_St5arrayIPcLm2EEEEviT0_T1_
    .private_segment_fixed_size: 0
    .sgpr_count:     18
    .sgpr_spill_count: 0
    .symbol:         _ZN2at6native29vectorized_elementwise_kernelILi4EZZZNS0_12_GLOBAL__N_139_amp_non_finite_check_and_unscale_cuda_ERNS_6TensorES4_RKS3_ENKUlvE_clEvENKUlvE_clEvEUldE_St5arrayIPcLm2EEEEviT0_T1_.kd
    .uniform_work_group_size: 1
    .uses_dynamic_stack: false
    .vgpr_count:     22
    .vgpr_spill_count: 0
    .wavefront_size: 32
    .workgroup_processor_mode: 1
  - .args:
      - .offset:         0
        .size:           4
        .value_kind:     by_value
      - .offset:         8
        .size:           16
        .value_kind:     by_value
      - .offset:         24
        .size:           16
        .value_kind:     by_value
    .group_segment_fixed_size: 0
    .kernarg_segment_align: 8
    .kernarg_segment_size: 40
    .language:       OpenCL C
    .language_version:
      - 2
      - 0
    .max_flat_workgroup_size: 256
    .name:           _ZN2at6native29vectorized_elementwise_kernelILi2EZZZNS0_12_GLOBAL__N_139_amp_non_finite_check_and_unscale_cuda_ERNS_6TensorES4_RKS3_ENKUlvE_clEvENKUlvE_clEvEUldE_St5arrayIPcLm2EEEEviT0_T1_
    .private_segment_fixed_size: 0
    .sgpr_count:     18
    .sgpr_spill_count: 0
    .symbol:         _ZN2at6native29vectorized_elementwise_kernelILi2EZZZNS0_12_GLOBAL__N_139_amp_non_finite_check_and_unscale_cuda_ERNS_6TensorES4_RKS3_ENKUlvE_clEvENKUlvE_clEvEUldE_St5arrayIPcLm2EEEEviT0_T1_.kd
    .uniform_work_group_size: 1
    .uses_dynamic_stack: false
    .vgpr_count:     22
    .vgpr_spill_count: 0
    .wavefront_size: 32
    .workgroup_processor_mode: 1
  - .args:
      - .offset:         0
        .size:           4
        .value_kind:     by_value
      - .offset:         8
        .size:           16
        .value_kind:     by_value
      - .offset:         24
        .size:           16
        .value_kind:     by_value
      - .offset:         40
        .size:           1
        .value_kind:     by_value
      - .offset:         41
        .size:           1
        .value_kind:     by_value
      - .offset:         42
        .size:           1
        .value_kind:     by_value
      - .offset:         43
        .size:           1
        .value_kind:     by_value
    .group_segment_fixed_size: 0
    .kernarg_segment_align: 8
    .kernarg_segment_size: 44
    .language:       OpenCL C
    .language_version:
      - 2
      - 0
    .max_flat_workgroup_size: 256
    .name:           _ZN2at6native27unrolled_elementwise_kernelIZZZNS0_12_GLOBAL__N_139_amp_non_finite_check_and_unscale_cuda_ERNS_6TensorES4_RKS3_ENKUlvE_clEvENKUlvE_clEvEUldE_St5arrayIPcLm2EELi4E23TrivialOffsetCalculatorILi1EjESE_NS0_6memory15LoadWithoutCastENSF_16StoreWithoutCastEEEviT_T0_T2_T3_T4_T5_
    .private_segment_fixed_size: 0
    .sgpr_count:     18
    .sgpr_spill_count: 0
    .symbol:         _ZN2at6native27unrolled_elementwise_kernelIZZZNS0_12_GLOBAL__N_139_amp_non_finite_check_and_unscale_cuda_ERNS_6TensorES4_RKS3_ENKUlvE_clEvENKUlvE_clEvEUldE_St5arrayIPcLm2EELi4E23TrivialOffsetCalculatorILi1EjESE_NS0_6memory15LoadWithoutCastENSF_16StoreWithoutCastEEEviT_T0_T2_T3_T4_T5_.kd
    .uniform_work_group_size: 1
    .uses_dynamic_stack: false
    .vgpr_count:     20
    .vgpr_spill_count: 0
    .wavefront_size: 32
    .workgroup_processor_mode: 1
  - .args:
      - .offset:         0
        .size:           4
        .value_kind:     by_value
      - .offset:         8
        .size:           360
        .value_kind:     by_value
    .group_segment_fixed_size: 0
    .kernarg_segment_align: 8
    .kernarg_segment_size: 368
    .language:       OpenCL C
    .language_version:
      - 2
      - 0
    .max_flat_workgroup_size: 128
    .name:           _ZN2at6native32elementwise_kernel_manual_unrollILi128ELi4EZNS0_22gpu_kernel_impl_nocastIZZZNS0_12_GLOBAL__N_139_amp_non_finite_check_and_unscale_cuda_ERNS_6TensorES5_RKS4_ENKUlvE_clEvENKUlvE_clEvEUldE_EEvRNS_18TensorIteratorBaseERKT_EUlibE_EEviT1_
    .private_segment_fixed_size: 0
    .sgpr_count:     62
    .sgpr_spill_count: 0
    .symbol:         _ZN2at6native32elementwise_kernel_manual_unrollILi128ELi4EZNS0_22gpu_kernel_impl_nocastIZZZNS0_12_GLOBAL__N_139_amp_non_finite_check_and_unscale_cuda_ERNS_6TensorES5_RKS4_ENKUlvE_clEvENKUlvE_clEvEUldE_EEvRNS_18TensorIteratorBaseERKT_EUlibE_EEviT1_.kd
    .uniform_work_group_size: 1
    .uses_dynamic_stack: false
    .vgpr_count:     24
    .vgpr_spill_count: 0
    .wavefront_size: 32
    .workgroup_processor_mode: 1
  - .args:
      - .offset:         0
        .size:           4
        .value_kind:     by_value
      - .offset:         8
        .size:           48
        .value_kind:     by_value
    .group_segment_fixed_size: 0
    .kernarg_segment_align: 8
    .kernarg_segment_size: 56
    .language:       OpenCL C
    .language_version:
      - 2
      - 0
    .max_flat_workgroup_size: 128
    .name:           _ZN2at6native32elementwise_kernel_manual_unrollILi128ELi4EZNS0_15gpu_kernel_implIZZZNS0_12_GLOBAL__N_139_amp_non_finite_check_and_unscale_cuda_ERNS_6TensorES5_RKS4_ENKUlvE_clEvENKUlvE_clEvEUldE_EEvRNS_18TensorIteratorBaseERKT_EUlibE_EEviT1_
    .private_segment_fixed_size: 0
    .sgpr_count:     32
    .sgpr_spill_count: 0
    .symbol:         _ZN2at6native32elementwise_kernel_manual_unrollILi128ELi4EZNS0_15gpu_kernel_implIZZZNS0_12_GLOBAL__N_139_amp_non_finite_check_and_unscale_cuda_ERNS_6TensorES5_RKS4_ENKUlvE_clEvENKUlvE_clEvEUldE_EEvRNS_18TensorIteratorBaseERKT_EUlibE_EEviT1_.kd
    .uniform_work_group_size: 1
    .uses_dynamic_stack: false
    .vgpr_count:     25
    .vgpr_spill_count: 0
    .wavefront_size: 32
    .workgroup_processor_mode: 1
  - .args:
      - .offset:         0
        .size:           4
        .value_kind:     by_value
      - .offset:         8
        .size:           368
        .value_kind:     by_value
    .group_segment_fixed_size: 0
    .kernarg_segment_align: 8
    .kernarg_segment_size: 376
    .language:       OpenCL C
    .language_version:
      - 2
      - 0
    .max_flat_workgroup_size: 128
    .name:           _ZN2at6native32elementwise_kernel_manual_unrollILi128ELi4EZNS0_15gpu_kernel_implIZZZNS0_12_GLOBAL__N_139_amp_non_finite_check_and_unscale_cuda_ERNS_6TensorES5_RKS4_ENKUlvE_clEvENKUlvE_clEvEUldE_EEvRNS_18TensorIteratorBaseERKT_EUlibE0_EEviT1_
    .private_segment_fixed_size: 0
    .sgpr_count:     74
    .sgpr_spill_count: 0
    .symbol:         _ZN2at6native32elementwise_kernel_manual_unrollILi128ELi4EZNS0_15gpu_kernel_implIZZZNS0_12_GLOBAL__N_139_amp_non_finite_check_and_unscale_cuda_ERNS_6TensorES5_RKS4_ENKUlvE_clEvENKUlvE_clEvEUldE_EEvRNS_18TensorIteratorBaseERKT_EUlibE0_EEviT1_.kd
    .uniform_work_group_size: 1
    .uses_dynamic_stack: false
    .vgpr_count:     27
    .vgpr_spill_count: 0
    .wavefront_size: 32
    .workgroup_processor_mode: 1
  - .args:
      - .offset:         0
        .size:           4
        .value_kind:     by_value
      - .offset:         8
        .size:           16
        .value_kind:     by_value
      - .offset:         24
        .size:           16
        .value_kind:     by_value
    .group_segment_fixed_size: 0
    .kernarg_segment_align: 8
    .kernarg_segment_size: 40
    .language:       OpenCL C
    .language_version:
      - 2
      - 0
    .max_flat_workgroup_size: 256
    .name:           _ZN2at6native29vectorized_elementwise_kernelILi16EZZZNS0_12_GLOBAL__N_139_amp_non_finite_check_and_unscale_cuda_ERNS_6TensorES4_RKS3_ENKUlvE_clEvENKUlvE0_clEvEUlfE_St5arrayIPcLm2EEEEviT0_T1_
    .private_segment_fixed_size: 0
    .sgpr_count:     18
    .sgpr_spill_count: 0
    .symbol:         _ZN2at6native29vectorized_elementwise_kernelILi16EZZZNS0_12_GLOBAL__N_139_amp_non_finite_check_and_unscale_cuda_ERNS_6TensorES4_RKS3_ENKUlvE_clEvENKUlvE0_clEvEUlfE_St5arrayIPcLm2EEEEviT0_T1_.kd
    .uniform_work_group_size: 1
    .uses_dynamic_stack: false
    .vgpr_count:     14
    .vgpr_spill_count: 0
    .wavefront_size: 32
    .workgroup_processor_mode: 1
  - .args:
      - .offset:         0
        .size:           4
        .value_kind:     by_value
      - .offset:         8
        .size:           16
        .value_kind:     by_value
      - .offset:         24
        .size:           16
        .value_kind:     by_value
    .group_segment_fixed_size: 0
    .kernarg_segment_align: 8
    .kernarg_segment_size: 40
    .language:       OpenCL C
    .language_version:
      - 2
      - 0
    .max_flat_workgroup_size: 256
    .name:           _ZN2at6native29vectorized_elementwise_kernelILi8EZZZNS0_12_GLOBAL__N_139_amp_non_finite_check_and_unscale_cuda_ERNS_6TensorES4_RKS3_ENKUlvE_clEvENKUlvE0_clEvEUlfE_St5arrayIPcLm2EEEEviT0_T1_
    .private_segment_fixed_size: 0
    .sgpr_count:     18
    .sgpr_spill_count: 0
    .symbol:         _ZN2at6native29vectorized_elementwise_kernelILi8EZZZNS0_12_GLOBAL__N_139_amp_non_finite_check_and_unscale_cuda_ERNS_6TensorES4_RKS3_ENKUlvE_clEvENKUlvE0_clEvEUlfE_St5arrayIPcLm2EEEEviT0_T1_.kd
    .uniform_work_group_size: 1
    .uses_dynamic_stack: false
    .vgpr_count:     14
    .vgpr_spill_count: 0
    .wavefront_size: 32
    .workgroup_processor_mode: 1
  - .args:
      - .offset:         0
        .size:           4
        .value_kind:     by_value
      - .offset:         8
        .size:           16
        .value_kind:     by_value
      - .offset:         24
        .size:           16
        .value_kind:     by_value
    .group_segment_fixed_size: 0
    .kernarg_segment_align: 8
    .kernarg_segment_size: 40
    .language:       OpenCL C
    .language_version:
      - 2
      - 0
    .max_flat_workgroup_size: 256
    .name:           _ZN2at6native29vectorized_elementwise_kernelILi4EZZZNS0_12_GLOBAL__N_139_amp_non_finite_check_and_unscale_cuda_ERNS_6TensorES4_RKS3_ENKUlvE_clEvENKUlvE0_clEvEUlfE_St5arrayIPcLm2EEEEviT0_T1_
    .private_segment_fixed_size: 0
    .sgpr_count:     18
    .sgpr_spill_count: 0
    .symbol:         _ZN2at6native29vectorized_elementwise_kernelILi4EZZZNS0_12_GLOBAL__N_139_amp_non_finite_check_and_unscale_cuda_ERNS_6TensorES4_RKS3_ENKUlvE_clEvENKUlvE0_clEvEUlfE_St5arrayIPcLm2EEEEviT0_T1_.kd
    .uniform_work_group_size: 1
    .uses_dynamic_stack: false
    .vgpr_count:     14
    .vgpr_spill_count: 0
    .wavefront_size: 32
    .workgroup_processor_mode: 1
  - .args:
      - .offset:         0
        .size:           4
        .value_kind:     by_value
      - .offset:         8
        .size:           16
        .value_kind:     by_value
      - .offset:         24
        .size:           16
        .value_kind:     by_value
    .group_segment_fixed_size: 0
    .kernarg_segment_align: 8
    .kernarg_segment_size: 40
    .language:       OpenCL C
    .language_version:
      - 2
      - 0
    .max_flat_workgroup_size: 256
    .name:           _ZN2at6native29vectorized_elementwise_kernelILi2EZZZNS0_12_GLOBAL__N_139_amp_non_finite_check_and_unscale_cuda_ERNS_6TensorES4_RKS3_ENKUlvE_clEvENKUlvE0_clEvEUlfE_St5arrayIPcLm2EEEEviT0_T1_
    .private_segment_fixed_size: 0
    .sgpr_count:     18
    .sgpr_spill_count: 0
    .symbol:         _ZN2at6native29vectorized_elementwise_kernelILi2EZZZNS0_12_GLOBAL__N_139_amp_non_finite_check_and_unscale_cuda_ERNS_6TensorES4_RKS3_ENKUlvE_clEvENKUlvE0_clEvEUlfE_St5arrayIPcLm2EEEEviT0_T1_.kd
    .uniform_work_group_size: 1
    .uses_dynamic_stack: false
    .vgpr_count:     13
    .vgpr_spill_count: 0
    .wavefront_size: 32
    .workgroup_processor_mode: 1
  - .args:
      - .offset:         0
        .size:           4
        .value_kind:     by_value
      - .offset:         8
        .size:           16
        .value_kind:     by_value
      - .offset:         24
        .size:           16
        .value_kind:     by_value
      - .offset:         40
        .size:           1
        .value_kind:     by_value
      - .offset:         41
        .size:           1
        .value_kind:     by_value
      - .offset:         42
        .size:           1
        .value_kind:     by_value
      - .offset:         43
        .size:           1
        .value_kind:     by_value
    .group_segment_fixed_size: 0
    .kernarg_segment_align: 8
    .kernarg_segment_size: 44
    .language:       OpenCL C
    .language_version:
      - 2
      - 0
    .max_flat_workgroup_size: 256
    .name:           _ZN2at6native27unrolled_elementwise_kernelIZZZNS0_12_GLOBAL__N_139_amp_non_finite_check_and_unscale_cuda_ERNS_6TensorES4_RKS3_ENKUlvE_clEvENKUlvE0_clEvEUlfE_St5arrayIPcLm2EELi4E23TrivialOffsetCalculatorILi1EjESE_NS0_6memory15LoadWithoutCastENSF_16StoreWithoutCastEEEviT_T0_T2_T3_T4_T5_
    .private_segment_fixed_size: 0
    .sgpr_count:     18
    .sgpr_spill_count: 0
    .symbol:         _ZN2at6native27unrolled_elementwise_kernelIZZZNS0_12_GLOBAL__N_139_amp_non_finite_check_and_unscale_cuda_ERNS_6TensorES4_RKS3_ENKUlvE_clEvENKUlvE0_clEvEUlfE_St5arrayIPcLm2EELi4E23TrivialOffsetCalculatorILi1EjESE_NS0_6memory15LoadWithoutCastENSF_16StoreWithoutCastEEEviT_T0_T2_T3_T4_T5_.kd
    .uniform_work_group_size: 1
    .uses_dynamic_stack: false
    .vgpr_count:     11
    .vgpr_spill_count: 0
    .wavefront_size: 32
    .workgroup_processor_mode: 1
  - .args:
      - .offset:         0
        .size:           4
        .value_kind:     by_value
      - .offset:         8
        .size:           360
        .value_kind:     by_value
    .group_segment_fixed_size: 0
    .kernarg_segment_align: 8
    .kernarg_segment_size: 368
    .language:       OpenCL C
    .language_version:
      - 2
      - 0
    .max_flat_workgroup_size: 128
    .name:           _ZN2at6native32elementwise_kernel_manual_unrollILi128ELi4EZNS0_22gpu_kernel_impl_nocastIZZZNS0_12_GLOBAL__N_139_amp_non_finite_check_and_unscale_cuda_ERNS_6TensorES5_RKS4_ENKUlvE_clEvENKUlvE0_clEvEUlfE_EEvRNS_18TensorIteratorBaseERKT_EUlibE_EEviT1_
    .private_segment_fixed_size: 0
    .sgpr_count:     62
    .sgpr_spill_count: 0
    .symbol:         _ZN2at6native32elementwise_kernel_manual_unrollILi128ELi4EZNS0_22gpu_kernel_impl_nocastIZZZNS0_12_GLOBAL__N_139_amp_non_finite_check_and_unscale_cuda_ERNS_6TensorES5_RKS4_ENKUlvE_clEvENKUlvE0_clEvEUlfE_EEvRNS_18TensorIteratorBaseERKT_EUlibE_EEviT1_.kd
    .uniform_work_group_size: 1
    .uses_dynamic_stack: false
    .vgpr_count:     18
    .vgpr_spill_count: 0
    .wavefront_size: 32
    .workgroup_processor_mode: 1
  - .args:
      - .offset:         0
        .size:           4
        .value_kind:     by_value
      - .offset:         8
        .size:           48
        .value_kind:     by_value
    .group_segment_fixed_size: 0
    .kernarg_segment_align: 8
    .kernarg_segment_size: 56
    .language:       OpenCL C
    .language_version:
      - 2
      - 0
    .max_flat_workgroup_size: 128
    .name:           _ZN2at6native32elementwise_kernel_manual_unrollILi128ELi4EZNS0_15gpu_kernel_implIZZZNS0_12_GLOBAL__N_139_amp_non_finite_check_and_unscale_cuda_ERNS_6TensorES5_RKS4_ENKUlvE_clEvENKUlvE0_clEvEUlfE_EEvRNS_18TensorIteratorBaseERKT_EUlibE_EEviT1_
    .private_segment_fixed_size: 0
    .sgpr_count:     32
    .sgpr_spill_count: 0
    .symbol:         _ZN2at6native32elementwise_kernel_manual_unrollILi128ELi4EZNS0_15gpu_kernel_implIZZZNS0_12_GLOBAL__N_139_amp_non_finite_check_and_unscale_cuda_ERNS_6TensorES5_RKS4_ENKUlvE_clEvENKUlvE0_clEvEUlfE_EEvRNS_18TensorIteratorBaseERKT_EUlibE_EEviT1_.kd
    .uniform_work_group_size: 1
    .uses_dynamic_stack: false
    .vgpr_count:     15
    .vgpr_spill_count: 0
    .wavefront_size: 32
    .workgroup_processor_mode: 1
  - .args:
      - .offset:         0
        .size:           4
        .value_kind:     by_value
      - .offset:         8
        .size:           368
        .value_kind:     by_value
    .group_segment_fixed_size: 0
    .kernarg_segment_align: 8
    .kernarg_segment_size: 376
    .language:       OpenCL C
    .language_version:
      - 2
      - 0
    .max_flat_workgroup_size: 128
    .name:           _ZN2at6native32elementwise_kernel_manual_unrollILi128ELi4EZNS0_15gpu_kernel_implIZZZNS0_12_GLOBAL__N_139_amp_non_finite_check_and_unscale_cuda_ERNS_6TensorES5_RKS4_ENKUlvE_clEvENKUlvE0_clEvEUlfE_EEvRNS_18TensorIteratorBaseERKT_EUlibE0_EEviT1_
    .private_segment_fixed_size: 0
    .sgpr_count:     74
    .sgpr_spill_count: 0
    .symbol:         _ZN2at6native32elementwise_kernel_manual_unrollILi128ELi4EZNS0_15gpu_kernel_implIZZZNS0_12_GLOBAL__N_139_amp_non_finite_check_and_unscale_cuda_ERNS_6TensorES5_RKS4_ENKUlvE_clEvENKUlvE0_clEvEUlfE_EEvRNS_18TensorIteratorBaseERKT_EUlibE0_EEviT1_.kd
    .uniform_work_group_size: 1
    .uses_dynamic_stack: false
    .vgpr_count:     18
    .vgpr_spill_count: 0
    .wavefront_size: 32
    .workgroup_processor_mode: 1
  - .args:
      - .offset:         0
        .size:           4
        .value_kind:     by_value
      - .offset:         8
        .size:           16
        .value_kind:     by_value
      - .offset:         24
        .size:           16
        .value_kind:     by_value
    .group_segment_fixed_size: 0
    .kernarg_segment_align: 8
    .kernarg_segment_size: 40
    .language:       OpenCL C
    .language_version:
      - 2
      - 0
    .max_flat_workgroup_size: 256
    .name:           _ZN2at6native29vectorized_elementwise_kernelILi16EZZZNS0_12_GLOBAL__N_139_amp_non_finite_check_and_unscale_cuda_ERNS_6TensorES4_RKS3_ENKUlvE_clEvENKUlvE1_clEvEUlN3c104HalfEE_St5arrayIPcLm2EEEEviT0_T1_
    .private_segment_fixed_size: 0
    .sgpr_count:     18
    .sgpr_spill_count: 0
    .symbol:         _ZN2at6native29vectorized_elementwise_kernelILi16EZZZNS0_12_GLOBAL__N_139_amp_non_finite_check_and_unscale_cuda_ERNS_6TensorES4_RKS3_ENKUlvE_clEvENKUlvE1_clEvEUlN3c104HalfEE_St5arrayIPcLm2EEEEviT0_T1_.kd
    .uniform_work_group_size: 1
    .uses_dynamic_stack: false
    .vgpr_count:     27
    .vgpr_spill_count: 0
    .wavefront_size: 32
    .workgroup_processor_mode: 1
  - .args:
      - .offset:         0
        .size:           4
        .value_kind:     by_value
      - .offset:         8
        .size:           16
        .value_kind:     by_value
      - .offset:         24
        .size:           16
        .value_kind:     by_value
    .group_segment_fixed_size: 0
    .kernarg_segment_align: 8
    .kernarg_segment_size: 40
    .language:       OpenCL C
    .language_version:
      - 2
      - 0
    .max_flat_workgroup_size: 256
    .name:           _ZN2at6native29vectorized_elementwise_kernelILi8EZZZNS0_12_GLOBAL__N_139_amp_non_finite_check_and_unscale_cuda_ERNS_6TensorES4_RKS3_ENKUlvE_clEvENKUlvE1_clEvEUlN3c104HalfEE_St5arrayIPcLm2EEEEviT0_T1_
    .private_segment_fixed_size: 0
    .sgpr_count:     18
    .sgpr_spill_count: 0
    .symbol:         _ZN2at6native29vectorized_elementwise_kernelILi8EZZZNS0_12_GLOBAL__N_139_amp_non_finite_check_and_unscale_cuda_ERNS_6TensorES4_RKS3_ENKUlvE_clEvENKUlvE1_clEvEUlN3c104HalfEE_St5arrayIPcLm2EEEEviT0_T1_.kd
    .uniform_work_group_size: 1
    .uses_dynamic_stack: false
    .vgpr_count:     27
    .vgpr_spill_count: 0
    .wavefront_size: 32
    .workgroup_processor_mode: 1
  - .args:
      - .offset:         0
        .size:           4
        .value_kind:     by_value
      - .offset:         8
        .size:           16
        .value_kind:     by_value
      - .offset:         24
        .size:           16
        .value_kind:     by_value
    .group_segment_fixed_size: 0
    .kernarg_segment_align: 8
    .kernarg_segment_size: 40
    .language:       OpenCL C
    .language_version:
      - 2
      - 0
    .max_flat_workgroup_size: 256
    .name:           _ZN2at6native29vectorized_elementwise_kernelILi4EZZZNS0_12_GLOBAL__N_139_amp_non_finite_check_and_unscale_cuda_ERNS_6TensorES4_RKS3_ENKUlvE_clEvENKUlvE1_clEvEUlN3c104HalfEE_St5arrayIPcLm2EEEEviT0_T1_
    .private_segment_fixed_size: 0
    .sgpr_count:     18
    .sgpr_spill_count: 0
    .symbol:         _ZN2at6native29vectorized_elementwise_kernelILi4EZZZNS0_12_GLOBAL__N_139_amp_non_finite_check_and_unscale_cuda_ERNS_6TensorES4_RKS3_ENKUlvE_clEvENKUlvE1_clEvEUlN3c104HalfEE_St5arrayIPcLm2EEEEviT0_T1_.kd
    .uniform_work_group_size: 1
    .uses_dynamic_stack: false
    .vgpr_count:     27
    .vgpr_spill_count: 0
    .wavefront_size: 32
    .workgroup_processor_mode: 1
  - .args:
      - .offset:         0
        .size:           4
        .value_kind:     by_value
      - .offset:         8
        .size:           16
        .value_kind:     by_value
      - .offset:         24
        .size:           16
        .value_kind:     by_value
    .group_segment_fixed_size: 0
    .kernarg_segment_align: 8
    .kernarg_segment_size: 40
    .language:       OpenCL C
    .language_version:
      - 2
      - 0
    .max_flat_workgroup_size: 256
    .name:           _ZN2at6native29vectorized_elementwise_kernelILi2EZZZNS0_12_GLOBAL__N_139_amp_non_finite_check_and_unscale_cuda_ERNS_6TensorES4_RKS3_ENKUlvE_clEvENKUlvE1_clEvEUlN3c104HalfEE_St5arrayIPcLm2EEEEviT0_T1_
    .private_segment_fixed_size: 0
    .sgpr_count:     18
    .sgpr_spill_count: 0
    .symbol:         _ZN2at6native29vectorized_elementwise_kernelILi2EZZZNS0_12_GLOBAL__N_139_amp_non_finite_check_and_unscale_cuda_ERNS_6TensorES4_RKS3_ENKUlvE_clEvENKUlvE1_clEvEUlN3c104HalfEE_St5arrayIPcLm2EEEEviT0_T1_.kd
    .uniform_work_group_size: 1
    .uses_dynamic_stack: false
    .vgpr_count:     27
    .vgpr_spill_count: 0
    .wavefront_size: 32
    .workgroup_processor_mode: 1
  - .args:
      - .offset:         0
        .size:           4
        .value_kind:     by_value
      - .offset:         8
        .size:           16
        .value_kind:     by_value
      - .offset:         24
        .size:           16
        .value_kind:     by_value
      - .offset:         40
        .size:           1
        .value_kind:     by_value
      - .offset:         41
        .size:           1
        .value_kind:     by_value
      - .offset:         42
        .size:           1
        .value_kind:     by_value
      - .offset:         43
        .size:           1
        .value_kind:     by_value
    .group_segment_fixed_size: 0
    .kernarg_segment_align: 8
    .kernarg_segment_size: 44
    .language:       OpenCL C
    .language_version:
      - 2
      - 0
    .max_flat_workgroup_size: 256
    .name:           _ZN2at6native27unrolled_elementwise_kernelIZZZNS0_12_GLOBAL__N_139_amp_non_finite_check_and_unscale_cuda_ERNS_6TensorES4_RKS3_ENKUlvE_clEvENKUlvE1_clEvEUlN3c104HalfEE_St5arrayIPcLm2EELi4E23TrivialOffsetCalculatorILi1EjESG_NS0_6memory15LoadWithoutCastENSH_16StoreWithoutCastEEEviT_T0_T2_T3_T4_T5_
    .private_segment_fixed_size: 0
    .sgpr_count:     18
    .sgpr_spill_count: 0
    .symbol:         _ZN2at6native27unrolled_elementwise_kernelIZZZNS0_12_GLOBAL__N_139_amp_non_finite_check_and_unscale_cuda_ERNS_6TensorES4_RKS3_ENKUlvE_clEvENKUlvE1_clEvEUlN3c104HalfEE_St5arrayIPcLm2EELi4E23TrivialOffsetCalculatorILi1EjESG_NS0_6memory15LoadWithoutCastENSH_16StoreWithoutCastEEEviT_T0_T2_T3_T4_T5_.kd
    .uniform_work_group_size: 1
    .uses_dynamic_stack: false
    .vgpr_count:     10
    .vgpr_spill_count: 0
    .wavefront_size: 32
    .workgroup_processor_mode: 1
  - .args:
      - .offset:         0
        .size:           4
        .value_kind:     by_value
      - .offset:         8
        .size:           360
        .value_kind:     by_value
    .group_segment_fixed_size: 0
    .kernarg_segment_align: 8
    .kernarg_segment_size: 368
    .language:       OpenCL C
    .language_version:
      - 2
      - 0
    .max_flat_workgroup_size: 128
    .name:           _ZN2at6native32elementwise_kernel_manual_unrollILi128ELi8EZNS0_22gpu_kernel_impl_nocastIZZZNS0_12_GLOBAL__N_139_amp_non_finite_check_and_unscale_cuda_ERNS_6TensorES5_RKS4_ENKUlvE_clEvENKUlvE1_clEvEUlN3c104HalfEE_EEvRNS_18TensorIteratorBaseERKT_EUlibE_EEviT1_
    .private_segment_fixed_size: 0
    .sgpr_count:     62
    .sgpr_spill_count: 0
    .symbol:         _ZN2at6native32elementwise_kernel_manual_unrollILi128ELi8EZNS0_22gpu_kernel_impl_nocastIZZZNS0_12_GLOBAL__N_139_amp_non_finite_check_and_unscale_cuda_ERNS_6TensorES5_RKS4_ENKUlvE_clEvENKUlvE1_clEvEUlN3c104HalfEE_EEvRNS_18TensorIteratorBaseERKT_EUlibE_EEviT1_.kd
    .uniform_work_group_size: 1
    .uses_dynamic_stack: false
    .vgpr_count:     33
    .vgpr_spill_count: 0
    .wavefront_size: 32
    .workgroup_processor_mode: 1
  - .args:
      - .offset:         0
        .size:           4
        .value_kind:     by_value
      - .offset:         8
        .size:           48
        .value_kind:     by_value
    .group_segment_fixed_size: 0
    .kernarg_segment_align: 8
    .kernarg_segment_size: 56
    .language:       OpenCL C
    .language_version:
      - 2
      - 0
    .max_flat_workgroup_size: 128
    .name:           _ZN2at6native32elementwise_kernel_manual_unrollILi128ELi4EZNS0_15gpu_kernel_implIZZZNS0_12_GLOBAL__N_139_amp_non_finite_check_and_unscale_cuda_ERNS_6TensorES5_RKS4_ENKUlvE_clEvENKUlvE1_clEvEUlN3c104HalfEE_EEvRNS_18TensorIteratorBaseERKT_EUlibE_EEviT1_
    .private_segment_fixed_size: 0
    .sgpr_count:     32
    .sgpr_spill_count: 0
    .symbol:         _ZN2at6native32elementwise_kernel_manual_unrollILi128ELi4EZNS0_15gpu_kernel_implIZZZNS0_12_GLOBAL__N_139_amp_non_finite_check_and_unscale_cuda_ERNS_6TensorES5_RKS4_ENKUlvE_clEvENKUlvE1_clEvEUlN3c104HalfEE_EEvRNS_18TensorIteratorBaseERKT_EUlibE_EEviT1_.kd
    .uniform_work_group_size: 1
    .uses_dynamic_stack: false
    .vgpr_count:     19
    .vgpr_spill_count: 0
    .wavefront_size: 32
    .workgroup_processor_mode: 1
  - .args:
      - .offset:         0
        .size:           4
        .value_kind:     by_value
      - .offset:         8
        .size:           368
        .value_kind:     by_value
    .group_segment_fixed_size: 0
    .kernarg_segment_align: 8
    .kernarg_segment_size: 376
    .language:       OpenCL C
    .language_version:
      - 2
      - 0
    .max_flat_workgroup_size: 128
    .name:           _ZN2at6native32elementwise_kernel_manual_unrollILi128ELi4EZNS0_15gpu_kernel_implIZZZNS0_12_GLOBAL__N_139_amp_non_finite_check_and_unscale_cuda_ERNS_6TensorES5_RKS4_ENKUlvE_clEvENKUlvE1_clEvEUlN3c104HalfEE_EEvRNS_18TensorIteratorBaseERKT_EUlibE0_EEviT1_
    .private_segment_fixed_size: 0
    .sgpr_count:     74
    .sgpr_spill_count: 0
    .symbol:         _ZN2at6native32elementwise_kernel_manual_unrollILi128ELi4EZNS0_15gpu_kernel_implIZZZNS0_12_GLOBAL__N_139_amp_non_finite_check_and_unscale_cuda_ERNS_6TensorES5_RKS4_ENKUlvE_clEvENKUlvE1_clEvEUlN3c104HalfEE_EEvRNS_18TensorIteratorBaseERKT_EUlibE0_EEviT1_.kd
    .uniform_work_group_size: 1
    .uses_dynamic_stack: false
    .vgpr_count:     21
    .vgpr_spill_count: 0
    .wavefront_size: 32
    .workgroup_processor_mode: 1
  - .args:
      - .offset:         0
        .size:           3368
        .value_kind:     by_value
      - .offset:         3368
        .size:           1
        .value_kind:     by_value
      - .offset:         3376
        .size:           16
        .value_kind:     by_value
      - .offset:         3392
        .size:           4
        .value_kind:     hidden_block_count_x
      - .offset:         3396
        .size:           4
        .value_kind:     hidden_block_count_y
      - .offset:         3400
        .size:           4
        .value_kind:     hidden_block_count_z
      - .offset:         3404
        .size:           2
        .value_kind:     hidden_group_size_x
      - .offset:         3406
        .size:           2
        .value_kind:     hidden_group_size_y
      - .offset:         3408
        .size:           2
        .value_kind:     hidden_group_size_z
      - .offset:         3410
        .size:           2
        .value_kind:     hidden_remainder_x
      - .offset:         3412
        .size:           2
        .value_kind:     hidden_remainder_y
      - .offset:         3414
        .size:           2
        .value_kind:     hidden_remainder_z
      - .offset:         3432
        .size:           8
        .value_kind:     hidden_global_offset_x
      - .offset:         3440
        .size:           8
        .value_kind:     hidden_global_offset_y
      - .offset:         3448
        .size:           8
        .value_kind:     hidden_global_offset_z
      - .offset:         3456
        .size:           2
        .value_kind:     hidden_grid_dims
    .group_segment_fixed_size: 0
    .kernarg_segment_align: 8
    .kernarg_segment_size: 3648
    .language:       OpenCL C
    .language_version:
      - 2
      - 0
    .max_flat_workgroup_size: 512
    .name:           _ZN2at6native12_GLOBAL__N_125multi_tensor_apply_kernelINS1_18TensorListMetadataILi1EEENS1_14UnaryOpFunctorIdLi1ELi1ELi0EEEJZZZNS0_47_amp_foreach_non_finite_check_and_unscale_cuda_EN3c108ArrayRefINS_6TensorEEERS9_RKS9_ENKUlvE_clEvENKUlvE_clEvEUldE_EEEvT_T0_DpT1_
    .private_segment_fixed_size: 0
    .sgpr_count:     29
    .sgpr_spill_count: 0
    .symbol:         _ZN2at6native12_GLOBAL__N_125multi_tensor_apply_kernelINS1_18TensorListMetadataILi1EEENS1_14UnaryOpFunctorIdLi1ELi1ELi0EEEJZZZNS0_47_amp_foreach_non_finite_check_and_unscale_cuda_EN3c108ArrayRefINS_6TensorEEERS9_RKS9_ENKUlvE_clEvENKUlvE_clEvEUldE_EEEvT_T0_DpT1_.kd
    .uniform_work_group_size: 1
    .uses_dynamic_stack: false
    .vgpr_count:     33
    .vgpr_spill_count: 0
    .wavefront_size: 32
    .workgroup_processor_mode: 1
  - .args:
      - .offset:         0
        .size:           3368
        .value_kind:     by_value
      - .offset:         3368
        .size:           1
        .value_kind:     by_value
      - .offset:         3376
        .size:           16
        .value_kind:     by_value
      - .offset:         3392
        .size:           4
        .value_kind:     hidden_block_count_x
      - .offset:         3396
        .size:           4
        .value_kind:     hidden_block_count_y
      - .offset:         3400
        .size:           4
        .value_kind:     hidden_block_count_z
      - .offset:         3404
        .size:           2
        .value_kind:     hidden_group_size_x
      - .offset:         3406
        .size:           2
        .value_kind:     hidden_group_size_y
      - .offset:         3408
        .size:           2
        .value_kind:     hidden_group_size_z
      - .offset:         3410
        .size:           2
        .value_kind:     hidden_remainder_x
      - .offset:         3412
        .size:           2
        .value_kind:     hidden_remainder_y
      - .offset:         3414
        .size:           2
        .value_kind:     hidden_remainder_z
      - .offset:         3432
        .size:           8
        .value_kind:     hidden_global_offset_x
      - .offset:         3440
        .size:           8
        .value_kind:     hidden_global_offset_y
      - .offset:         3448
        .size:           8
        .value_kind:     hidden_global_offset_z
      - .offset:         3456
        .size:           2
        .value_kind:     hidden_grid_dims
    .group_segment_fixed_size: 0
    .kernarg_segment_align: 8
    .kernarg_segment_size: 3648
    .language:       OpenCL C
    .language_version:
      - 2
      - 0
    .max_flat_workgroup_size: 512
    .name:           _ZN2at6native12_GLOBAL__N_125multi_tensor_apply_kernelINS1_18TensorListMetadataILi1EEENS1_14UnaryOpFunctorIfLi1ELi1ELi0EEEJZZZNS0_47_amp_foreach_non_finite_check_and_unscale_cuda_EN3c108ArrayRefINS_6TensorEEERS9_RKS9_ENKUlvE_clEvENKUlvE0_clEvEUlfE_EEEvT_T0_DpT1_
    .private_segment_fixed_size: 0
    .sgpr_count:     29
    .sgpr_spill_count: 0
    .symbol:         _ZN2at6native12_GLOBAL__N_125multi_tensor_apply_kernelINS1_18TensorListMetadataILi1EEENS1_14UnaryOpFunctorIfLi1ELi1ELi0EEEJZZZNS0_47_amp_foreach_non_finite_check_and_unscale_cuda_EN3c108ArrayRefINS_6TensorEEERS9_RKS9_ENKUlvE_clEvENKUlvE0_clEvEUlfE_EEEvT_T0_DpT1_.kd
    .uniform_work_group_size: 1
    .uses_dynamic_stack: false
    .vgpr_count:     22
    .vgpr_spill_count: 0
    .wavefront_size: 32
    .workgroup_processor_mode: 1
  - .args:
      - .offset:         0
        .size:           3368
        .value_kind:     by_value
      - .offset:         3368
        .size:           1
        .value_kind:     by_value
      - .offset:         3376
        .size:           16
        .value_kind:     by_value
      - .offset:         3392
        .size:           4
        .value_kind:     hidden_block_count_x
      - .offset:         3396
        .size:           4
        .value_kind:     hidden_block_count_y
      - .offset:         3400
        .size:           4
        .value_kind:     hidden_block_count_z
      - .offset:         3404
        .size:           2
        .value_kind:     hidden_group_size_x
      - .offset:         3406
        .size:           2
        .value_kind:     hidden_group_size_y
      - .offset:         3408
        .size:           2
        .value_kind:     hidden_group_size_z
      - .offset:         3410
        .size:           2
        .value_kind:     hidden_remainder_x
      - .offset:         3412
        .size:           2
        .value_kind:     hidden_remainder_y
      - .offset:         3414
        .size:           2
        .value_kind:     hidden_remainder_z
      - .offset:         3432
        .size:           8
        .value_kind:     hidden_global_offset_x
      - .offset:         3440
        .size:           8
        .value_kind:     hidden_global_offset_y
      - .offset:         3448
        .size:           8
        .value_kind:     hidden_global_offset_z
      - .offset:         3456
        .size:           2
        .value_kind:     hidden_grid_dims
    .group_segment_fixed_size: 0
    .kernarg_segment_align: 8
    .kernarg_segment_size: 3648
    .language:       OpenCL C
    .language_version:
      - 2
      - 0
    .max_flat_workgroup_size: 512
    .name:           _ZN2at6native12_GLOBAL__N_125multi_tensor_apply_kernelINS1_18TensorListMetadataILi1EEENS1_14UnaryOpFunctorIN3c104HalfELi1ELi1ELi0EEEJZZZNS0_47_amp_foreach_non_finite_check_and_unscale_cuda_ENS6_8ArrayRefINS_6TensorEEERSA_RKSA_ENKUlvE_clEvENKUlvE1_clEvEUlfE_EEEvT_T0_DpT1_
    .private_segment_fixed_size: 0
    .sgpr_count:     28
    .sgpr_spill_count: 0
    .symbol:         _ZN2at6native12_GLOBAL__N_125multi_tensor_apply_kernelINS1_18TensorListMetadataILi1EEENS1_14UnaryOpFunctorIN3c104HalfELi1ELi1ELi0EEEJZZZNS0_47_amp_foreach_non_finite_check_and_unscale_cuda_ENS6_8ArrayRefINS_6TensorEEERSA_RKSA_ENKUlvE_clEvENKUlvE1_clEvEUlfE_EEEvT_T0_DpT1_.kd
    .uniform_work_group_size: 1
    .uses_dynamic_stack: false
    .vgpr_count:     25
    .vgpr_spill_count: 0
    .wavefront_size: 32
    .workgroup_processor_mode: 1
amdhsa.target:   amdgcn-amd-amdhsa--gfx1030
amdhsa.version:
  - 1
  - 2
...

	.end_amdgpu_metadata
